;; amdgpu-corpus repo=pytorch/pytorch kind=compiled arch=gfx90a opt=O3
	.text
	.amdgcn_target "amdgcn-amd-amdhsa--gfx90a"
	.amdhsa_code_object_version 6
	.section	.text._ZN2at6native29vectorized_elementwise_kernelILi16EZZZNS0_12prelu_kernelERNS_14TensorIteratorEENKUlvE_clEvENKUlvE_clEvEUlddE_St5arrayIPcLm3EEEEviT0_T1_,"axG",@progbits,_ZN2at6native29vectorized_elementwise_kernelILi16EZZZNS0_12prelu_kernelERNS_14TensorIteratorEENKUlvE_clEvENKUlvE_clEvEUlddE_St5arrayIPcLm3EEEEviT0_T1_,comdat
	.globl	_ZN2at6native29vectorized_elementwise_kernelILi16EZZZNS0_12prelu_kernelERNS_14TensorIteratorEENKUlvE_clEvENKUlvE_clEvEUlddE_St5arrayIPcLm3EEEEviT0_T1_ ; -- Begin function _ZN2at6native29vectorized_elementwise_kernelILi16EZZZNS0_12prelu_kernelERNS_14TensorIteratorEENKUlvE_clEvENKUlvE_clEvEUlddE_St5arrayIPcLm3EEEEviT0_T1_
	.p2align	8
	.type	_ZN2at6native29vectorized_elementwise_kernelILi16EZZZNS0_12prelu_kernelERNS_14TensorIteratorEENKUlvE_clEvENKUlvE_clEvEUlddE_St5arrayIPcLm3EEEEviT0_T1_,@function
_ZN2at6native29vectorized_elementwise_kernelILi16EZZZNS0_12prelu_kernelERNS_14TensorIteratorEENKUlvE_clEvENKUlvE_clEvEUlddE_St5arrayIPcLm3EEEEviT0_T1_: ; @_ZN2at6native29vectorized_elementwise_kernelILi16EZZZNS0_12prelu_kernelERNS_14TensorIteratorEENKUlvE_clEvENKUlvE_clEvEUlddE_St5arrayIPcLm3EEEEviT0_T1_
; %bb.0:
	s_load_dword s0, s[4:5], 0x0
	s_load_dwordx4 s[8:11], s[4:5], 0x8
	s_load_dwordx2 s[12:13], s[4:5], 0x18
	s_lshl_b32 s2, s6, 10
	s_waitcnt lgkmcnt(0)
	s_sub_i32 s6, s0, s2
	s_cmpk_gt_i32 s6, 0x3ff
	s_mov_b64 s[0:1], -1
	s_cbranch_scc0 .LBB0_2
; %bb.1:
	s_ashr_i32 s3, s2, 31
	s_lshl_b64 s[4:5], s[2:3], 3
	s_add_u32 s0, s10, s4
	s_addc_u32 s1, s11, s5
	v_lshlrev_b32_e32 v1, 5, v0
	global_load_dwordx4 v[2:5], v1, s[0:1]
	s_add_u32 s14, s12, s4
	s_addc_u32 s15, s13, s5
	global_load_dwordx4 v[6:9], v1, s[14:15]
	global_load_dwordx4 v[10:13], v1, s[0:1] offset:16
	global_load_dwordx4 v[14:17], v1, s[14:15] offset:16
	s_add_u32 s4, s8, s4
	s_addc_u32 s5, s9, s5
	s_mov_b64 s[0:1], 0
	s_waitcnt vmcnt(3)
	v_cmp_lt_f64_e32 vcc, 0, v[2:3]
	s_waitcnt vmcnt(2)
	v_mul_f64 v[6:7], v[2:3], v[6:7]
	v_mul_f64 v[8:9], v[4:5], v[8:9]
	v_cndmask_b32_e32 v3, v7, v3, vcc
	v_cndmask_b32_e32 v2, v6, v2, vcc
	v_cmp_lt_f64_e32 vcc, 0, v[4:5]
	s_waitcnt vmcnt(0)
	v_mul_f64 v[14:15], v[10:11], v[14:15]
	v_cndmask_b32_e32 v5, v9, v5, vcc
	v_cndmask_b32_e32 v4, v8, v4, vcc
	v_cmp_lt_f64_e32 vcc, 0, v[10:11]
	v_mul_f64 v[16:17], v[12:13], v[16:17]
	v_cndmask_b32_e32 v7, v15, v11, vcc
	v_cndmask_b32_e32 v6, v14, v10, vcc
	v_cmp_lt_f64_e32 vcc, 0, v[12:13]
	v_cndmask_b32_e32 v9, v17, v13, vcc
	v_cndmask_b32_e32 v8, v16, v12, vcc
	global_store_dwordx4 v1, v[2:5], s[4:5]
	global_store_dwordx4 v1, v[6:9], s[4:5] offset:16
.LBB0_2:
	s_andn2_b64 vcc, exec, s[0:1]
	s_cbranch_vccnz .LBB0_16
; %bb.3:
	v_pk_mov_b32 v[4:5], 0, 0
	v_cmp_gt_i32_e32 vcc, s6, v0
	v_or_b32_e32 v2, s2, v0
	v_pk_mov_b32 v[6:7], v[4:5], v[4:5] op_sel:[0,1]
	v_pk_mov_b32 v[8:9], v[4:5], v[4:5] op_sel:[0,1]
	v_mov_b32_e32 v1, v0
	s_and_saveexec_b64 s[4:5], vcc
	s_cbranch_execz .LBB0_5
; %bb.4:
	v_mov_b32_e32 v3, 0
	v_lshlrev_b64 v[6:7], 3, v[2:3]
	v_mov_b32_e32 v1, s13
	v_add_co_u32_e64 v10, s[0:1], s12, v6
	v_addc_co_u32_e64 v11, s[0:1], v1, v7, s[0:1]
	v_mov_b32_e32 v1, s11
	v_add_co_u32_e64 v12, s[0:1], s10, v6
	v_addc_co_u32_e64 v13, s[0:1], v1, v7, s[0:1]
	global_load_dwordx2 v[6:7], v[12:13], off
	global_load_dwordx2 v[8:9], v[10:11], off
	v_or_b32_e32 v1, 0x100, v0
.LBB0_5:
	s_or_b64 exec, exec, s[4:5]
	v_cmp_gt_i32_e64 s[0:1], s6, v1
	v_pk_mov_b32 v[10:11], v[4:5], v[4:5] op_sel:[0,1]
	s_and_saveexec_b64 s[4:5], s[0:1]
	s_cbranch_execz .LBB0_7
; %bb.6:
	v_add_u32_e32 v4, s2, v1
	v_mov_b32_e32 v5, 0
	v_lshlrev_b64 v[4:5], 3, v[4:5]
	v_mov_b32_e32 v3, s13
	v_add_co_u32_e64 v12, s[0:1], s12, v4
	v_addc_co_u32_e64 v13, s[0:1], v3, v5, s[0:1]
	v_mov_b32_e32 v3, s11
	v_add_co_u32_e64 v14, s[0:1], s10, v4
	v_addc_co_u32_e64 v15, s[0:1], v3, v5, s[0:1]
	global_load_dwordx2 v[4:5], v[14:15], off
	global_load_dwordx2 v[10:11], v[12:13], off
	v_add_u32_e32 v1, 0x100, v1
.LBB0_7:
	s_or_b64 exec, exec, s[4:5]
	v_pk_mov_b32 v[12:13], 0, 0
	v_cmp_gt_i32_e64 s[0:1], s6, v1
	v_pk_mov_b32 v[14:15], v[12:13], v[12:13] op_sel:[0,1]
	v_pk_mov_b32 v[16:17], v[12:13], v[12:13] op_sel:[0,1]
	s_and_saveexec_b64 s[4:5], s[0:1]
	s_cbranch_execz .LBB0_9
; %bb.8:
	v_add_u32_e32 v14, s2, v1
	v_mov_b32_e32 v15, 0
	v_lshlrev_b64 v[14:15], 3, v[14:15]
	v_mov_b32_e32 v3, s13
	v_add_co_u32_e64 v18, s[0:1], s12, v14
	v_addc_co_u32_e64 v19, s[0:1], v3, v15, s[0:1]
	v_mov_b32_e32 v3, s11
	v_add_co_u32_e64 v20, s[0:1], s10, v14
	v_addc_co_u32_e64 v21, s[0:1], v3, v15, s[0:1]
	global_load_dwordx2 v[14:15], v[20:21], off
	global_load_dwordx2 v[16:17], v[18:19], off
	v_add_u32_e32 v1, 0x100, v1
.LBB0_9:
	s_or_b64 exec, exec, s[4:5]
	v_cmp_gt_i32_e64 s[0:1], s6, v1
	v_pk_mov_b32 v[20:21], v[12:13], v[12:13] op_sel:[0,1]
	s_and_saveexec_b64 s[4:5], s[0:1]
	s_cbranch_execz .LBB0_11
; %bb.10:
	v_add_u32_e32 v12, s2, v1
	v_mov_b32_e32 v13, 0
	v_lshlrev_b64 v[12:13], 3, v[12:13]
	v_mov_b32_e32 v1, s13
	v_add_co_u32_e64 v18, s[0:1], s12, v12
	v_addc_co_u32_e64 v19, s[0:1], v1, v13, s[0:1]
	v_mov_b32_e32 v1, s11
	v_add_co_u32_e64 v22, s[0:1], s10, v12
	v_addc_co_u32_e64 v23, s[0:1], v1, v13, s[0:1]
	global_load_dwordx2 v[12:13], v[22:23], off
	global_load_dwordx2 v[20:21], v[18:19], off
.LBB0_11:
	s_or_b64 exec, exec, s[4:5]
	s_waitcnt vmcnt(0)
	v_mul_f64 v[8:9], v[6:7], v[8:9]
	v_cmp_lt_f64_e64 s[0:1], 0, v[6:7]
	v_cndmask_b32_e64 v19, v9, v7, s[0:1]
	v_cndmask_b32_e64 v18, v8, v6, s[0:1]
	v_mul_f64 v[6:7], v[4:5], v[10:11]
	v_cmp_lt_f64_e64 s[0:1], 0, v[4:5]
	v_cndmask_b32_e64 v9, v7, v5, s[0:1]
	v_cndmask_b32_e64 v8, v6, v4, s[0:1]
	;; [unrolled: 4-line block ×4, first 2 shown]
	s_and_saveexec_b64 s[0:1], vcc
	s_cbranch_execnz .LBB0_17
; %bb.12:
	s_or_b64 exec, exec, s[0:1]
	v_cmp_gt_i32_e32 vcc, s6, v0
	s_and_saveexec_b64 s[0:1], vcc
	s_cbranch_execnz .LBB0_18
.LBB0_13:
	s_or_b64 exec, exec, s[0:1]
	v_cmp_gt_i32_e32 vcc, s6, v0
	s_and_saveexec_b64 s[0:1], vcc
	s_cbranch_execnz .LBB0_19
.LBB0_14:
	s_or_b64 exec, exec, s[0:1]
	v_cmp_gt_i32_e32 vcc, s6, v0
	s_and_saveexec_b64 s[0:1], vcc
	s_cbranch_execz .LBB0_16
.LBB0_15:
	v_add_u32_e32 v0, s2, v0
	v_mov_b32_e32 v1, 0
	v_lshlrev_b64 v[0:1], 3, v[0:1]
	v_mov_b32_e32 v2, s9
	v_add_co_u32_e32 v0, vcc, s8, v0
	v_addc_co_u32_e32 v1, vcc, v2, v1, vcc
	global_store_dwordx2 v[0:1], v[4:5], off
.LBB0_16:
	s_endpgm
.LBB0_17:
	v_mov_b32_e32 v3, 0
	v_lshlrev_b64 v[2:3], 3, v[2:3]
	v_mov_b32_e32 v1, s9
	v_add_co_u32_e32 v2, vcc, s8, v2
	v_or_b32_e32 v0, 0x100, v0
	v_addc_co_u32_e32 v3, vcc, v1, v3, vcc
	global_store_dwordx2 v[2:3], v[18:19], off
	s_or_b64 exec, exec, s[0:1]
	v_cmp_gt_i32_e32 vcc, s6, v0
	s_and_saveexec_b64 s[0:1], vcc
	s_cbranch_execz .LBB0_13
.LBB0_18:
	v_add_u32_e32 v2, s2, v0
	v_mov_b32_e32 v3, 0
	v_lshlrev_b64 v[2:3], 3, v[2:3]
	v_mov_b32_e32 v1, s9
	v_add_co_u32_e32 v2, vcc, s8, v2
	v_addc_co_u32_e32 v3, vcc, v1, v3, vcc
	v_add_u32_e32 v0, 0x100, v0
	global_store_dwordx2 v[2:3], v[8:9], off
	s_or_b64 exec, exec, s[0:1]
	v_cmp_gt_i32_e32 vcc, s6, v0
	s_and_saveexec_b64 s[0:1], vcc
	s_cbranch_execz .LBB0_14
.LBB0_19:
	v_add_u32_e32 v2, s2, v0
	v_mov_b32_e32 v3, 0
	v_lshlrev_b64 v[2:3], 3, v[2:3]
	v_mov_b32_e32 v1, s9
	v_add_co_u32_e32 v2, vcc, s8, v2
	v_addc_co_u32_e32 v3, vcc, v1, v3, vcc
	v_add_u32_e32 v0, 0x100, v0
	global_store_dwordx2 v[2:3], v[6:7], off
	s_or_b64 exec, exec, s[0:1]
	v_cmp_gt_i32_e32 vcc, s6, v0
	s_and_saveexec_b64 s[0:1], vcc
	s_cbranch_execnz .LBB0_15
	s_branch .LBB0_16
	.section	.rodata,"a",@progbits
	.p2align	6, 0x0
	.amdhsa_kernel _ZN2at6native29vectorized_elementwise_kernelILi16EZZZNS0_12prelu_kernelERNS_14TensorIteratorEENKUlvE_clEvENKUlvE_clEvEUlddE_St5arrayIPcLm3EEEEviT0_T1_
		.amdhsa_group_segment_fixed_size 0
		.amdhsa_private_segment_fixed_size 0
		.amdhsa_kernarg_size 32
		.amdhsa_user_sgpr_count 6
		.amdhsa_user_sgpr_private_segment_buffer 1
		.amdhsa_user_sgpr_dispatch_ptr 0
		.amdhsa_user_sgpr_queue_ptr 0
		.amdhsa_user_sgpr_kernarg_segment_ptr 1
		.amdhsa_user_sgpr_dispatch_id 0
		.amdhsa_user_sgpr_flat_scratch_init 0
		.amdhsa_user_sgpr_kernarg_preload_length 0
		.amdhsa_user_sgpr_kernarg_preload_offset 0
		.amdhsa_user_sgpr_private_segment_size 0
		.amdhsa_uses_dynamic_stack 0
		.amdhsa_system_sgpr_private_segment_wavefront_offset 0
		.amdhsa_system_sgpr_workgroup_id_x 1
		.amdhsa_system_sgpr_workgroup_id_y 0
		.amdhsa_system_sgpr_workgroup_id_z 0
		.amdhsa_system_sgpr_workgroup_info 0
		.amdhsa_system_vgpr_workitem_id 0
		.amdhsa_next_free_vgpr 24
		.amdhsa_next_free_sgpr 16
		.amdhsa_accum_offset 24
		.amdhsa_reserve_vcc 1
		.amdhsa_reserve_flat_scratch 0
		.amdhsa_float_round_mode_32 0
		.amdhsa_float_round_mode_16_64 0
		.amdhsa_float_denorm_mode_32 3
		.amdhsa_float_denorm_mode_16_64 3
		.amdhsa_dx10_clamp 1
		.amdhsa_ieee_mode 1
		.amdhsa_fp16_overflow 0
		.amdhsa_tg_split 0
		.amdhsa_exception_fp_ieee_invalid_op 0
		.amdhsa_exception_fp_denorm_src 0
		.amdhsa_exception_fp_ieee_div_zero 0
		.amdhsa_exception_fp_ieee_overflow 0
		.amdhsa_exception_fp_ieee_underflow 0
		.amdhsa_exception_fp_ieee_inexact 0
		.amdhsa_exception_int_div_zero 0
	.end_amdhsa_kernel
	.section	.text._ZN2at6native29vectorized_elementwise_kernelILi16EZZZNS0_12prelu_kernelERNS_14TensorIteratorEENKUlvE_clEvENKUlvE_clEvEUlddE_St5arrayIPcLm3EEEEviT0_T1_,"axG",@progbits,_ZN2at6native29vectorized_elementwise_kernelILi16EZZZNS0_12prelu_kernelERNS_14TensorIteratorEENKUlvE_clEvENKUlvE_clEvEUlddE_St5arrayIPcLm3EEEEviT0_T1_,comdat
.Lfunc_end0:
	.size	_ZN2at6native29vectorized_elementwise_kernelILi16EZZZNS0_12prelu_kernelERNS_14TensorIteratorEENKUlvE_clEvENKUlvE_clEvEUlddE_St5arrayIPcLm3EEEEviT0_T1_, .Lfunc_end0-_ZN2at6native29vectorized_elementwise_kernelILi16EZZZNS0_12prelu_kernelERNS_14TensorIteratorEENKUlvE_clEvENKUlvE_clEvEUlddE_St5arrayIPcLm3EEEEviT0_T1_
                                        ; -- End function
	.section	.AMDGPU.csdata,"",@progbits
; Kernel info:
; codeLenInByte = 1100
; NumSgprs: 20
; NumVgprs: 24
; NumAgprs: 0
; TotalNumVgprs: 24
; ScratchSize: 0
; MemoryBound: 0
; FloatMode: 240
; IeeeMode: 1
; LDSByteSize: 0 bytes/workgroup (compile time only)
; SGPRBlocks: 2
; VGPRBlocks: 2
; NumSGPRsForWavesPerEU: 20
; NumVGPRsForWavesPerEU: 24
; AccumOffset: 24
; Occupancy: 8
; WaveLimiterHint : 0
; COMPUTE_PGM_RSRC2:SCRATCH_EN: 0
; COMPUTE_PGM_RSRC2:USER_SGPR: 6
; COMPUTE_PGM_RSRC2:TRAP_HANDLER: 0
; COMPUTE_PGM_RSRC2:TGID_X_EN: 1
; COMPUTE_PGM_RSRC2:TGID_Y_EN: 0
; COMPUTE_PGM_RSRC2:TGID_Z_EN: 0
; COMPUTE_PGM_RSRC2:TIDIG_COMP_CNT: 0
; COMPUTE_PGM_RSRC3_GFX90A:ACCUM_OFFSET: 5
; COMPUTE_PGM_RSRC3_GFX90A:TG_SPLIT: 0
	.section	.text._ZN2at6native29vectorized_elementwise_kernelILi8EZZZNS0_12prelu_kernelERNS_14TensorIteratorEENKUlvE_clEvENKUlvE_clEvEUlddE_St5arrayIPcLm3EEEEviT0_T1_,"axG",@progbits,_ZN2at6native29vectorized_elementwise_kernelILi8EZZZNS0_12prelu_kernelERNS_14TensorIteratorEENKUlvE_clEvENKUlvE_clEvEUlddE_St5arrayIPcLm3EEEEviT0_T1_,comdat
	.globl	_ZN2at6native29vectorized_elementwise_kernelILi8EZZZNS0_12prelu_kernelERNS_14TensorIteratorEENKUlvE_clEvENKUlvE_clEvEUlddE_St5arrayIPcLm3EEEEviT0_T1_ ; -- Begin function _ZN2at6native29vectorized_elementwise_kernelILi8EZZZNS0_12prelu_kernelERNS_14TensorIteratorEENKUlvE_clEvENKUlvE_clEvEUlddE_St5arrayIPcLm3EEEEviT0_T1_
	.p2align	8
	.type	_ZN2at6native29vectorized_elementwise_kernelILi8EZZZNS0_12prelu_kernelERNS_14TensorIteratorEENKUlvE_clEvENKUlvE_clEvEUlddE_St5arrayIPcLm3EEEEviT0_T1_,@function
_ZN2at6native29vectorized_elementwise_kernelILi8EZZZNS0_12prelu_kernelERNS_14TensorIteratorEENKUlvE_clEvENKUlvE_clEvEUlddE_St5arrayIPcLm3EEEEviT0_T1_: ; @_ZN2at6native29vectorized_elementwise_kernelILi8EZZZNS0_12prelu_kernelERNS_14TensorIteratorEENKUlvE_clEvENKUlvE_clEvEUlddE_St5arrayIPcLm3EEEEviT0_T1_
; %bb.0:
	s_load_dword s0, s[4:5], 0x0
	s_load_dwordx4 s[8:11], s[4:5], 0x8
	s_load_dwordx2 s[12:13], s[4:5], 0x18
	s_lshl_b32 s2, s6, 10
	s_waitcnt lgkmcnt(0)
	s_sub_i32 s6, s0, s2
	s_cmpk_gt_i32 s6, 0x3ff
	s_mov_b64 s[0:1], -1
	s_cbranch_scc0 .LBB1_2
; %bb.1:
	s_ashr_i32 s3, s2, 31
	s_lshl_b64 s[4:5], s[2:3], 3
	s_add_u32 s0, s10, s4
	s_addc_u32 s1, s11, s5
	v_lshlrev_b32_e32 v1, 5, v0
	global_load_dwordx4 v[2:5], v1, s[0:1]
	s_add_u32 s14, s12, s4
	s_addc_u32 s15, s13, s5
	global_load_dwordx4 v[6:9], v1, s[14:15]
	global_load_dwordx4 v[10:13], v1, s[0:1] offset:16
	global_load_dwordx4 v[14:17], v1, s[14:15] offset:16
	s_add_u32 s4, s8, s4
	s_addc_u32 s5, s9, s5
	s_mov_b64 s[0:1], 0
	s_waitcnt vmcnt(3)
	v_cmp_lt_f64_e32 vcc, 0, v[2:3]
	s_waitcnt vmcnt(2)
	v_mul_f64 v[6:7], v[2:3], v[6:7]
	v_mul_f64 v[8:9], v[4:5], v[8:9]
	v_cndmask_b32_e32 v3, v7, v3, vcc
	v_cndmask_b32_e32 v2, v6, v2, vcc
	v_cmp_lt_f64_e32 vcc, 0, v[4:5]
	s_waitcnt vmcnt(0)
	v_mul_f64 v[14:15], v[10:11], v[14:15]
	v_cndmask_b32_e32 v5, v9, v5, vcc
	v_cndmask_b32_e32 v4, v8, v4, vcc
	v_cmp_lt_f64_e32 vcc, 0, v[10:11]
	v_mul_f64 v[16:17], v[12:13], v[16:17]
	v_cndmask_b32_e32 v7, v15, v11, vcc
	v_cndmask_b32_e32 v6, v14, v10, vcc
	v_cmp_lt_f64_e32 vcc, 0, v[12:13]
	v_cndmask_b32_e32 v9, v17, v13, vcc
	v_cndmask_b32_e32 v8, v16, v12, vcc
	global_store_dwordx4 v1, v[2:5], s[4:5]
	global_store_dwordx4 v1, v[6:9], s[4:5] offset:16
.LBB1_2:
	s_andn2_b64 vcc, exec, s[0:1]
	s_cbranch_vccnz .LBB1_16
; %bb.3:
	v_pk_mov_b32 v[4:5], 0, 0
	v_cmp_gt_i32_e32 vcc, s6, v0
	v_or_b32_e32 v2, s2, v0
	v_pk_mov_b32 v[6:7], v[4:5], v[4:5] op_sel:[0,1]
	v_pk_mov_b32 v[8:9], v[4:5], v[4:5] op_sel:[0,1]
	v_mov_b32_e32 v1, v0
	s_and_saveexec_b64 s[4:5], vcc
	s_cbranch_execz .LBB1_5
; %bb.4:
	v_mov_b32_e32 v3, 0
	v_lshlrev_b64 v[6:7], 3, v[2:3]
	v_mov_b32_e32 v1, s13
	v_add_co_u32_e64 v10, s[0:1], s12, v6
	v_addc_co_u32_e64 v11, s[0:1], v1, v7, s[0:1]
	v_mov_b32_e32 v1, s11
	v_add_co_u32_e64 v12, s[0:1], s10, v6
	v_addc_co_u32_e64 v13, s[0:1], v1, v7, s[0:1]
	global_load_dwordx2 v[6:7], v[12:13], off
	global_load_dwordx2 v[8:9], v[10:11], off
	v_or_b32_e32 v1, 0x100, v0
.LBB1_5:
	s_or_b64 exec, exec, s[4:5]
	v_cmp_gt_i32_e64 s[0:1], s6, v1
	v_pk_mov_b32 v[10:11], v[4:5], v[4:5] op_sel:[0,1]
	s_and_saveexec_b64 s[4:5], s[0:1]
	s_cbranch_execz .LBB1_7
; %bb.6:
	v_add_u32_e32 v4, s2, v1
	v_mov_b32_e32 v5, 0
	v_lshlrev_b64 v[4:5], 3, v[4:5]
	v_mov_b32_e32 v3, s13
	v_add_co_u32_e64 v12, s[0:1], s12, v4
	v_addc_co_u32_e64 v13, s[0:1], v3, v5, s[0:1]
	v_mov_b32_e32 v3, s11
	v_add_co_u32_e64 v14, s[0:1], s10, v4
	v_addc_co_u32_e64 v15, s[0:1], v3, v5, s[0:1]
	global_load_dwordx2 v[4:5], v[14:15], off
	global_load_dwordx2 v[10:11], v[12:13], off
	v_add_u32_e32 v1, 0x100, v1
.LBB1_7:
	s_or_b64 exec, exec, s[4:5]
	v_pk_mov_b32 v[12:13], 0, 0
	v_cmp_gt_i32_e64 s[0:1], s6, v1
	v_pk_mov_b32 v[14:15], v[12:13], v[12:13] op_sel:[0,1]
	v_pk_mov_b32 v[16:17], v[12:13], v[12:13] op_sel:[0,1]
	s_and_saveexec_b64 s[4:5], s[0:1]
	s_cbranch_execz .LBB1_9
; %bb.8:
	v_add_u32_e32 v14, s2, v1
	v_mov_b32_e32 v15, 0
	v_lshlrev_b64 v[14:15], 3, v[14:15]
	v_mov_b32_e32 v3, s13
	v_add_co_u32_e64 v18, s[0:1], s12, v14
	v_addc_co_u32_e64 v19, s[0:1], v3, v15, s[0:1]
	v_mov_b32_e32 v3, s11
	v_add_co_u32_e64 v20, s[0:1], s10, v14
	v_addc_co_u32_e64 v21, s[0:1], v3, v15, s[0:1]
	global_load_dwordx2 v[14:15], v[20:21], off
	global_load_dwordx2 v[16:17], v[18:19], off
	v_add_u32_e32 v1, 0x100, v1
.LBB1_9:
	s_or_b64 exec, exec, s[4:5]
	v_cmp_gt_i32_e64 s[0:1], s6, v1
	v_pk_mov_b32 v[20:21], v[12:13], v[12:13] op_sel:[0,1]
	s_and_saveexec_b64 s[4:5], s[0:1]
	s_cbranch_execz .LBB1_11
; %bb.10:
	v_add_u32_e32 v12, s2, v1
	v_mov_b32_e32 v13, 0
	v_lshlrev_b64 v[12:13], 3, v[12:13]
	v_mov_b32_e32 v1, s13
	v_add_co_u32_e64 v18, s[0:1], s12, v12
	v_addc_co_u32_e64 v19, s[0:1], v1, v13, s[0:1]
	v_mov_b32_e32 v1, s11
	v_add_co_u32_e64 v22, s[0:1], s10, v12
	v_addc_co_u32_e64 v23, s[0:1], v1, v13, s[0:1]
	global_load_dwordx2 v[12:13], v[22:23], off
	global_load_dwordx2 v[20:21], v[18:19], off
.LBB1_11:
	s_or_b64 exec, exec, s[4:5]
	s_waitcnt vmcnt(0)
	v_mul_f64 v[8:9], v[6:7], v[8:9]
	v_cmp_lt_f64_e64 s[0:1], 0, v[6:7]
	v_cndmask_b32_e64 v19, v9, v7, s[0:1]
	v_cndmask_b32_e64 v18, v8, v6, s[0:1]
	v_mul_f64 v[6:7], v[4:5], v[10:11]
	v_cmp_lt_f64_e64 s[0:1], 0, v[4:5]
	v_cndmask_b32_e64 v9, v7, v5, s[0:1]
	v_cndmask_b32_e64 v8, v6, v4, s[0:1]
	;; [unrolled: 4-line block ×4, first 2 shown]
	s_and_saveexec_b64 s[0:1], vcc
	s_cbranch_execnz .LBB1_17
; %bb.12:
	s_or_b64 exec, exec, s[0:1]
	v_cmp_gt_i32_e32 vcc, s6, v0
	s_and_saveexec_b64 s[0:1], vcc
	s_cbranch_execnz .LBB1_18
.LBB1_13:
	s_or_b64 exec, exec, s[0:1]
	v_cmp_gt_i32_e32 vcc, s6, v0
	s_and_saveexec_b64 s[0:1], vcc
	s_cbranch_execnz .LBB1_19
.LBB1_14:
	s_or_b64 exec, exec, s[0:1]
	v_cmp_gt_i32_e32 vcc, s6, v0
	s_and_saveexec_b64 s[0:1], vcc
	s_cbranch_execz .LBB1_16
.LBB1_15:
	v_add_u32_e32 v0, s2, v0
	v_mov_b32_e32 v1, 0
	v_lshlrev_b64 v[0:1], 3, v[0:1]
	v_mov_b32_e32 v2, s9
	v_add_co_u32_e32 v0, vcc, s8, v0
	v_addc_co_u32_e32 v1, vcc, v2, v1, vcc
	global_store_dwordx2 v[0:1], v[4:5], off
.LBB1_16:
	s_endpgm
.LBB1_17:
	v_mov_b32_e32 v3, 0
	v_lshlrev_b64 v[2:3], 3, v[2:3]
	v_mov_b32_e32 v1, s9
	v_add_co_u32_e32 v2, vcc, s8, v2
	v_or_b32_e32 v0, 0x100, v0
	v_addc_co_u32_e32 v3, vcc, v1, v3, vcc
	global_store_dwordx2 v[2:3], v[18:19], off
	s_or_b64 exec, exec, s[0:1]
	v_cmp_gt_i32_e32 vcc, s6, v0
	s_and_saveexec_b64 s[0:1], vcc
	s_cbranch_execz .LBB1_13
.LBB1_18:
	v_add_u32_e32 v2, s2, v0
	v_mov_b32_e32 v3, 0
	v_lshlrev_b64 v[2:3], 3, v[2:3]
	v_mov_b32_e32 v1, s9
	v_add_co_u32_e32 v2, vcc, s8, v2
	v_addc_co_u32_e32 v3, vcc, v1, v3, vcc
	v_add_u32_e32 v0, 0x100, v0
	global_store_dwordx2 v[2:3], v[8:9], off
	s_or_b64 exec, exec, s[0:1]
	v_cmp_gt_i32_e32 vcc, s6, v0
	s_and_saveexec_b64 s[0:1], vcc
	s_cbranch_execz .LBB1_14
.LBB1_19:
	v_add_u32_e32 v2, s2, v0
	v_mov_b32_e32 v3, 0
	v_lshlrev_b64 v[2:3], 3, v[2:3]
	v_mov_b32_e32 v1, s9
	v_add_co_u32_e32 v2, vcc, s8, v2
	v_addc_co_u32_e32 v3, vcc, v1, v3, vcc
	v_add_u32_e32 v0, 0x100, v0
	global_store_dwordx2 v[2:3], v[6:7], off
	s_or_b64 exec, exec, s[0:1]
	v_cmp_gt_i32_e32 vcc, s6, v0
	s_and_saveexec_b64 s[0:1], vcc
	s_cbranch_execnz .LBB1_15
	s_branch .LBB1_16
	.section	.rodata,"a",@progbits
	.p2align	6, 0x0
	.amdhsa_kernel _ZN2at6native29vectorized_elementwise_kernelILi8EZZZNS0_12prelu_kernelERNS_14TensorIteratorEENKUlvE_clEvENKUlvE_clEvEUlddE_St5arrayIPcLm3EEEEviT0_T1_
		.amdhsa_group_segment_fixed_size 0
		.amdhsa_private_segment_fixed_size 0
		.amdhsa_kernarg_size 32
		.amdhsa_user_sgpr_count 6
		.amdhsa_user_sgpr_private_segment_buffer 1
		.amdhsa_user_sgpr_dispatch_ptr 0
		.amdhsa_user_sgpr_queue_ptr 0
		.amdhsa_user_sgpr_kernarg_segment_ptr 1
		.amdhsa_user_sgpr_dispatch_id 0
		.amdhsa_user_sgpr_flat_scratch_init 0
		.amdhsa_user_sgpr_kernarg_preload_length 0
		.amdhsa_user_sgpr_kernarg_preload_offset 0
		.amdhsa_user_sgpr_private_segment_size 0
		.amdhsa_uses_dynamic_stack 0
		.amdhsa_system_sgpr_private_segment_wavefront_offset 0
		.amdhsa_system_sgpr_workgroup_id_x 1
		.amdhsa_system_sgpr_workgroup_id_y 0
		.amdhsa_system_sgpr_workgroup_id_z 0
		.amdhsa_system_sgpr_workgroup_info 0
		.amdhsa_system_vgpr_workitem_id 0
		.amdhsa_next_free_vgpr 24
		.amdhsa_next_free_sgpr 16
		.amdhsa_accum_offset 24
		.amdhsa_reserve_vcc 1
		.amdhsa_reserve_flat_scratch 0
		.amdhsa_float_round_mode_32 0
		.amdhsa_float_round_mode_16_64 0
		.amdhsa_float_denorm_mode_32 3
		.amdhsa_float_denorm_mode_16_64 3
		.amdhsa_dx10_clamp 1
		.amdhsa_ieee_mode 1
		.amdhsa_fp16_overflow 0
		.amdhsa_tg_split 0
		.amdhsa_exception_fp_ieee_invalid_op 0
		.amdhsa_exception_fp_denorm_src 0
		.amdhsa_exception_fp_ieee_div_zero 0
		.amdhsa_exception_fp_ieee_overflow 0
		.amdhsa_exception_fp_ieee_underflow 0
		.amdhsa_exception_fp_ieee_inexact 0
		.amdhsa_exception_int_div_zero 0
	.end_amdhsa_kernel
	.section	.text._ZN2at6native29vectorized_elementwise_kernelILi8EZZZNS0_12prelu_kernelERNS_14TensorIteratorEENKUlvE_clEvENKUlvE_clEvEUlddE_St5arrayIPcLm3EEEEviT0_T1_,"axG",@progbits,_ZN2at6native29vectorized_elementwise_kernelILi8EZZZNS0_12prelu_kernelERNS_14TensorIteratorEENKUlvE_clEvENKUlvE_clEvEUlddE_St5arrayIPcLm3EEEEviT0_T1_,comdat
.Lfunc_end1:
	.size	_ZN2at6native29vectorized_elementwise_kernelILi8EZZZNS0_12prelu_kernelERNS_14TensorIteratorEENKUlvE_clEvENKUlvE_clEvEUlddE_St5arrayIPcLm3EEEEviT0_T1_, .Lfunc_end1-_ZN2at6native29vectorized_elementwise_kernelILi8EZZZNS0_12prelu_kernelERNS_14TensorIteratorEENKUlvE_clEvENKUlvE_clEvEUlddE_St5arrayIPcLm3EEEEviT0_T1_
                                        ; -- End function
	.section	.AMDGPU.csdata,"",@progbits
; Kernel info:
; codeLenInByte = 1100
; NumSgprs: 20
; NumVgprs: 24
; NumAgprs: 0
; TotalNumVgprs: 24
; ScratchSize: 0
; MemoryBound: 0
; FloatMode: 240
; IeeeMode: 1
; LDSByteSize: 0 bytes/workgroup (compile time only)
; SGPRBlocks: 2
; VGPRBlocks: 2
; NumSGPRsForWavesPerEU: 20
; NumVGPRsForWavesPerEU: 24
; AccumOffset: 24
; Occupancy: 8
; WaveLimiterHint : 0
; COMPUTE_PGM_RSRC2:SCRATCH_EN: 0
; COMPUTE_PGM_RSRC2:USER_SGPR: 6
; COMPUTE_PGM_RSRC2:TRAP_HANDLER: 0
; COMPUTE_PGM_RSRC2:TGID_X_EN: 1
; COMPUTE_PGM_RSRC2:TGID_Y_EN: 0
; COMPUTE_PGM_RSRC2:TGID_Z_EN: 0
; COMPUTE_PGM_RSRC2:TIDIG_COMP_CNT: 0
; COMPUTE_PGM_RSRC3_GFX90A:ACCUM_OFFSET: 5
; COMPUTE_PGM_RSRC3_GFX90A:TG_SPLIT: 0
	.section	.text._ZN2at6native29vectorized_elementwise_kernelILi4EZZZNS0_12prelu_kernelERNS_14TensorIteratorEENKUlvE_clEvENKUlvE_clEvEUlddE_St5arrayIPcLm3EEEEviT0_T1_,"axG",@progbits,_ZN2at6native29vectorized_elementwise_kernelILi4EZZZNS0_12prelu_kernelERNS_14TensorIteratorEENKUlvE_clEvENKUlvE_clEvEUlddE_St5arrayIPcLm3EEEEviT0_T1_,comdat
	.globl	_ZN2at6native29vectorized_elementwise_kernelILi4EZZZNS0_12prelu_kernelERNS_14TensorIteratorEENKUlvE_clEvENKUlvE_clEvEUlddE_St5arrayIPcLm3EEEEviT0_T1_ ; -- Begin function _ZN2at6native29vectorized_elementwise_kernelILi4EZZZNS0_12prelu_kernelERNS_14TensorIteratorEENKUlvE_clEvENKUlvE_clEvEUlddE_St5arrayIPcLm3EEEEviT0_T1_
	.p2align	8
	.type	_ZN2at6native29vectorized_elementwise_kernelILi4EZZZNS0_12prelu_kernelERNS_14TensorIteratorEENKUlvE_clEvENKUlvE_clEvEUlddE_St5arrayIPcLm3EEEEviT0_T1_,@function
_ZN2at6native29vectorized_elementwise_kernelILi4EZZZNS0_12prelu_kernelERNS_14TensorIteratorEENKUlvE_clEvENKUlvE_clEvEUlddE_St5arrayIPcLm3EEEEviT0_T1_: ; @_ZN2at6native29vectorized_elementwise_kernelILi4EZZZNS0_12prelu_kernelERNS_14TensorIteratorEENKUlvE_clEvENKUlvE_clEvEUlddE_St5arrayIPcLm3EEEEviT0_T1_
; %bb.0:
	s_load_dword s0, s[4:5], 0x0
	s_load_dwordx4 s[8:11], s[4:5], 0x8
	s_load_dwordx2 s[12:13], s[4:5], 0x18
	s_lshl_b32 s2, s6, 10
	s_waitcnt lgkmcnt(0)
	s_sub_i32 s6, s0, s2
	s_cmpk_gt_i32 s6, 0x3ff
	s_mov_b64 s[0:1], -1
	s_cbranch_scc0 .LBB2_2
; %bb.1:
	s_ashr_i32 s3, s2, 31
	s_lshl_b64 s[4:5], s[2:3], 3
	s_add_u32 s0, s10, s4
	s_addc_u32 s1, s11, s5
	v_lshlrev_b32_e32 v1, 5, v0
	global_load_dwordx4 v[2:5], v1, s[0:1]
	s_add_u32 s14, s12, s4
	s_addc_u32 s15, s13, s5
	global_load_dwordx4 v[6:9], v1, s[14:15]
	global_load_dwordx4 v[10:13], v1, s[0:1] offset:16
	global_load_dwordx4 v[14:17], v1, s[14:15] offset:16
	s_add_u32 s4, s8, s4
	s_addc_u32 s5, s9, s5
	s_mov_b64 s[0:1], 0
	s_waitcnt vmcnt(3)
	v_cmp_lt_f64_e32 vcc, 0, v[2:3]
	s_waitcnt vmcnt(2)
	v_mul_f64 v[6:7], v[2:3], v[6:7]
	v_mul_f64 v[8:9], v[4:5], v[8:9]
	v_cndmask_b32_e32 v3, v7, v3, vcc
	v_cndmask_b32_e32 v2, v6, v2, vcc
	v_cmp_lt_f64_e32 vcc, 0, v[4:5]
	s_waitcnt vmcnt(0)
	v_mul_f64 v[14:15], v[10:11], v[14:15]
	v_cndmask_b32_e32 v5, v9, v5, vcc
	v_cndmask_b32_e32 v4, v8, v4, vcc
	v_cmp_lt_f64_e32 vcc, 0, v[10:11]
	v_mul_f64 v[16:17], v[12:13], v[16:17]
	v_cndmask_b32_e32 v7, v15, v11, vcc
	v_cndmask_b32_e32 v6, v14, v10, vcc
	v_cmp_lt_f64_e32 vcc, 0, v[12:13]
	v_cndmask_b32_e32 v9, v17, v13, vcc
	v_cndmask_b32_e32 v8, v16, v12, vcc
	global_store_dwordx4 v1, v[2:5], s[4:5]
	global_store_dwordx4 v1, v[6:9], s[4:5] offset:16
.LBB2_2:
	s_andn2_b64 vcc, exec, s[0:1]
	s_cbranch_vccnz .LBB2_16
; %bb.3:
	v_pk_mov_b32 v[4:5], 0, 0
	v_cmp_gt_i32_e32 vcc, s6, v0
	v_or_b32_e32 v2, s2, v0
	v_pk_mov_b32 v[6:7], v[4:5], v[4:5] op_sel:[0,1]
	v_pk_mov_b32 v[8:9], v[4:5], v[4:5] op_sel:[0,1]
	v_mov_b32_e32 v1, v0
	s_and_saveexec_b64 s[4:5], vcc
	s_cbranch_execz .LBB2_5
; %bb.4:
	v_mov_b32_e32 v3, 0
	v_lshlrev_b64 v[6:7], 3, v[2:3]
	v_mov_b32_e32 v1, s13
	v_add_co_u32_e64 v10, s[0:1], s12, v6
	v_addc_co_u32_e64 v11, s[0:1], v1, v7, s[0:1]
	v_mov_b32_e32 v1, s11
	v_add_co_u32_e64 v12, s[0:1], s10, v6
	v_addc_co_u32_e64 v13, s[0:1], v1, v7, s[0:1]
	global_load_dwordx2 v[6:7], v[12:13], off
	global_load_dwordx2 v[8:9], v[10:11], off
	v_or_b32_e32 v1, 0x100, v0
.LBB2_5:
	s_or_b64 exec, exec, s[4:5]
	v_cmp_gt_i32_e64 s[0:1], s6, v1
	v_pk_mov_b32 v[10:11], v[4:5], v[4:5] op_sel:[0,1]
	s_and_saveexec_b64 s[4:5], s[0:1]
	s_cbranch_execz .LBB2_7
; %bb.6:
	v_add_u32_e32 v4, s2, v1
	v_mov_b32_e32 v5, 0
	v_lshlrev_b64 v[4:5], 3, v[4:5]
	v_mov_b32_e32 v3, s13
	v_add_co_u32_e64 v12, s[0:1], s12, v4
	v_addc_co_u32_e64 v13, s[0:1], v3, v5, s[0:1]
	v_mov_b32_e32 v3, s11
	v_add_co_u32_e64 v14, s[0:1], s10, v4
	v_addc_co_u32_e64 v15, s[0:1], v3, v5, s[0:1]
	global_load_dwordx2 v[4:5], v[14:15], off
	global_load_dwordx2 v[10:11], v[12:13], off
	v_add_u32_e32 v1, 0x100, v1
.LBB2_7:
	s_or_b64 exec, exec, s[4:5]
	v_pk_mov_b32 v[12:13], 0, 0
	v_cmp_gt_i32_e64 s[0:1], s6, v1
	v_pk_mov_b32 v[14:15], v[12:13], v[12:13] op_sel:[0,1]
	v_pk_mov_b32 v[16:17], v[12:13], v[12:13] op_sel:[0,1]
	s_and_saveexec_b64 s[4:5], s[0:1]
	s_cbranch_execz .LBB2_9
; %bb.8:
	v_add_u32_e32 v14, s2, v1
	v_mov_b32_e32 v15, 0
	v_lshlrev_b64 v[14:15], 3, v[14:15]
	v_mov_b32_e32 v3, s13
	v_add_co_u32_e64 v18, s[0:1], s12, v14
	v_addc_co_u32_e64 v19, s[0:1], v3, v15, s[0:1]
	v_mov_b32_e32 v3, s11
	v_add_co_u32_e64 v20, s[0:1], s10, v14
	v_addc_co_u32_e64 v21, s[0:1], v3, v15, s[0:1]
	global_load_dwordx2 v[14:15], v[20:21], off
	global_load_dwordx2 v[16:17], v[18:19], off
	v_add_u32_e32 v1, 0x100, v1
.LBB2_9:
	s_or_b64 exec, exec, s[4:5]
	v_cmp_gt_i32_e64 s[0:1], s6, v1
	v_pk_mov_b32 v[20:21], v[12:13], v[12:13] op_sel:[0,1]
	s_and_saveexec_b64 s[4:5], s[0:1]
	s_cbranch_execz .LBB2_11
; %bb.10:
	v_add_u32_e32 v12, s2, v1
	v_mov_b32_e32 v13, 0
	v_lshlrev_b64 v[12:13], 3, v[12:13]
	v_mov_b32_e32 v1, s13
	v_add_co_u32_e64 v18, s[0:1], s12, v12
	v_addc_co_u32_e64 v19, s[0:1], v1, v13, s[0:1]
	v_mov_b32_e32 v1, s11
	v_add_co_u32_e64 v22, s[0:1], s10, v12
	v_addc_co_u32_e64 v23, s[0:1], v1, v13, s[0:1]
	global_load_dwordx2 v[12:13], v[22:23], off
	global_load_dwordx2 v[20:21], v[18:19], off
.LBB2_11:
	s_or_b64 exec, exec, s[4:5]
	s_waitcnt vmcnt(0)
	v_mul_f64 v[8:9], v[6:7], v[8:9]
	v_cmp_lt_f64_e64 s[0:1], 0, v[6:7]
	v_cndmask_b32_e64 v19, v9, v7, s[0:1]
	v_cndmask_b32_e64 v18, v8, v6, s[0:1]
	v_mul_f64 v[6:7], v[4:5], v[10:11]
	v_cmp_lt_f64_e64 s[0:1], 0, v[4:5]
	v_cndmask_b32_e64 v9, v7, v5, s[0:1]
	v_cndmask_b32_e64 v8, v6, v4, s[0:1]
	;; [unrolled: 4-line block ×4, first 2 shown]
	s_and_saveexec_b64 s[0:1], vcc
	s_cbranch_execnz .LBB2_17
; %bb.12:
	s_or_b64 exec, exec, s[0:1]
	v_cmp_gt_i32_e32 vcc, s6, v0
	s_and_saveexec_b64 s[0:1], vcc
	s_cbranch_execnz .LBB2_18
.LBB2_13:
	s_or_b64 exec, exec, s[0:1]
	v_cmp_gt_i32_e32 vcc, s6, v0
	s_and_saveexec_b64 s[0:1], vcc
	s_cbranch_execnz .LBB2_19
.LBB2_14:
	s_or_b64 exec, exec, s[0:1]
	v_cmp_gt_i32_e32 vcc, s6, v0
	s_and_saveexec_b64 s[0:1], vcc
	s_cbranch_execz .LBB2_16
.LBB2_15:
	v_add_u32_e32 v0, s2, v0
	v_mov_b32_e32 v1, 0
	v_lshlrev_b64 v[0:1], 3, v[0:1]
	v_mov_b32_e32 v2, s9
	v_add_co_u32_e32 v0, vcc, s8, v0
	v_addc_co_u32_e32 v1, vcc, v2, v1, vcc
	global_store_dwordx2 v[0:1], v[4:5], off
.LBB2_16:
	s_endpgm
.LBB2_17:
	v_mov_b32_e32 v3, 0
	v_lshlrev_b64 v[2:3], 3, v[2:3]
	v_mov_b32_e32 v1, s9
	v_add_co_u32_e32 v2, vcc, s8, v2
	v_or_b32_e32 v0, 0x100, v0
	v_addc_co_u32_e32 v3, vcc, v1, v3, vcc
	global_store_dwordx2 v[2:3], v[18:19], off
	s_or_b64 exec, exec, s[0:1]
	v_cmp_gt_i32_e32 vcc, s6, v0
	s_and_saveexec_b64 s[0:1], vcc
	s_cbranch_execz .LBB2_13
.LBB2_18:
	v_add_u32_e32 v2, s2, v0
	v_mov_b32_e32 v3, 0
	v_lshlrev_b64 v[2:3], 3, v[2:3]
	v_mov_b32_e32 v1, s9
	v_add_co_u32_e32 v2, vcc, s8, v2
	v_addc_co_u32_e32 v3, vcc, v1, v3, vcc
	v_add_u32_e32 v0, 0x100, v0
	global_store_dwordx2 v[2:3], v[8:9], off
	s_or_b64 exec, exec, s[0:1]
	v_cmp_gt_i32_e32 vcc, s6, v0
	s_and_saveexec_b64 s[0:1], vcc
	s_cbranch_execz .LBB2_14
.LBB2_19:
	v_add_u32_e32 v2, s2, v0
	v_mov_b32_e32 v3, 0
	v_lshlrev_b64 v[2:3], 3, v[2:3]
	v_mov_b32_e32 v1, s9
	v_add_co_u32_e32 v2, vcc, s8, v2
	v_addc_co_u32_e32 v3, vcc, v1, v3, vcc
	v_add_u32_e32 v0, 0x100, v0
	global_store_dwordx2 v[2:3], v[6:7], off
	s_or_b64 exec, exec, s[0:1]
	v_cmp_gt_i32_e32 vcc, s6, v0
	s_and_saveexec_b64 s[0:1], vcc
	s_cbranch_execnz .LBB2_15
	s_branch .LBB2_16
	.section	.rodata,"a",@progbits
	.p2align	6, 0x0
	.amdhsa_kernel _ZN2at6native29vectorized_elementwise_kernelILi4EZZZNS0_12prelu_kernelERNS_14TensorIteratorEENKUlvE_clEvENKUlvE_clEvEUlddE_St5arrayIPcLm3EEEEviT0_T1_
		.amdhsa_group_segment_fixed_size 0
		.amdhsa_private_segment_fixed_size 0
		.amdhsa_kernarg_size 32
		.amdhsa_user_sgpr_count 6
		.amdhsa_user_sgpr_private_segment_buffer 1
		.amdhsa_user_sgpr_dispatch_ptr 0
		.amdhsa_user_sgpr_queue_ptr 0
		.amdhsa_user_sgpr_kernarg_segment_ptr 1
		.amdhsa_user_sgpr_dispatch_id 0
		.amdhsa_user_sgpr_flat_scratch_init 0
		.amdhsa_user_sgpr_kernarg_preload_length 0
		.amdhsa_user_sgpr_kernarg_preload_offset 0
		.amdhsa_user_sgpr_private_segment_size 0
		.amdhsa_uses_dynamic_stack 0
		.amdhsa_system_sgpr_private_segment_wavefront_offset 0
		.amdhsa_system_sgpr_workgroup_id_x 1
		.amdhsa_system_sgpr_workgroup_id_y 0
		.amdhsa_system_sgpr_workgroup_id_z 0
		.amdhsa_system_sgpr_workgroup_info 0
		.amdhsa_system_vgpr_workitem_id 0
		.amdhsa_next_free_vgpr 24
		.amdhsa_next_free_sgpr 16
		.amdhsa_accum_offset 24
		.amdhsa_reserve_vcc 1
		.amdhsa_reserve_flat_scratch 0
		.amdhsa_float_round_mode_32 0
		.amdhsa_float_round_mode_16_64 0
		.amdhsa_float_denorm_mode_32 3
		.amdhsa_float_denorm_mode_16_64 3
		.amdhsa_dx10_clamp 1
		.amdhsa_ieee_mode 1
		.amdhsa_fp16_overflow 0
		.amdhsa_tg_split 0
		.amdhsa_exception_fp_ieee_invalid_op 0
		.amdhsa_exception_fp_denorm_src 0
		.amdhsa_exception_fp_ieee_div_zero 0
		.amdhsa_exception_fp_ieee_overflow 0
		.amdhsa_exception_fp_ieee_underflow 0
		.amdhsa_exception_fp_ieee_inexact 0
		.amdhsa_exception_int_div_zero 0
	.end_amdhsa_kernel
	.section	.text._ZN2at6native29vectorized_elementwise_kernelILi4EZZZNS0_12prelu_kernelERNS_14TensorIteratorEENKUlvE_clEvENKUlvE_clEvEUlddE_St5arrayIPcLm3EEEEviT0_T1_,"axG",@progbits,_ZN2at6native29vectorized_elementwise_kernelILi4EZZZNS0_12prelu_kernelERNS_14TensorIteratorEENKUlvE_clEvENKUlvE_clEvEUlddE_St5arrayIPcLm3EEEEviT0_T1_,comdat
.Lfunc_end2:
	.size	_ZN2at6native29vectorized_elementwise_kernelILi4EZZZNS0_12prelu_kernelERNS_14TensorIteratorEENKUlvE_clEvENKUlvE_clEvEUlddE_St5arrayIPcLm3EEEEviT0_T1_, .Lfunc_end2-_ZN2at6native29vectorized_elementwise_kernelILi4EZZZNS0_12prelu_kernelERNS_14TensorIteratorEENKUlvE_clEvENKUlvE_clEvEUlddE_St5arrayIPcLm3EEEEviT0_T1_
                                        ; -- End function
	.section	.AMDGPU.csdata,"",@progbits
; Kernel info:
; codeLenInByte = 1100
; NumSgprs: 20
; NumVgprs: 24
; NumAgprs: 0
; TotalNumVgprs: 24
; ScratchSize: 0
; MemoryBound: 0
; FloatMode: 240
; IeeeMode: 1
; LDSByteSize: 0 bytes/workgroup (compile time only)
; SGPRBlocks: 2
; VGPRBlocks: 2
; NumSGPRsForWavesPerEU: 20
; NumVGPRsForWavesPerEU: 24
; AccumOffset: 24
; Occupancy: 8
; WaveLimiterHint : 0
; COMPUTE_PGM_RSRC2:SCRATCH_EN: 0
; COMPUTE_PGM_RSRC2:USER_SGPR: 6
; COMPUTE_PGM_RSRC2:TRAP_HANDLER: 0
; COMPUTE_PGM_RSRC2:TGID_X_EN: 1
; COMPUTE_PGM_RSRC2:TGID_Y_EN: 0
; COMPUTE_PGM_RSRC2:TGID_Z_EN: 0
; COMPUTE_PGM_RSRC2:TIDIG_COMP_CNT: 0
; COMPUTE_PGM_RSRC3_GFX90A:ACCUM_OFFSET: 5
; COMPUTE_PGM_RSRC3_GFX90A:TG_SPLIT: 0
	.section	.text._ZN2at6native29vectorized_elementwise_kernelILi2EZZZNS0_12prelu_kernelERNS_14TensorIteratorEENKUlvE_clEvENKUlvE_clEvEUlddE_St5arrayIPcLm3EEEEviT0_T1_,"axG",@progbits,_ZN2at6native29vectorized_elementwise_kernelILi2EZZZNS0_12prelu_kernelERNS_14TensorIteratorEENKUlvE_clEvENKUlvE_clEvEUlddE_St5arrayIPcLm3EEEEviT0_T1_,comdat
	.globl	_ZN2at6native29vectorized_elementwise_kernelILi2EZZZNS0_12prelu_kernelERNS_14TensorIteratorEENKUlvE_clEvENKUlvE_clEvEUlddE_St5arrayIPcLm3EEEEviT0_T1_ ; -- Begin function _ZN2at6native29vectorized_elementwise_kernelILi2EZZZNS0_12prelu_kernelERNS_14TensorIteratorEENKUlvE_clEvENKUlvE_clEvEUlddE_St5arrayIPcLm3EEEEviT0_T1_
	.p2align	8
	.type	_ZN2at6native29vectorized_elementwise_kernelILi2EZZZNS0_12prelu_kernelERNS_14TensorIteratorEENKUlvE_clEvENKUlvE_clEvEUlddE_St5arrayIPcLm3EEEEviT0_T1_,@function
_ZN2at6native29vectorized_elementwise_kernelILi2EZZZNS0_12prelu_kernelERNS_14TensorIteratorEENKUlvE_clEvENKUlvE_clEvEUlddE_St5arrayIPcLm3EEEEviT0_T1_: ; @_ZN2at6native29vectorized_elementwise_kernelILi2EZZZNS0_12prelu_kernelERNS_14TensorIteratorEENKUlvE_clEvENKUlvE_clEvEUlddE_St5arrayIPcLm3EEEEviT0_T1_
; %bb.0:
	s_load_dword s0, s[4:5], 0x0
	s_load_dwordx4 s[8:11], s[4:5], 0x8
	s_load_dwordx2 s[12:13], s[4:5], 0x18
	s_lshl_b32 s2, s6, 10
	s_mov_b64 s[4:5], -1
	s_waitcnt lgkmcnt(0)
	s_sub_i32 s6, s0, s2
	s_cmpk_gt_i32 s6, 0x3ff
	s_cbranch_scc0 .LBB3_2
; %bb.1:
	s_ashr_i32 s3, s2, 31
	s_lshl_b64 s[0:1], s[2:3], 3
	s_add_u32 s4, s10, s0
	s_addc_u32 s5, s11, s1
	v_lshlrev_b32_e32 v1, 4, v0
	v_mov_b32_e32 v2, s5
	v_add_co_u32_e32 v3, vcc, s4, v1
	v_addc_co_u32_e32 v4, vcc, 0, v2, vcc
	s_movk_i32 s3, 0x1000
	v_add_co_u32_e32 v2, vcc, s3, v3
	s_add_u32 s14, s12, s0
	v_addc_co_u32_e32 v3, vcc, 0, v4, vcc
	s_addc_u32 s15, s13, s1
	v_mov_b32_e32 v14, s15
	v_add_co_u32_e32 v15, vcc, s14, v1
	global_load_dwordx4 v[2:5], v[2:3], off
	s_nop 0
	global_load_dwordx4 v[6:9], v1, s[4:5]
	global_load_dwordx4 v[10:13], v1, s[14:15]
	v_addc_co_u32_e32 v16, vcc, 0, v14, vcc
	v_add_co_u32_e32 v14, vcc, s3, v15
	v_addc_co_u32_e32 v15, vcc, 0, v16, vcc
	global_load_dwordx4 v[14:17], v[14:15], off
	s_add_u32 s14, s8, s0
	s_addc_u32 s15, s9, s1
	v_mov_b32_e32 v18, s15
	v_add_co_u32_e32 v19, vcc, s14, v1
	v_addc_co_u32_e32 v20, vcc, 0, v18, vcc
	v_add_co_u32_e32 v18, vcc, 0x1000, v19
	v_addc_co_u32_e32 v19, vcc, 0, v20, vcc
	s_mov_b64 s[4:5], 0
	s_waitcnt vmcnt(2)
	v_cmp_lt_f64_e64 s[0:1], 0, v[6:7]
	s_waitcnt vmcnt(1)
	v_mul_f64 v[10:11], v[6:7], v[10:11]
	v_mul_f64 v[12:13], v[8:9], v[12:13]
	v_cndmask_b32_e64 v7, v11, v7, s[0:1]
	v_cndmask_b32_e64 v6, v10, v6, s[0:1]
	v_cmp_lt_f64_e64 s[0:1], 0, v[8:9]
	v_cndmask_b32_e64 v9, v13, v9, s[0:1]
	v_cndmask_b32_e64 v8, v12, v8, s[0:1]
	global_store_dwordx4 v1, v[6:9], s[14:15]
	v_cmp_lt_f64_e64 s[0:1], 0, v[2:3]
	s_waitcnt vmcnt(1)
	v_mul_f64 v[6:7], v[2:3], v[14:15]
	v_mul_f64 v[8:9], v[4:5], v[16:17]
	v_cndmask_b32_e64 v3, v7, v3, s[0:1]
	v_cndmask_b32_e64 v2, v6, v2, s[0:1]
	v_cmp_lt_f64_e64 s[0:1], 0, v[4:5]
	v_cndmask_b32_e64 v5, v9, v5, s[0:1]
	v_cndmask_b32_e64 v4, v8, v4, s[0:1]
	global_store_dwordx4 v[18:19], v[2:5], off
.LBB3_2:
	s_andn2_b64 vcc, exec, s[4:5]
	s_cbranch_vccnz .LBB3_16
; %bb.3:
	v_pk_mov_b32 v[4:5], 0, 0
	v_cmp_gt_i32_e32 vcc, s6, v0
	v_or_b32_e32 v2, s2, v0
	v_pk_mov_b32 v[6:7], v[4:5], v[4:5] op_sel:[0,1]
	v_pk_mov_b32 v[8:9], v[4:5], v[4:5] op_sel:[0,1]
	v_mov_b32_e32 v1, v0
	s_and_saveexec_b64 s[4:5], vcc
	s_cbranch_execz .LBB3_5
; %bb.4:
	v_mov_b32_e32 v3, 0
	v_lshlrev_b64 v[6:7], 3, v[2:3]
	v_mov_b32_e32 v1, s13
	v_add_co_u32_e64 v10, s[0:1], s12, v6
	v_addc_co_u32_e64 v11, s[0:1], v1, v7, s[0:1]
	v_mov_b32_e32 v1, s11
	v_add_co_u32_e64 v12, s[0:1], s10, v6
	v_addc_co_u32_e64 v13, s[0:1], v1, v7, s[0:1]
	global_load_dwordx2 v[6:7], v[12:13], off
	global_load_dwordx2 v[8:9], v[10:11], off
	v_or_b32_e32 v1, 0x100, v0
.LBB3_5:
	s_or_b64 exec, exec, s[4:5]
	v_cmp_gt_i32_e64 s[0:1], s6, v1
	v_pk_mov_b32 v[10:11], v[4:5], v[4:5] op_sel:[0,1]
	s_and_saveexec_b64 s[4:5], s[0:1]
	s_cbranch_execz .LBB3_7
; %bb.6:
	v_add_u32_e32 v4, s2, v1
	v_mov_b32_e32 v5, 0
	v_lshlrev_b64 v[4:5], 3, v[4:5]
	v_mov_b32_e32 v3, s13
	v_add_co_u32_e64 v12, s[0:1], s12, v4
	v_addc_co_u32_e64 v13, s[0:1], v3, v5, s[0:1]
	v_mov_b32_e32 v3, s11
	v_add_co_u32_e64 v14, s[0:1], s10, v4
	v_addc_co_u32_e64 v15, s[0:1], v3, v5, s[0:1]
	global_load_dwordx2 v[4:5], v[14:15], off
	global_load_dwordx2 v[10:11], v[12:13], off
	v_add_u32_e32 v1, 0x100, v1
.LBB3_7:
	s_or_b64 exec, exec, s[4:5]
	v_pk_mov_b32 v[12:13], 0, 0
	v_cmp_gt_i32_e64 s[0:1], s6, v1
	v_pk_mov_b32 v[14:15], v[12:13], v[12:13] op_sel:[0,1]
	v_pk_mov_b32 v[16:17], v[12:13], v[12:13] op_sel:[0,1]
	s_and_saveexec_b64 s[4:5], s[0:1]
	s_cbranch_execz .LBB3_9
; %bb.8:
	v_add_u32_e32 v14, s2, v1
	v_mov_b32_e32 v15, 0
	v_lshlrev_b64 v[14:15], 3, v[14:15]
	v_mov_b32_e32 v3, s13
	v_add_co_u32_e64 v18, s[0:1], s12, v14
	v_addc_co_u32_e64 v19, s[0:1], v3, v15, s[0:1]
	v_mov_b32_e32 v3, s11
	v_add_co_u32_e64 v20, s[0:1], s10, v14
	v_addc_co_u32_e64 v21, s[0:1], v3, v15, s[0:1]
	global_load_dwordx2 v[14:15], v[20:21], off
	global_load_dwordx2 v[16:17], v[18:19], off
	v_add_u32_e32 v1, 0x100, v1
.LBB3_9:
	s_or_b64 exec, exec, s[4:5]
	v_cmp_gt_i32_e64 s[0:1], s6, v1
	v_pk_mov_b32 v[20:21], v[12:13], v[12:13] op_sel:[0,1]
	s_and_saveexec_b64 s[4:5], s[0:1]
	s_cbranch_execz .LBB3_11
; %bb.10:
	v_add_u32_e32 v12, s2, v1
	v_mov_b32_e32 v13, 0
	v_lshlrev_b64 v[12:13], 3, v[12:13]
	v_mov_b32_e32 v1, s13
	v_add_co_u32_e64 v18, s[0:1], s12, v12
	v_addc_co_u32_e64 v19, s[0:1], v1, v13, s[0:1]
	v_mov_b32_e32 v1, s11
	v_add_co_u32_e64 v22, s[0:1], s10, v12
	v_addc_co_u32_e64 v23, s[0:1], v1, v13, s[0:1]
	global_load_dwordx2 v[12:13], v[22:23], off
	global_load_dwordx2 v[20:21], v[18:19], off
.LBB3_11:
	s_or_b64 exec, exec, s[4:5]
	s_waitcnt vmcnt(0)
	v_mul_f64 v[8:9], v[6:7], v[8:9]
	v_cmp_lt_f64_e64 s[0:1], 0, v[6:7]
	v_cndmask_b32_e64 v19, v9, v7, s[0:1]
	v_cndmask_b32_e64 v18, v8, v6, s[0:1]
	v_mul_f64 v[6:7], v[4:5], v[10:11]
	v_cmp_lt_f64_e64 s[0:1], 0, v[4:5]
	v_cndmask_b32_e64 v9, v7, v5, s[0:1]
	v_cndmask_b32_e64 v8, v6, v4, s[0:1]
	;; [unrolled: 4-line block ×4, first 2 shown]
	s_and_saveexec_b64 s[0:1], vcc
	s_cbranch_execnz .LBB3_17
; %bb.12:
	s_or_b64 exec, exec, s[0:1]
	v_cmp_gt_i32_e32 vcc, s6, v0
	s_and_saveexec_b64 s[0:1], vcc
	s_cbranch_execnz .LBB3_18
.LBB3_13:
	s_or_b64 exec, exec, s[0:1]
	v_cmp_gt_i32_e32 vcc, s6, v0
	s_and_saveexec_b64 s[0:1], vcc
	s_cbranch_execnz .LBB3_19
.LBB3_14:
	s_or_b64 exec, exec, s[0:1]
	v_cmp_gt_i32_e32 vcc, s6, v0
	s_and_saveexec_b64 s[0:1], vcc
	s_cbranch_execz .LBB3_16
.LBB3_15:
	v_add_u32_e32 v0, s2, v0
	v_mov_b32_e32 v1, 0
	v_lshlrev_b64 v[0:1], 3, v[0:1]
	v_mov_b32_e32 v2, s9
	v_add_co_u32_e32 v0, vcc, s8, v0
	v_addc_co_u32_e32 v1, vcc, v2, v1, vcc
	global_store_dwordx2 v[0:1], v[4:5], off
.LBB3_16:
	s_endpgm
.LBB3_17:
	v_mov_b32_e32 v3, 0
	v_lshlrev_b64 v[2:3], 3, v[2:3]
	v_mov_b32_e32 v1, s9
	v_add_co_u32_e32 v2, vcc, s8, v2
	v_or_b32_e32 v0, 0x100, v0
	v_addc_co_u32_e32 v3, vcc, v1, v3, vcc
	global_store_dwordx2 v[2:3], v[18:19], off
	s_or_b64 exec, exec, s[0:1]
	v_cmp_gt_i32_e32 vcc, s6, v0
	s_and_saveexec_b64 s[0:1], vcc
	s_cbranch_execz .LBB3_13
.LBB3_18:
	v_add_u32_e32 v2, s2, v0
	v_mov_b32_e32 v3, 0
	v_lshlrev_b64 v[2:3], 3, v[2:3]
	v_mov_b32_e32 v1, s9
	v_add_co_u32_e32 v2, vcc, s8, v2
	v_addc_co_u32_e32 v3, vcc, v1, v3, vcc
	v_add_u32_e32 v0, 0x100, v0
	global_store_dwordx2 v[2:3], v[8:9], off
	s_or_b64 exec, exec, s[0:1]
	v_cmp_gt_i32_e32 vcc, s6, v0
	s_and_saveexec_b64 s[0:1], vcc
	s_cbranch_execz .LBB3_14
.LBB3_19:
	v_add_u32_e32 v2, s2, v0
	v_mov_b32_e32 v3, 0
	v_lshlrev_b64 v[2:3], 3, v[2:3]
	v_mov_b32_e32 v1, s9
	v_add_co_u32_e32 v2, vcc, s8, v2
	v_addc_co_u32_e32 v3, vcc, v1, v3, vcc
	v_add_u32_e32 v0, 0x100, v0
	global_store_dwordx2 v[2:3], v[6:7], off
	s_or_b64 exec, exec, s[0:1]
	v_cmp_gt_i32_e32 vcc, s6, v0
	s_and_saveexec_b64 s[0:1], vcc
	s_cbranch_execnz .LBB3_15
	s_branch .LBB3_16
	.section	.rodata,"a",@progbits
	.p2align	6, 0x0
	.amdhsa_kernel _ZN2at6native29vectorized_elementwise_kernelILi2EZZZNS0_12prelu_kernelERNS_14TensorIteratorEENKUlvE_clEvENKUlvE_clEvEUlddE_St5arrayIPcLm3EEEEviT0_T1_
		.amdhsa_group_segment_fixed_size 0
		.amdhsa_private_segment_fixed_size 0
		.amdhsa_kernarg_size 32
		.amdhsa_user_sgpr_count 6
		.amdhsa_user_sgpr_private_segment_buffer 1
		.amdhsa_user_sgpr_dispatch_ptr 0
		.amdhsa_user_sgpr_queue_ptr 0
		.amdhsa_user_sgpr_kernarg_segment_ptr 1
		.amdhsa_user_sgpr_dispatch_id 0
		.amdhsa_user_sgpr_flat_scratch_init 0
		.amdhsa_user_sgpr_kernarg_preload_length 0
		.amdhsa_user_sgpr_kernarg_preload_offset 0
		.amdhsa_user_sgpr_private_segment_size 0
		.amdhsa_uses_dynamic_stack 0
		.amdhsa_system_sgpr_private_segment_wavefront_offset 0
		.amdhsa_system_sgpr_workgroup_id_x 1
		.amdhsa_system_sgpr_workgroup_id_y 0
		.amdhsa_system_sgpr_workgroup_id_z 0
		.amdhsa_system_sgpr_workgroup_info 0
		.amdhsa_system_vgpr_workitem_id 0
		.amdhsa_next_free_vgpr 24
		.amdhsa_next_free_sgpr 16
		.amdhsa_accum_offset 24
		.amdhsa_reserve_vcc 1
		.amdhsa_reserve_flat_scratch 0
		.amdhsa_float_round_mode_32 0
		.amdhsa_float_round_mode_16_64 0
		.amdhsa_float_denorm_mode_32 3
		.amdhsa_float_denorm_mode_16_64 3
		.amdhsa_dx10_clamp 1
		.amdhsa_ieee_mode 1
		.amdhsa_fp16_overflow 0
		.amdhsa_tg_split 0
		.amdhsa_exception_fp_ieee_invalid_op 0
		.amdhsa_exception_fp_denorm_src 0
		.amdhsa_exception_fp_ieee_div_zero 0
		.amdhsa_exception_fp_ieee_overflow 0
		.amdhsa_exception_fp_ieee_underflow 0
		.amdhsa_exception_fp_ieee_inexact 0
		.amdhsa_exception_int_div_zero 0
	.end_amdhsa_kernel
	.section	.text._ZN2at6native29vectorized_elementwise_kernelILi2EZZZNS0_12prelu_kernelERNS_14TensorIteratorEENKUlvE_clEvENKUlvE_clEvEUlddE_St5arrayIPcLm3EEEEviT0_T1_,"axG",@progbits,_ZN2at6native29vectorized_elementwise_kernelILi2EZZZNS0_12prelu_kernelERNS_14TensorIteratorEENKUlvE_clEvENKUlvE_clEvEUlddE_St5arrayIPcLm3EEEEviT0_T1_,comdat
.Lfunc_end3:
	.size	_ZN2at6native29vectorized_elementwise_kernelILi2EZZZNS0_12prelu_kernelERNS_14TensorIteratorEENKUlvE_clEvENKUlvE_clEvEUlddE_St5arrayIPcLm3EEEEviT0_T1_, .Lfunc_end3-_ZN2at6native29vectorized_elementwise_kernelILi2EZZZNS0_12prelu_kernelERNS_14TensorIteratorEENKUlvE_clEvENKUlvE_clEvEUlddE_St5arrayIPcLm3EEEEviT0_T1_
                                        ; -- End function
	.section	.AMDGPU.csdata,"",@progbits
; Kernel info:
; codeLenInByte = 1220
; NumSgprs: 20
; NumVgprs: 24
; NumAgprs: 0
; TotalNumVgprs: 24
; ScratchSize: 0
; MemoryBound: 0
; FloatMode: 240
; IeeeMode: 1
; LDSByteSize: 0 bytes/workgroup (compile time only)
; SGPRBlocks: 2
; VGPRBlocks: 2
; NumSGPRsForWavesPerEU: 20
; NumVGPRsForWavesPerEU: 24
; AccumOffset: 24
; Occupancy: 8
; WaveLimiterHint : 1
; COMPUTE_PGM_RSRC2:SCRATCH_EN: 0
; COMPUTE_PGM_RSRC2:USER_SGPR: 6
; COMPUTE_PGM_RSRC2:TRAP_HANDLER: 0
; COMPUTE_PGM_RSRC2:TGID_X_EN: 1
; COMPUTE_PGM_RSRC2:TGID_Y_EN: 0
; COMPUTE_PGM_RSRC2:TGID_Z_EN: 0
; COMPUTE_PGM_RSRC2:TIDIG_COMP_CNT: 0
; COMPUTE_PGM_RSRC3_GFX90A:ACCUM_OFFSET: 5
; COMPUTE_PGM_RSRC3_GFX90A:TG_SPLIT: 0
	.section	.text._ZN2at6native27unrolled_elementwise_kernelIZZZNS0_12prelu_kernelERNS_14TensorIteratorEENKUlvE_clEvENKUlvE_clEvEUlddE_St5arrayIPcLm3EELi4E23TrivialOffsetCalculatorILi2EjESA_ILi1EjENS0_6memory15LoadWithoutCastENSD_16StoreWithoutCastEEEviT_T0_T2_T3_T4_T5_,"axG",@progbits,_ZN2at6native27unrolled_elementwise_kernelIZZZNS0_12prelu_kernelERNS_14TensorIteratorEENKUlvE_clEvENKUlvE_clEvEUlddE_St5arrayIPcLm3EELi4E23TrivialOffsetCalculatorILi2EjESA_ILi1EjENS0_6memory15LoadWithoutCastENSD_16StoreWithoutCastEEEviT_T0_T2_T3_T4_T5_,comdat
	.globl	_ZN2at6native27unrolled_elementwise_kernelIZZZNS0_12prelu_kernelERNS_14TensorIteratorEENKUlvE_clEvENKUlvE_clEvEUlddE_St5arrayIPcLm3EELi4E23TrivialOffsetCalculatorILi2EjESA_ILi1EjENS0_6memory15LoadWithoutCastENSD_16StoreWithoutCastEEEviT_T0_T2_T3_T4_T5_ ; -- Begin function _ZN2at6native27unrolled_elementwise_kernelIZZZNS0_12prelu_kernelERNS_14TensorIteratorEENKUlvE_clEvENKUlvE_clEvEUlddE_St5arrayIPcLm3EELi4E23TrivialOffsetCalculatorILi2EjESA_ILi1EjENS0_6memory15LoadWithoutCastENSD_16StoreWithoutCastEEEviT_T0_T2_T3_T4_T5_
	.p2align	8
	.type	_ZN2at6native27unrolled_elementwise_kernelIZZZNS0_12prelu_kernelERNS_14TensorIteratorEENKUlvE_clEvENKUlvE_clEvEUlddE_St5arrayIPcLm3EELi4E23TrivialOffsetCalculatorILi2EjESA_ILi1EjENS0_6memory15LoadWithoutCastENSD_16StoreWithoutCastEEEviT_T0_T2_T3_T4_T5_,@function
_ZN2at6native27unrolled_elementwise_kernelIZZZNS0_12prelu_kernelERNS_14TensorIteratorEENKUlvE_clEvENKUlvE_clEvEUlddE_St5arrayIPcLm3EELi4E23TrivialOffsetCalculatorILi2EjESA_ILi1EjENS0_6memory15LoadWithoutCastENSD_16StoreWithoutCastEEEviT_T0_T2_T3_T4_T5_: ; @_ZN2at6native27unrolled_elementwise_kernelIZZZNS0_12prelu_kernelERNS_14TensorIteratorEENKUlvE_clEvENKUlvE_clEvEUlddE_St5arrayIPcLm3EELi4E23TrivialOffsetCalculatorILi2EjESA_ILi1EjENS0_6memory15LoadWithoutCastENSD_16StoreWithoutCastEEEviT_T0_T2_T3_T4_T5_
; %bb.0:
	s_load_dword s0, s[4:5], 0x0
	s_load_dwordx4 s[8:11], s[4:5], 0x8
	s_load_dwordx2 s[2:3], s[4:5], 0x18
	s_lshl_b32 s6, s6, 10
	v_pk_mov_b32 v[4:5], 0, 0
	s_waitcnt lgkmcnt(0)
	s_sub_i32 s7, s0, s6
	v_cmp_gt_i32_e32 vcc, s7, v0
	v_or_b32_e32 v2, s6, v0
	v_pk_mov_b32 v[6:7], v[4:5], v[4:5] op_sel:[0,1]
	v_pk_mov_b32 v[8:9], v[4:5], v[4:5] op_sel:[0,1]
	v_mov_b32_e32 v1, v0
	s_and_saveexec_b64 s[4:5], vcc
	s_cbranch_execz .LBB4_2
; %bb.1:
	v_mov_b32_e32 v3, 0
	v_lshlrev_b64 v[6:7], 3, v[2:3]
	v_mov_b32_e32 v1, s11
	v_add_co_u32_e64 v10, s[0:1], s10, v6
	v_addc_co_u32_e64 v11, s[0:1], v1, v7, s[0:1]
	v_mov_b32_e32 v1, s3
	v_add_co_u32_e64 v12, s[0:1], s2, v6
	v_addc_co_u32_e64 v13, s[0:1], v1, v7, s[0:1]
	global_load_dwordx2 v[6:7], v[10:11], off
	global_load_dwordx2 v[8:9], v[12:13], off
	v_or_b32_e32 v1, 0x100, v0
.LBB4_2:
	s_or_b64 exec, exec, s[4:5]
	v_cmp_gt_i32_e64 s[0:1], s7, v1
	v_pk_mov_b32 v[10:11], v[4:5], v[4:5] op_sel:[0,1]
	s_and_saveexec_b64 s[4:5], s[0:1]
	s_cbranch_execz .LBB4_4
; %bb.3:
	v_add_u32_e32 v4, s6, v1
	v_mov_b32_e32 v5, 0
	v_lshlrev_b64 v[4:5], 3, v[4:5]
	v_mov_b32_e32 v3, s11
	v_add_co_u32_e64 v12, s[0:1], s10, v4
	v_addc_co_u32_e64 v13, s[0:1], v3, v5, s[0:1]
	v_mov_b32_e32 v3, s3
	v_add_co_u32_e64 v14, s[0:1], s2, v4
	v_addc_co_u32_e64 v15, s[0:1], v3, v5, s[0:1]
	global_load_dwordx2 v[4:5], v[12:13], off
	global_load_dwordx2 v[10:11], v[14:15], off
	v_add_u32_e32 v1, 0x100, v1
.LBB4_4:
	s_or_b64 exec, exec, s[4:5]
	v_pk_mov_b32 v[12:13], 0, 0
	v_cmp_gt_i32_e64 s[0:1], s7, v1
	v_pk_mov_b32 v[14:15], v[12:13], v[12:13] op_sel:[0,1]
	v_pk_mov_b32 v[16:17], v[12:13], v[12:13] op_sel:[0,1]
	s_and_saveexec_b64 s[4:5], s[0:1]
	s_cbranch_execz .LBB4_6
; %bb.5:
	v_add_u32_e32 v14, s6, v1
	v_mov_b32_e32 v15, 0
	v_lshlrev_b64 v[14:15], 3, v[14:15]
	v_mov_b32_e32 v3, s11
	v_add_co_u32_e64 v18, s[0:1], s10, v14
	v_addc_co_u32_e64 v19, s[0:1], v3, v15, s[0:1]
	v_mov_b32_e32 v3, s3
	v_add_co_u32_e64 v20, s[0:1], s2, v14
	v_addc_co_u32_e64 v21, s[0:1], v3, v15, s[0:1]
	global_load_dwordx2 v[14:15], v[18:19], off
	global_load_dwordx2 v[16:17], v[20:21], off
	v_add_u32_e32 v1, 0x100, v1
.LBB4_6:
	s_or_b64 exec, exec, s[4:5]
	v_cmp_gt_i32_e64 s[0:1], s7, v1
	v_pk_mov_b32 v[20:21], v[12:13], v[12:13] op_sel:[0,1]
	s_and_saveexec_b64 s[4:5], s[0:1]
	s_cbranch_execz .LBB4_8
; %bb.7:
	v_add_u32_e32 v12, s6, v1
	v_mov_b32_e32 v13, 0
	v_lshlrev_b64 v[12:13], 3, v[12:13]
	v_mov_b32_e32 v1, s11
	v_add_co_u32_e64 v18, s[0:1], s10, v12
	v_addc_co_u32_e64 v19, s[0:1], v1, v13, s[0:1]
	v_mov_b32_e32 v1, s3
	v_add_co_u32_e64 v22, s[0:1], s2, v12
	v_addc_co_u32_e64 v23, s[0:1], v1, v13, s[0:1]
	global_load_dwordx2 v[12:13], v[18:19], off
	global_load_dwordx2 v[20:21], v[22:23], off
.LBB4_8:
	s_or_b64 exec, exec, s[4:5]
	s_waitcnt vmcnt(0)
	v_mul_f64 v[8:9], v[6:7], v[8:9]
	v_cmp_lt_f64_e64 s[0:1], 0, v[6:7]
	v_cndmask_b32_e64 v19, v9, v7, s[0:1]
	v_cndmask_b32_e64 v18, v8, v6, s[0:1]
	v_mul_f64 v[6:7], v[4:5], v[10:11]
	v_cmp_lt_f64_e64 s[0:1], 0, v[4:5]
	v_cndmask_b32_e64 v9, v7, v5, s[0:1]
	v_cndmask_b32_e64 v8, v6, v4, s[0:1]
	;; [unrolled: 4-line block ×4, first 2 shown]
	s_and_saveexec_b64 s[0:1], vcc
	s_cbranch_execnz .LBB4_13
; %bb.9:
	s_or_b64 exec, exec, s[0:1]
	v_cmp_gt_i32_e32 vcc, s7, v0
	s_and_saveexec_b64 s[0:1], vcc
	s_cbranch_execnz .LBB4_14
.LBB4_10:
	s_or_b64 exec, exec, s[0:1]
	v_cmp_gt_i32_e32 vcc, s7, v0
	s_and_saveexec_b64 s[0:1], vcc
	s_cbranch_execnz .LBB4_15
.LBB4_11:
	s_or_b64 exec, exec, s[0:1]
	v_cmp_gt_i32_e32 vcc, s7, v0
	s_and_saveexec_b64 s[0:1], vcc
	s_cbranch_execnz .LBB4_16
.LBB4_12:
	s_endpgm
.LBB4_13:
	v_mov_b32_e32 v3, 0
	v_lshlrev_b64 v[2:3], 3, v[2:3]
	v_mov_b32_e32 v1, s9
	v_add_co_u32_e32 v2, vcc, s8, v2
	v_or_b32_e32 v0, 0x100, v0
	v_addc_co_u32_e32 v3, vcc, v1, v3, vcc
	global_store_dwordx2 v[2:3], v[18:19], off
	s_or_b64 exec, exec, s[0:1]
	v_cmp_gt_i32_e32 vcc, s7, v0
	s_and_saveexec_b64 s[0:1], vcc
	s_cbranch_execz .LBB4_10
.LBB4_14:
	v_add_u32_e32 v2, 0x100, v0
	v_add_u32_e32 v0, s6, v0
	v_mov_b32_e32 v1, 0
	v_lshlrev_b64 v[0:1], 3, v[0:1]
	v_mov_b32_e32 v3, s9
	v_add_co_u32_e32 v0, vcc, s8, v0
	v_addc_co_u32_e32 v1, vcc, v3, v1, vcc
	global_store_dwordx2 v[0:1], v[8:9], off
	v_mov_b32_e32 v0, v2
	s_or_b64 exec, exec, s[0:1]
	v_cmp_gt_i32_e32 vcc, s7, v0
	s_and_saveexec_b64 s[0:1], vcc
	s_cbranch_execz .LBB4_11
.LBB4_15:
	v_add_u32_e32 v2, 0x100, v0
	v_add_u32_e32 v0, s6, v0
	v_mov_b32_e32 v1, 0
	v_lshlrev_b64 v[0:1], 3, v[0:1]
	v_mov_b32_e32 v3, s9
	v_add_co_u32_e32 v0, vcc, s8, v0
	v_addc_co_u32_e32 v1, vcc, v3, v1, vcc
	global_store_dwordx2 v[0:1], v[6:7], off
	v_mov_b32_e32 v0, v2
	s_or_b64 exec, exec, s[0:1]
	v_cmp_gt_i32_e32 vcc, s7, v0
	s_and_saveexec_b64 s[0:1], vcc
	s_cbranch_execz .LBB4_12
.LBB4_16:
	v_add_u32_e32 v0, s6, v0
	v_mov_b32_e32 v1, 0
	v_lshlrev_b64 v[0:1], 3, v[0:1]
	v_mov_b32_e32 v2, s9
	v_add_co_u32_e32 v0, vcc, s8, v0
	v_addc_co_u32_e32 v1, vcc, v2, v1, vcc
	global_store_dwordx2 v[0:1], v[4:5], off
	s_endpgm
	.section	.rodata,"a",@progbits
	.p2align	6, 0x0
	.amdhsa_kernel _ZN2at6native27unrolled_elementwise_kernelIZZZNS0_12prelu_kernelERNS_14TensorIteratorEENKUlvE_clEvENKUlvE_clEvEUlddE_St5arrayIPcLm3EELi4E23TrivialOffsetCalculatorILi2EjESA_ILi1EjENS0_6memory15LoadWithoutCastENSD_16StoreWithoutCastEEEviT_T0_T2_T3_T4_T5_
		.amdhsa_group_segment_fixed_size 0
		.amdhsa_private_segment_fixed_size 0
		.amdhsa_kernarg_size 36
		.amdhsa_user_sgpr_count 6
		.amdhsa_user_sgpr_private_segment_buffer 1
		.amdhsa_user_sgpr_dispatch_ptr 0
		.amdhsa_user_sgpr_queue_ptr 0
		.amdhsa_user_sgpr_kernarg_segment_ptr 1
		.amdhsa_user_sgpr_dispatch_id 0
		.amdhsa_user_sgpr_flat_scratch_init 0
		.amdhsa_user_sgpr_kernarg_preload_length 0
		.amdhsa_user_sgpr_kernarg_preload_offset 0
		.amdhsa_user_sgpr_private_segment_size 0
		.amdhsa_uses_dynamic_stack 0
		.amdhsa_system_sgpr_private_segment_wavefront_offset 0
		.amdhsa_system_sgpr_workgroup_id_x 1
		.amdhsa_system_sgpr_workgroup_id_y 0
		.amdhsa_system_sgpr_workgroup_id_z 0
		.amdhsa_system_sgpr_workgroup_info 0
		.amdhsa_system_vgpr_workitem_id 0
		.amdhsa_next_free_vgpr 24
		.amdhsa_next_free_sgpr 12
		.amdhsa_accum_offset 24
		.amdhsa_reserve_vcc 1
		.amdhsa_reserve_flat_scratch 0
		.amdhsa_float_round_mode_32 0
		.amdhsa_float_round_mode_16_64 0
		.amdhsa_float_denorm_mode_32 3
		.amdhsa_float_denorm_mode_16_64 3
		.amdhsa_dx10_clamp 1
		.amdhsa_ieee_mode 1
		.amdhsa_fp16_overflow 0
		.amdhsa_tg_split 0
		.amdhsa_exception_fp_ieee_invalid_op 0
		.amdhsa_exception_fp_denorm_src 0
		.amdhsa_exception_fp_ieee_div_zero 0
		.amdhsa_exception_fp_ieee_overflow 0
		.amdhsa_exception_fp_ieee_underflow 0
		.amdhsa_exception_fp_ieee_inexact 0
		.amdhsa_exception_int_div_zero 0
	.end_amdhsa_kernel
	.section	.text._ZN2at6native27unrolled_elementwise_kernelIZZZNS0_12prelu_kernelERNS_14TensorIteratorEENKUlvE_clEvENKUlvE_clEvEUlddE_St5arrayIPcLm3EELi4E23TrivialOffsetCalculatorILi2EjESA_ILi1EjENS0_6memory15LoadWithoutCastENSD_16StoreWithoutCastEEEviT_T0_T2_T3_T4_T5_,"axG",@progbits,_ZN2at6native27unrolled_elementwise_kernelIZZZNS0_12prelu_kernelERNS_14TensorIteratorEENKUlvE_clEvENKUlvE_clEvEUlddE_St5arrayIPcLm3EELi4E23TrivialOffsetCalculatorILi2EjESA_ILi1EjENS0_6memory15LoadWithoutCastENSD_16StoreWithoutCastEEEviT_T0_T2_T3_T4_T5_,comdat
.Lfunc_end4:
	.size	_ZN2at6native27unrolled_elementwise_kernelIZZZNS0_12prelu_kernelERNS_14TensorIteratorEENKUlvE_clEvENKUlvE_clEvEUlddE_St5arrayIPcLm3EELi4E23TrivialOffsetCalculatorILi2EjESA_ILi1EjENS0_6memory15LoadWithoutCastENSD_16StoreWithoutCastEEEviT_T0_T2_T3_T4_T5_, .Lfunc_end4-_ZN2at6native27unrolled_elementwise_kernelIZZZNS0_12prelu_kernelERNS_14TensorIteratorEENKUlvE_clEvENKUlvE_clEvEUlddE_St5arrayIPcLm3EELi4E23TrivialOffsetCalculatorILi2EjESA_ILi1EjENS0_6memory15LoadWithoutCastENSD_16StoreWithoutCastEEEviT_T0_T2_T3_T4_T5_
                                        ; -- End function
	.section	.AMDGPU.csdata,"",@progbits
; Kernel info:
; codeLenInByte = 908
; NumSgprs: 16
; NumVgprs: 24
; NumAgprs: 0
; TotalNumVgprs: 24
; ScratchSize: 0
; MemoryBound: 0
; FloatMode: 240
; IeeeMode: 1
; LDSByteSize: 0 bytes/workgroup (compile time only)
; SGPRBlocks: 1
; VGPRBlocks: 2
; NumSGPRsForWavesPerEU: 16
; NumVGPRsForWavesPerEU: 24
; AccumOffset: 24
; Occupancy: 8
; WaveLimiterHint : 0
; COMPUTE_PGM_RSRC2:SCRATCH_EN: 0
; COMPUTE_PGM_RSRC2:USER_SGPR: 6
; COMPUTE_PGM_RSRC2:TRAP_HANDLER: 0
; COMPUTE_PGM_RSRC2:TGID_X_EN: 1
; COMPUTE_PGM_RSRC2:TGID_Y_EN: 0
; COMPUTE_PGM_RSRC2:TGID_Z_EN: 0
; COMPUTE_PGM_RSRC2:TIDIG_COMP_CNT: 0
; COMPUTE_PGM_RSRC3_GFX90A:ACCUM_OFFSET: 5
; COMPUTE_PGM_RSRC3_GFX90A:TG_SPLIT: 0
	.section	.text._ZN2at6native32elementwise_kernel_manual_unrollILi128ELi4EZNS0_22gpu_kernel_impl_nocastIZZZNS0_12prelu_kernelERNS_14TensorIteratorEENKUlvE_clEvENKUlvE_clEvEUlddE_EEvRNS_18TensorIteratorBaseERKT_EUlibE_EEviT1_,"axG",@progbits,_ZN2at6native32elementwise_kernel_manual_unrollILi128ELi4EZNS0_22gpu_kernel_impl_nocastIZZZNS0_12prelu_kernelERNS_14TensorIteratorEENKUlvE_clEvENKUlvE_clEvEUlddE_EEvRNS_18TensorIteratorBaseERKT_EUlibE_EEviT1_,comdat
	.globl	_ZN2at6native32elementwise_kernel_manual_unrollILi128ELi4EZNS0_22gpu_kernel_impl_nocastIZZZNS0_12prelu_kernelERNS_14TensorIteratorEENKUlvE_clEvENKUlvE_clEvEUlddE_EEvRNS_18TensorIteratorBaseERKT_EUlibE_EEviT1_ ; -- Begin function _ZN2at6native32elementwise_kernel_manual_unrollILi128ELi4EZNS0_22gpu_kernel_impl_nocastIZZZNS0_12prelu_kernelERNS_14TensorIteratorEENKUlvE_clEvENKUlvE_clEvEUlddE_EEvRNS_18TensorIteratorBaseERKT_EUlibE_EEviT1_
	.p2align	8
	.type	_ZN2at6native32elementwise_kernel_manual_unrollILi128ELi4EZNS0_22gpu_kernel_impl_nocastIZZZNS0_12prelu_kernelERNS_14TensorIteratorEENKUlvE_clEvENKUlvE_clEvEUlddE_EEvRNS_18TensorIteratorBaseERKT_EUlibE_EEviT1_,@function
_ZN2at6native32elementwise_kernel_manual_unrollILi128ELi4EZNS0_22gpu_kernel_impl_nocastIZZZNS0_12prelu_kernelERNS_14TensorIteratorEENKUlvE_clEvENKUlvE_clEvEUlddE_EEvRNS_18TensorIteratorBaseERKT_EUlibE_EEviT1_: ; @_ZN2at6native32elementwise_kernel_manual_unrollILi128ELi4EZNS0_22gpu_kernel_impl_nocastIZZZNS0_12prelu_kernelERNS_14TensorIteratorEENKUlvE_clEvENKUlvE_clEvEUlddE_EEvRNS_18TensorIteratorBaseERKT_EUlibE_EEviT1_
; %bb.0:
	s_load_dword s36, s[4:5], 0x0
	s_load_dword s33, s[4:5], 0x8
	s_or_b32 s4, s4, 8
	v_lshl_or_b32 v12, s6, 9, v0
	v_or_b32_e32 v24, 0x180, v12
	s_waitcnt lgkmcnt(0)
	v_cmp_le_i32_e32 vcc, s36, v24
	s_add_i32 s34, s33, -1
	s_cmp_gt_u32 s34, 1
	s_cselect_b64 s[6:7], -1, 0
	s_and_saveexec_b64 s[0:1], vcc
	s_xor_b64 s[16:17], exec, s[0:1]
	s_cbranch_execz .LBB5_50
; %bb.1:
	s_load_dwordx4 s[12:15], s[4:5], 0x4
	s_load_dwordx2 s[22:23], s[4:5], 0x14
	s_load_dwordx4 s[8:11], s[4:5], 0xc4
	s_load_dwordx2 s[20:21], s[4:5], 0xd4
	s_load_dwordx2 s[18:19], s[4:5], 0x198
	s_load_dwordx4 s[0:3], s[4:5], 0x188
	s_cmp_lg_u32 s33, 0
	s_cselect_b64 s[26:27], -1, 0
	s_min_u32 s35, s34, 15
	s_cmp_gt_u32 s33, 1
	s_cselect_b64 s[24:25], -1, 0
	v_cmp_gt_i32_e32 vcc, s36, v12
	s_and_saveexec_b64 s[28:29], vcc
	s_cbranch_execnz .LBB5_5
; %bb.2:
	s_or_b64 exec, exec, s[28:29]
	v_cmp_gt_i32_e32 vcc, s36, v12
	s_and_saveexec_b64 s[28:29], vcc
	s_cbranch_execnz .LBB5_16
.LBB5_3:
	s_or_b64 exec, exec, s[28:29]
	v_cmp_gt_i32_e32 vcc, s36, v12
	s_and_saveexec_b64 s[28:29], vcc
	s_cbranch_execnz .LBB5_27
.LBB5_4:
	s_or_b64 exec, exec, s[28:29]
	v_cmp_gt_i32_e32 vcc, s36, v12
	s_and_saveexec_b64 s[28:29], vcc
	s_cbranch_execnz .LBB5_38
	s_branch .LBB5_49
.LBB5_5:
	s_andn2_b64 vcc, exec, s[6:7]
	s_cbranch_vccnz .LBB5_12
; %bb.6:
	s_andn2_b64 vcc, exec, s[26:27]
	v_mov_b32_e32 v2, 0
	v_mov_b32_e32 v4, 0
	;; [unrolled: 1-line block ×3, first 2 shown]
	s_cbranch_vccnz .LBB5_11
; %bb.7:
	s_add_i32 s30, s35, 1
	s_and_b32 s37, s30, 30
	s_add_u32 s30, s4, 0xffffffec
	s_addc_u32 s31, s5, -1
	v_mov_b32_e32 v0, 0
	v_mov_b32_e32 v1, v12
	;; [unrolled: 1-line block ×4, first 2 shown]
.LBB5_8:                                ; =>This Inner Loop Header: Depth=1
	s_mov_b64 s[38:39], s[30:31]
	s_load_dwordx4 s[40:43], s[38:39], 0x18
	s_load_dwordx2 s[48:49], s[38:39], 0x28
	s_load_dwordx2 s[50:51], s[38:39], 0xe8
	s_load_dwordx4 s[44:47], s[38:39], 0xd8
	s_add_u32 s30, s38, 24
	s_waitcnt lgkmcnt(0)
	v_mul_hi_u32 v3, s41, v1
	v_add_u32_e32 v3, v1, v3
	v_lshrrev_b32_e32 v3, s42, v3
	v_mul_lo_u32 v5, v3, s40
	v_mul_hi_u32 v6, s48, v3
	v_sub_u32_e32 v1, v1, v5
	v_add_u32_e32 v5, v3, v6
	v_mul_lo_u32 v6, v1, s44
	v_mul_lo_u32 v7, v1, s45
	v_mul_lo_u32 v8, v1, s46
	v_lshrrev_b32_e32 v1, s49, v5
	v_mul_lo_u32 v5, v1, s43
	v_sub_u32_e32 v3, v3, v5
	s_addc_u32 s31, s39, 0
	s_add_i32 s37, s37, -2
	v_mul_lo_u32 v5, v3, s47
	v_mul_lo_u32 v9, v3, s50
	;; [unrolled: 1-line block ×3, first 2 shown]
	s_cmp_lg_u32 s37, 0
	v_add3_u32 v0, v6, v0, v5
	v_add3_u32 v2, v8, v2, v3
	v_add3_u32 v4, v7, v4, v9
	s_cbranch_scc1 .LBB5_8
; %bb.9:
	s_bitcmp1_b32 s35, 0
	s_cselect_b64 s[38:39], -1, 0
	s_and_b64 vcc, exec, s[38:39]
	s_cbranch_vccnz .LBB5_11
; %bb.10:
	s_load_dwordx2 s[38:39], s[30:31], 0x18
	s_load_dword s37, s[30:31], 0x20
	s_load_dword s42, s[30:31], 0xe0
	s_load_dwordx2 s[40:41], s[30:31], 0xd8
	s_waitcnt lgkmcnt(0)
	v_mul_hi_u32 v3, s39, v1
	v_add_u32_e32 v3, v1, v3
	v_lshrrev_b32_e32 v3, s37, v3
	v_mul_lo_u32 v3, v3, s38
	v_sub_u32_e32 v3, v1, v3
	v_mad_u64_u32 v[0:1], s[30:31], v3, s40, v[0:1]
	v_mad_u64_u32 v[4:5], s[30:31], v3, s41, v[4:5]
	;; [unrolled: 1-line block ×3, first 2 shown]
.LBB5_11:
	s_cbranch_execz .LBB5_13
	s_branch .LBB5_15
.LBB5_12:
                                        ; implicit-def: $vgpr2
                                        ; implicit-def: $vgpr4
                                        ; implicit-def: $vgpr0
.LBB5_13:
	s_waitcnt lgkmcnt(0)
	v_mul_hi_u32 v0, s13, v12
	v_add_u32_e32 v0, v12, v0
	v_lshrrev_b32_e32 v1, s14, v0
	v_mul_lo_u32 v0, v1, s12
	v_sub_u32_e32 v3, v12, v0
	v_mul_lo_u32 v0, v3, s8
	v_mul_lo_u32 v2, v3, s10
	s_andn2_b64 vcc, exec, s[24:25]
	v_mul_lo_u32 v4, v3, s9
	s_cbranch_vccnz .LBB5_15
; %bb.14:
	v_mul_hi_u32 v3, s22, v1
	v_add_u32_e32 v3, v1, v3
	v_lshrrev_b32_e32 v3, s23, v3
	v_mul_lo_u32 v3, v3, s15
	v_sub_u32_e32 v3, v1, v3
	v_mad_u64_u32 v[0:1], s[30:31], v3, s11, v[0:1]
	v_mad_u64_u32 v[4:5], s[30:31], v3, s20, v[4:5]
	;; [unrolled: 1-line block ×3, first 2 shown]
.LBB5_15:
	s_waitcnt lgkmcnt(0)
	global_load_dwordx2 v[6:7], v4, s[2:3]
	global_load_dwordx2 v[8:9], v2, s[18:19]
	v_add_u32_e32 v12, 0x80, v12
	s_waitcnt vmcnt(1)
	v_cmp_lt_f64_e32 vcc, 0, v[6:7]
	s_waitcnt vmcnt(0)
	v_mul_f64 v[2:3], v[6:7], v[8:9]
	v_cndmask_b32_e32 v3, v3, v7, vcc
	v_cndmask_b32_e32 v2, v2, v6, vcc
	global_store_dwordx2 v0, v[2:3], s[0:1]
	s_or_b64 exec, exec, s[28:29]
	v_cmp_gt_i32_e32 vcc, s36, v12
	s_and_saveexec_b64 s[28:29], vcc
	s_cbranch_execz .LBB5_3
.LBB5_16:
	s_andn2_b64 vcc, exec, s[6:7]
	s_cbranch_vccnz .LBB5_23
; %bb.17:
	s_andn2_b64 vcc, exec, s[26:27]
	v_mov_b32_e32 v2, 0
	v_mov_b32_e32 v4, 0
	;; [unrolled: 1-line block ×3, first 2 shown]
	s_cbranch_vccnz .LBB5_22
; %bb.18:
	s_add_i32 s30, s35, 1
	s_and_b32 s37, s30, 30
	s_add_u32 s30, s4, 0xffffffec
	s_addc_u32 s31, s5, -1
	v_mov_b32_e32 v0, 0
	v_mov_b32_e32 v1, v12
	;; [unrolled: 1-line block ×4, first 2 shown]
.LBB5_19:                               ; =>This Inner Loop Header: Depth=1
	s_mov_b64 s[38:39], s[30:31]
	s_load_dwordx4 s[40:43], s[38:39], 0x18
	s_load_dwordx2 s[48:49], s[38:39], 0x28
	s_load_dwordx2 s[50:51], s[38:39], 0xe8
	s_load_dwordx4 s[44:47], s[38:39], 0xd8
	s_add_u32 s30, s38, 24
	s_waitcnt lgkmcnt(0)
	v_mul_hi_u32 v3, s41, v1
	v_add_u32_e32 v3, v1, v3
	v_lshrrev_b32_e32 v3, s42, v3
	v_mul_lo_u32 v5, v3, s40
	v_mul_hi_u32 v6, s48, v3
	v_sub_u32_e32 v1, v1, v5
	v_add_u32_e32 v5, v3, v6
	v_mul_lo_u32 v6, v1, s44
	v_mul_lo_u32 v7, v1, s45
	;; [unrolled: 1-line block ×3, first 2 shown]
	v_lshrrev_b32_e32 v1, s49, v5
	v_mul_lo_u32 v5, v1, s43
	v_sub_u32_e32 v3, v3, v5
	s_addc_u32 s31, s39, 0
	s_add_i32 s37, s37, -2
	v_mul_lo_u32 v5, v3, s47
	v_mul_lo_u32 v9, v3, s50
	;; [unrolled: 1-line block ×3, first 2 shown]
	s_cmp_eq_u32 s37, 0
	v_add3_u32 v0, v6, v0, v5
	v_add3_u32 v2, v8, v2, v3
	;; [unrolled: 1-line block ×3, first 2 shown]
	s_cbranch_scc0 .LBB5_19
; %bb.20:
	s_bitcmp1_b32 s35, 0
	s_cselect_b64 s[38:39], -1, 0
	s_and_b64 vcc, exec, s[38:39]
	s_cbranch_vccnz .LBB5_22
; %bb.21:
	s_load_dwordx2 s[38:39], s[30:31], 0x18
	s_load_dword s37, s[30:31], 0x20
	s_load_dword s42, s[30:31], 0xe0
	s_load_dwordx2 s[40:41], s[30:31], 0xd8
	s_waitcnt lgkmcnt(0)
	v_mul_hi_u32 v3, s39, v1
	v_add_u32_e32 v3, v1, v3
	v_lshrrev_b32_e32 v3, s37, v3
	v_mul_lo_u32 v3, v3, s38
	v_sub_u32_e32 v3, v1, v3
	v_mad_u64_u32 v[0:1], s[30:31], v3, s40, v[0:1]
	v_mad_u64_u32 v[4:5], s[30:31], v3, s41, v[4:5]
	;; [unrolled: 1-line block ×3, first 2 shown]
.LBB5_22:
	s_cbranch_execz .LBB5_24
	s_branch .LBB5_26
.LBB5_23:
                                        ; implicit-def: $vgpr2
                                        ; implicit-def: $vgpr4
                                        ; implicit-def: $vgpr0
.LBB5_24:
	s_waitcnt lgkmcnt(0)
	v_mul_hi_u32 v0, s13, v12
	v_add_u32_e32 v0, v12, v0
	v_lshrrev_b32_e32 v1, s14, v0
	v_mul_lo_u32 v0, v1, s12
	v_sub_u32_e32 v3, v12, v0
	v_mul_lo_u32 v0, v3, s8
	v_mul_lo_u32 v2, v3, s10
	s_andn2_b64 vcc, exec, s[24:25]
	v_mul_lo_u32 v4, v3, s9
	s_cbranch_vccnz .LBB5_26
; %bb.25:
	v_mul_hi_u32 v3, s22, v1
	v_add_u32_e32 v3, v1, v3
	v_lshrrev_b32_e32 v3, s23, v3
	v_mul_lo_u32 v3, v3, s15
	v_sub_u32_e32 v3, v1, v3
	v_mad_u64_u32 v[0:1], s[30:31], v3, s11, v[0:1]
	v_mad_u64_u32 v[4:5], s[30:31], v3, s20, v[4:5]
	;; [unrolled: 1-line block ×3, first 2 shown]
.LBB5_26:
	s_waitcnt lgkmcnt(0)
	global_load_dwordx2 v[6:7], v4, s[2:3]
	global_load_dwordx2 v[8:9], v2, s[18:19]
	v_add_u32_e32 v12, 0x80, v12
	s_waitcnt vmcnt(1)
	v_cmp_lt_f64_e32 vcc, 0, v[6:7]
	s_waitcnt vmcnt(0)
	v_mul_f64 v[2:3], v[6:7], v[8:9]
	v_cndmask_b32_e32 v3, v3, v7, vcc
	v_cndmask_b32_e32 v2, v2, v6, vcc
	global_store_dwordx2 v0, v[2:3], s[0:1]
	s_or_b64 exec, exec, s[28:29]
	v_cmp_gt_i32_e32 vcc, s36, v12
	s_and_saveexec_b64 s[28:29], vcc
	s_cbranch_execz .LBB5_4
.LBB5_27:
	s_andn2_b64 vcc, exec, s[6:7]
	s_cbranch_vccnz .LBB5_34
; %bb.28:
	s_andn2_b64 vcc, exec, s[26:27]
	v_mov_b32_e32 v2, 0
	v_mov_b32_e32 v4, 0
	;; [unrolled: 1-line block ×3, first 2 shown]
	s_cbranch_vccnz .LBB5_33
; %bb.29:
	s_add_i32 s30, s35, 1
	s_and_b32 s37, s30, 30
	s_add_u32 s30, s4, 0xffffffec
	s_addc_u32 s31, s5, -1
	v_mov_b32_e32 v0, 0
	v_mov_b32_e32 v1, v12
	;; [unrolled: 1-line block ×4, first 2 shown]
.LBB5_30:                               ; =>This Inner Loop Header: Depth=1
	s_mov_b64 s[38:39], s[30:31]
	s_load_dwordx4 s[40:43], s[38:39], 0x18
	s_load_dwordx2 s[48:49], s[38:39], 0x28
	s_load_dwordx2 s[50:51], s[38:39], 0xe8
	s_load_dwordx4 s[44:47], s[38:39], 0xd8
	s_add_u32 s30, s38, 24
	s_waitcnt lgkmcnt(0)
	v_mul_hi_u32 v3, s41, v1
	v_add_u32_e32 v3, v1, v3
	v_lshrrev_b32_e32 v3, s42, v3
	v_mul_lo_u32 v5, v3, s40
	v_mul_hi_u32 v6, s48, v3
	v_sub_u32_e32 v1, v1, v5
	v_add_u32_e32 v5, v3, v6
	v_mul_lo_u32 v6, v1, s44
	v_mul_lo_u32 v7, v1, s45
	;; [unrolled: 1-line block ×3, first 2 shown]
	v_lshrrev_b32_e32 v1, s49, v5
	v_mul_lo_u32 v5, v1, s43
	v_sub_u32_e32 v3, v3, v5
	s_addc_u32 s31, s39, 0
	s_add_i32 s37, s37, -2
	v_mul_lo_u32 v5, v3, s47
	v_mul_lo_u32 v9, v3, s50
	;; [unrolled: 1-line block ×3, first 2 shown]
	s_cmp_eq_u32 s37, 0
	v_add3_u32 v0, v6, v0, v5
	v_add3_u32 v2, v8, v2, v3
	;; [unrolled: 1-line block ×3, first 2 shown]
	s_cbranch_scc0 .LBB5_30
; %bb.31:
	s_bitcmp1_b32 s35, 0
	s_cselect_b64 s[38:39], -1, 0
	s_and_b64 vcc, exec, s[38:39]
	s_cbranch_vccnz .LBB5_33
; %bb.32:
	s_load_dwordx2 s[38:39], s[30:31], 0x18
	s_load_dword s37, s[30:31], 0x20
	s_load_dword s42, s[30:31], 0xe0
	s_load_dwordx2 s[40:41], s[30:31], 0xd8
	s_waitcnt lgkmcnt(0)
	v_mul_hi_u32 v3, s39, v1
	v_add_u32_e32 v3, v1, v3
	v_lshrrev_b32_e32 v3, s37, v3
	v_mul_lo_u32 v3, v3, s38
	v_sub_u32_e32 v3, v1, v3
	v_mad_u64_u32 v[0:1], s[30:31], v3, s40, v[0:1]
	v_mad_u64_u32 v[4:5], s[30:31], v3, s41, v[4:5]
	;; [unrolled: 1-line block ×3, first 2 shown]
.LBB5_33:
	s_cbranch_execz .LBB5_35
	s_branch .LBB5_37
.LBB5_34:
                                        ; implicit-def: $vgpr2
                                        ; implicit-def: $vgpr4
                                        ; implicit-def: $vgpr0
.LBB5_35:
	s_waitcnt lgkmcnt(0)
	v_mul_hi_u32 v0, s13, v12
	v_add_u32_e32 v0, v12, v0
	v_lshrrev_b32_e32 v1, s14, v0
	v_mul_lo_u32 v0, v1, s12
	v_sub_u32_e32 v3, v12, v0
	v_mul_lo_u32 v0, v3, s8
	v_mul_lo_u32 v2, v3, s10
	s_andn2_b64 vcc, exec, s[24:25]
	v_mul_lo_u32 v4, v3, s9
	s_cbranch_vccnz .LBB5_37
; %bb.36:
	v_mul_hi_u32 v3, s22, v1
	v_add_u32_e32 v3, v1, v3
	v_lshrrev_b32_e32 v3, s23, v3
	v_mul_lo_u32 v3, v3, s15
	v_sub_u32_e32 v3, v1, v3
	v_mad_u64_u32 v[0:1], s[30:31], v3, s11, v[0:1]
	v_mad_u64_u32 v[4:5], s[30:31], v3, s20, v[4:5]
	;; [unrolled: 1-line block ×3, first 2 shown]
.LBB5_37:
	s_waitcnt lgkmcnt(0)
	global_load_dwordx2 v[6:7], v4, s[2:3]
	global_load_dwordx2 v[8:9], v2, s[18:19]
	v_add_u32_e32 v12, 0x80, v12
	s_waitcnt vmcnt(1)
	v_cmp_lt_f64_e32 vcc, 0, v[6:7]
	s_waitcnt vmcnt(0)
	v_mul_f64 v[2:3], v[6:7], v[8:9]
	v_cndmask_b32_e32 v3, v3, v7, vcc
	v_cndmask_b32_e32 v2, v2, v6, vcc
	global_store_dwordx2 v0, v[2:3], s[0:1]
	s_or_b64 exec, exec, s[28:29]
	v_cmp_gt_i32_e32 vcc, s36, v12
	s_and_saveexec_b64 s[28:29], vcc
	s_cbranch_execz .LBB5_49
.LBB5_38:
	s_andn2_b64 vcc, exec, s[6:7]
	s_cbranch_vccnz .LBB5_45
; %bb.39:
	s_andn2_b64 vcc, exec, s[26:27]
	v_mov_b32_e32 v2, 0
	v_mov_b32_e32 v4, 0
	;; [unrolled: 1-line block ×3, first 2 shown]
	s_cbranch_vccnz .LBB5_44
; %bb.40:
	s_add_i32 s26, s35, 1
	s_and_b32 s30, s26, 30
	s_add_u32 s26, s4, 0xffffffec
	s_addc_u32 s27, s5, -1
	v_mov_b32_e32 v0, 0
	v_mov_b32_e32 v1, v12
	;; [unrolled: 1-line block ×4, first 2 shown]
.LBB5_41:                               ; =>This Inner Loop Header: Depth=1
	s_mov_b64 s[44:45], s[26:27]
	s_load_dwordx4 s[36:39], s[44:45], 0x18
	s_load_dwordx2 s[46:47], s[44:45], 0x28
	s_load_dwordx2 s[48:49], s[44:45], 0xe8
	s_load_dwordx4 s[40:43], s[44:45], 0xd8
	s_add_u32 s26, s44, 24
	s_waitcnt lgkmcnt(0)
	v_mul_hi_u32 v3, s37, v1
	v_add_u32_e32 v3, v1, v3
	v_lshrrev_b32_e32 v3, s38, v3
	v_mul_lo_u32 v5, v3, s36
	v_mul_hi_u32 v6, s46, v3
	v_sub_u32_e32 v1, v1, v5
	v_add_u32_e32 v5, v3, v6
	v_mul_lo_u32 v6, v1, s40
	v_mul_lo_u32 v7, v1, s41
	;; [unrolled: 1-line block ×3, first 2 shown]
	v_lshrrev_b32_e32 v1, s47, v5
	v_mul_lo_u32 v5, v1, s39
	v_sub_u32_e32 v3, v3, v5
	s_addc_u32 s27, s45, 0
	s_add_i32 s30, s30, -2
	v_mul_lo_u32 v5, v3, s43
	v_mul_lo_u32 v9, v3, s48
	v_mul_lo_u32 v3, v3, s49
	s_cmp_eq_u32 s30, 0
	v_add3_u32 v0, v6, v0, v5
	v_add3_u32 v2, v8, v2, v3
	v_add3_u32 v4, v7, v4, v9
	s_cbranch_scc0 .LBB5_41
; %bb.42:
	s_bitcmp1_b32 s35, 0
	s_cselect_b64 s[30:31], -1, 0
	s_and_b64 vcc, exec, s[30:31]
	s_cbranch_vccnz .LBB5_44
; %bb.43:
	s_load_dwordx2 s[30:31], s[26:27], 0x18
	s_load_dword s35, s[26:27], 0x20
	s_load_dword s38, s[26:27], 0xe0
	s_load_dwordx2 s[36:37], s[26:27], 0xd8
	s_waitcnt lgkmcnt(0)
	v_mul_hi_u32 v3, s31, v1
	v_add_u32_e32 v3, v1, v3
	v_lshrrev_b32_e32 v3, s35, v3
	v_mul_lo_u32 v3, v3, s30
	v_sub_u32_e32 v3, v1, v3
	v_mad_u64_u32 v[0:1], s[26:27], v3, s36, v[0:1]
	v_mad_u64_u32 v[4:5], s[26:27], v3, s37, v[4:5]
	v_mad_u64_u32 v[2:3], s[26:27], v3, s38, v[2:3]
.LBB5_44:
	s_cbranch_execz .LBB5_46
	s_branch .LBB5_48
.LBB5_45:
                                        ; implicit-def: $vgpr2
                                        ; implicit-def: $vgpr4
                                        ; implicit-def: $vgpr0
.LBB5_46:
	s_waitcnt lgkmcnt(0)
	v_mul_hi_u32 v0, s13, v12
	v_add_u32_e32 v0, v12, v0
	v_lshrrev_b32_e32 v1, s14, v0
	v_mul_lo_u32 v0, v1, s12
	v_sub_u32_e32 v3, v12, v0
	v_mul_lo_u32 v0, v3, s8
	v_mul_lo_u32 v2, v3, s10
	s_andn2_b64 vcc, exec, s[24:25]
	v_mul_lo_u32 v4, v3, s9
	s_cbranch_vccnz .LBB5_48
; %bb.47:
	v_mul_hi_u32 v3, s22, v1
	v_add_u32_e32 v3, v1, v3
	v_lshrrev_b32_e32 v3, s23, v3
	v_mul_lo_u32 v3, v3, s15
	v_sub_u32_e32 v3, v1, v3
	v_mad_u64_u32 v[0:1], s[8:9], v3, s11, v[0:1]
	v_mad_u64_u32 v[4:5], s[8:9], v3, s20, v[4:5]
	;; [unrolled: 1-line block ×3, first 2 shown]
.LBB5_48:
	s_waitcnt lgkmcnt(0)
	global_load_dwordx2 v[6:7], v4, s[2:3]
	global_load_dwordx2 v[8:9], v2, s[18:19]
	s_waitcnt vmcnt(1)
	v_cmp_lt_f64_e32 vcc, 0, v[6:7]
	s_waitcnt vmcnt(0)
	v_mul_f64 v[2:3], v[6:7], v[8:9]
	v_cndmask_b32_e32 v3, v3, v7, vcc
	v_cndmask_b32_e32 v2, v2, v6, vcc
	global_store_dwordx2 v0, v[2:3], s[0:1]
.LBB5_49:
	s_or_b64 exec, exec, s[28:29]
                                        ; implicit-def: $vgpr24
                                        ; implicit-def: $vgpr12
.LBB5_50:
	s_waitcnt lgkmcnt(0)
	s_andn2_saveexec_b64 s[0:1], s[16:17]
	s_cbranch_execz .LBB5_57
; %bb.51:
	v_cndmask_b32_e64 v0, 0, 1, s[6:7]
	v_cmp_ne_u32_e64 s[0:1], 1, v0
	s_andn2_b64 vcc, exec, s[6:7]
	s_cbranch_vccnz .LBB5_58
; %bb.52:
	s_cmp_lg_u32 s33, 0
	v_mov_b32_e32 v4, 0
	v_mov_b32_e32 v2, 0
	;; [unrolled: 1-line block ×3, first 2 shown]
	s_cbranch_scc0 .LBB5_59
; %bb.53:
	s_min_u32 s6, s34, 15
	s_add_i32 s2, s6, 1
	s_and_b32 s7, s2, 30
	s_add_u32 s2, s4, 0xffffffec
	s_addc_u32 s3, s5, -1
	v_mov_b32_e32 v0, 0
	v_mov_b32_e32 v1, v12
	;; [unrolled: 1-line block ×4, first 2 shown]
.LBB5_54:                               ; =>This Inner Loop Header: Depth=1
	s_mov_b64 s[16:17], s[2:3]
	s_load_dwordx4 s[8:11], s[16:17], 0x18
	s_load_dwordx2 s[18:19], s[16:17], 0x28
	s_load_dwordx2 s[20:21], s[16:17], 0xe8
	s_load_dwordx4 s[12:15], s[16:17], 0xd8
	s_add_u32 s2, s16, 24
	s_waitcnt lgkmcnt(0)
	v_mul_hi_u32 v3, s9, v1
	v_add_u32_e32 v3, v1, v3
	v_lshrrev_b32_e32 v3, s10, v3
	v_mul_lo_u32 v5, v3, s8
	v_mul_hi_u32 v6, s18, v3
	v_sub_u32_e32 v1, v1, v5
	v_add_u32_e32 v5, v3, v6
	v_mul_lo_u32 v6, v1, s12
	v_mul_lo_u32 v7, v1, s13
	;; [unrolled: 1-line block ×3, first 2 shown]
	v_lshrrev_b32_e32 v1, s19, v5
	v_mul_lo_u32 v5, v1, s11
	v_sub_u32_e32 v3, v3, v5
	s_addc_u32 s3, s17, 0
	s_add_i32 s7, s7, -2
	v_mul_lo_u32 v5, v3, s15
	v_mul_lo_u32 v9, v3, s20
	;; [unrolled: 1-line block ×3, first 2 shown]
	s_cmp_lg_u32 s7, 0
	v_add3_u32 v0, v6, v0, v5
	v_add3_u32 v4, v8, v4, v3
	;; [unrolled: 1-line block ×3, first 2 shown]
	s_cbranch_scc1 .LBB5_54
; %bb.55:
	s_bitcmp1_b32 s6, 0
	s_cselect_b64 s[6:7], -1, 0
	s_and_b64 vcc, exec, s[6:7]
	s_cbranch_vccnz .LBB5_59
; %bb.56:
	s_load_dwordx2 s[6:7], s[2:3], 0x18
	s_load_dword s10, s[2:3], 0x20
	s_load_dword s11, s[2:3], 0xe0
	s_load_dwordx2 s[8:9], s[2:3], 0xd8
	s_waitcnt lgkmcnt(0)
	v_mul_hi_u32 v3, s7, v1
	v_add_u32_e32 v3, v1, v3
	v_lshrrev_b32_e32 v3, s10, v3
	v_mul_lo_u32 v3, v3, s6
	v_sub_u32_e32 v5, v1, v3
	v_mad_u64_u32 v[0:1], s[2:3], v5, s8, v[0:1]
	v_mad_u64_u32 v[2:3], s[2:3], v5, s9, v[2:3]
	;; [unrolled: 1-line block ×3, first 2 shown]
	s_cbranch_execz .LBB5_60
	s_branch .LBB5_62
.LBB5_57:
	s_endpgm
.LBB5_58:
                                        ; implicit-def: $vgpr4
                                        ; implicit-def: $vgpr2
                                        ; implicit-def: $vgpr0
	s_branch .LBB5_60
.LBB5_59:
	s_cbranch_execnz .LBB5_62
.LBB5_60:
	s_load_dwordx4 s[8:11], s[4:5], 0x4
	s_load_dwordx4 s[12:15], s[4:5], 0xc4
	s_cmp_lt_u32 s33, 2
	s_waitcnt lgkmcnt(0)
	v_mul_hi_u32 v0, s9, v12
	v_add_u32_e32 v0, v12, v0
	v_lshrrev_b32_e32 v1, s10, v0
	v_mul_lo_u32 v0, v1, s8
	v_sub_u32_e32 v2, v12, v0
	v_mul_lo_u32 v0, v2, s12
	v_mul_lo_u32 v4, v2, s14
	;; [unrolled: 1-line block ×3, first 2 shown]
	s_cbranch_scc1 .LBB5_62
; %bb.61:
	s_load_dwordx4 s[8:11], s[4:5], 0x10
	s_load_dwordx4 s[12:15], s[4:5], 0xd0
	s_waitcnt lgkmcnt(0)
	v_mul_hi_u32 v3, s9, v1
	v_add_u32_e32 v3, v1, v3
	v_lshrrev_b32_e32 v3, s10, v3
	v_mul_lo_u32 v3, v3, s8
	v_sub_u32_e32 v5, v1, v3
	v_mad_u64_u32 v[0:1], s[2:3], v5, s12, v[0:1]
	v_mad_u64_u32 v[2:3], s[2:3], v5, s13, v[2:3]
	;; [unrolled: 1-line block ×3, first 2 shown]
.LBB5_62:
	s_and_b64 vcc, exec, s[0:1]
	v_add_u32_e32 v1, 0x80, v12
	s_cbranch_vccnz .LBB5_68
; %bb.63:
	s_cmp_lg_u32 s33, 0
	v_mov_b32_e32 v8, 0
	v_mov_b32_e32 v10, 0
	;; [unrolled: 1-line block ×3, first 2 shown]
	s_cbranch_scc0 .LBB5_69
; %bb.64:
	s_min_u32 s6, s34, 15
	s_add_i32 s2, s6, 1
	s_and_b32 s7, s2, 30
	s_add_u32 s2, s4, 0xffffffec
	s_addc_u32 s3, s5, -1
	v_mov_b32_e32 v6, 0
	v_mov_b32_e32 v3, v1
	;; [unrolled: 1-line block ×4, first 2 shown]
.LBB5_65:                               ; =>This Inner Loop Header: Depth=1
	s_mov_b64 s[16:17], s[2:3]
	s_load_dwordx4 s[8:11], s[16:17], 0x18
	s_load_dwordx2 s[18:19], s[16:17], 0x28
	s_load_dwordx2 s[20:21], s[16:17], 0xe8
	s_load_dwordx4 s[12:15], s[16:17], 0xd8
	s_add_u32 s2, s16, 24
	s_waitcnt lgkmcnt(0)
	v_mul_hi_u32 v5, s9, v3
	v_add_u32_e32 v5, v3, v5
	v_lshrrev_b32_e32 v5, s10, v5
	v_mul_lo_u32 v7, v5, s8
	v_mul_hi_u32 v9, s18, v5
	v_sub_u32_e32 v3, v3, v7
	v_add_u32_e32 v7, v5, v9
	v_mul_lo_u32 v9, v3, s12
	v_mul_lo_u32 v11, v3, s13
	;; [unrolled: 1-line block ×3, first 2 shown]
	v_lshrrev_b32_e32 v3, s19, v7
	v_mul_lo_u32 v7, v3, s11
	v_sub_u32_e32 v5, v5, v7
	s_addc_u32 s3, s17, 0
	s_add_i32 s7, s7, -2
	v_mul_lo_u32 v7, v5, s15
	v_mul_lo_u32 v14, v5, s20
	;; [unrolled: 1-line block ×3, first 2 shown]
	s_cmp_lg_u32 s7, 0
	v_add3_u32 v6, v9, v6, v7
	v_add3_u32 v8, v13, v8, v5
	;; [unrolled: 1-line block ×3, first 2 shown]
	s_cbranch_scc1 .LBB5_65
; %bb.66:
	s_bitcmp1_b32 s6, 0
	s_cselect_b64 s[6:7], -1, 0
	s_and_b64 vcc, exec, s[6:7]
	s_cbranch_vccnz .LBB5_69
; %bb.67:
	s_load_dwordx2 s[6:7], s[2:3], 0x18
	s_load_dword s10, s[2:3], 0x20
	s_load_dword s11, s[2:3], 0xe0
	s_load_dwordx2 s[8:9], s[2:3], 0xd8
	s_waitcnt lgkmcnt(0)
	v_mul_hi_u32 v5, s7, v3
	v_add_u32_e32 v5, v3, v5
	v_lshrrev_b32_e32 v5, s10, v5
	v_mul_lo_u32 v5, v5, s6
	v_sub_u32_e32 v3, v3, v5
	v_mad_u64_u32 v[6:7], s[2:3], v3, s8, v[6:7]
	v_mad_u64_u32 v[10:11], s[2:3], v3, s9, v[10:11]
	;; [unrolled: 1-line block ×3, first 2 shown]
	s_cbranch_execz .LBB5_70
	s_branch .LBB5_72
.LBB5_68:
                                        ; implicit-def: $vgpr8
                                        ; implicit-def: $vgpr10
                                        ; implicit-def: $vgpr6
	s_branch .LBB5_70
.LBB5_69:
	s_cbranch_execnz .LBB5_72
.LBB5_70:
	s_load_dwordx4 s[8:11], s[4:5], 0x4
	s_load_dwordx4 s[12:15], s[4:5], 0xc4
	s_cmp_lt_u32 s33, 2
	s_waitcnt lgkmcnt(0)
	v_mul_hi_u32 v3, s9, v1
	v_add_u32_e32 v3, v1, v3
	v_lshrrev_b32_e32 v3, s10, v3
	v_mul_lo_u32 v5, v3, s8
	v_sub_u32_e32 v1, v1, v5
	v_mul_lo_u32 v6, v1, s12
	v_mul_lo_u32 v8, v1, s14
	;; [unrolled: 1-line block ×3, first 2 shown]
	s_cbranch_scc1 .LBB5_72
; %bb.71:
	s_load_dwordx4 s[8:11], s[4:5], 0x10
	s_load_dwordx4 s[12:15], s[4:5], 0xd0
	s_waitcnt lgkmcnt(0)
	v_mul_hi_u32 v1, s9, v3
	v_add_u32_e32 v1, v3, v1
	v_lshrrev_b32_e32 v1, s10, v1
	v_mul_lo_u32 v1, v1, s8
	v_sub_u32_e32 v1, v3, v1
	v_mad_u64_u32 v[6:7], s[2:3], v1, s12, v[6:7]
	v_mad_u64_u32 v[10:11], s[2:3], v1, s13, v[10:11]
	;; [unrolled: 1-line block ×3, first 2 shown]
.LBB5_72:
	s_and_b64 vcc, exec, s[0:1]
	v_add_u32_e32 v1, 0x100, v12
	s_cbranch_vccnz .LBB5_78
; %bb.73:
	s_cmp_lg_u32 s33, 0
	v_mov_b32_e32 v14, 0
	v_mov_b32_e32 v16, 0
	;; [unrolled: 1-line block ×3, first 2 shown]
	s_cbranch_scc0 .LBB5_79
; %bb.74:
	s_min_u32 s6, s34, 15
	s_add_i32 s2, s6, 1
	s_and_b32 s7, s2, 30
	s_add_u32 s2, s4, 0xffffffec
	s_addc_u32 s3, s5, -1
	v_mov_b32_e32 v12, 0
	v_mov_b32_e32 v3, v1
	;; [unrolled: 1-line block ×4, first 2 shown]
.LBB5_75:                               ; =>This Inner Loop Header: Depth=1
	s_mov_b64 s[16:17], s[2:3]
	s_load_dwordx4 s[8:11], s[16:17], 0x18
	s_load_dwordx2 s[18:19], s[16:17], 0x28
	s_load_dwordx2 s[20:21], s[16:17], 0xe8
	s_load_dwordx4 s[12:15], s[16:17], 0xd8
	s_add_u32 s2, s16, 24
	s_waitcnt lgkmcnt(0)
	v_mul_hi_u32 v5, s9, v3
	v_add_u32_e32 v5, v3, v5
	v_lshrrev_b32_e32 v5, s10, v5
	v_mul_lo_u32 v7, v5, s8
	v_mul_hi_u32 v9, s18, v5
	v_sub_u32_e32 v3, v3, v7
	v_add_u32_e32 v7, v5, v9
	v_mul_lo_u32 v9, v3, s12
	v_mul_lo_u32 v11, v3, s13
	;; [unrolled: 1-line block ×3, first 2 shown]
	v_lshrrev_b32_e32 v3, s19, v7
	v_mul_lo_u32 v7, v3, s11
	v_sub_u32_e32 v5, v5, v7
	s_addc_u32 s3, s17, 0
	s_add_i32 s7, s7, -2
	v_mul_lo_u32 v7, v5, s15
	v_mul_lo_u32 v15, v5, s20
	;; [unrolled: 1-line block ×3, first 2 shown]
	s_cmp_lg_u32 s7, 0
	v_add3_u32 v12, v9, v12, v7
	v_add3_u32 v14, v13, v14, v5
	;; [unrolled: 1-line block ×3, first 2 shown]
	s_cbranch_scc1 .LBB5_75
; %bb.76:
	s_bitcmp1_b32 s6, 0
	s_cselect_b64 s[6:7], -1, 0
	s_and_b64 vcc, exec, s[6:7]
	s_cbranch_vccnz .LBB5_79
; %bb.77:
	s_load_dwordx2 s[6:7], s[2:3], 0x18
	s_load_dword s10, s[2:3], 0x20
	s_load_dword s11, s[2:3], 0xe0
	s_load_dwordx2 s[8:9], s[2:3], 0xd8
	s_waitcnt lgkmcnt(0)
	v_mul_hi_u32 v5, s7, v3
	v_add_u32_e32 v5, v3, v5
	v_lshrrev_b32_e32 v5, s10, v5
	v_mul_lo_u32 v5, v5, s6
	v_sub_u32_e32 v3, v3, v5
	v_mad_u64_u32 v[12:13], s[2:3], v3, s8, v[12:13]
	v_mad_u64_u32 v[16:17], s[2:3], v3, s9, v[16:17]
	v_mad_u64_u32 v[14:15], s[2:3], v3, s11, v[14:15]
	s_cbranch_execz .LBB5_80
	s_branch .LBB5_82
.LBB5_78:
                                        ; implicit-def: $vgpr14
                                        ; implicit-def: $vgpr16
                                        ; implicit-def: $vgpr12
	s_branch .LBB5_80
.LBB5_79:
	s_cbranch_execnz .LBB5_82
.LBB5_80:
	s_load_dwordx4 s[8:11], s[4:5], 0x4
	s_load_dwordx4 s[12:15], s[4:5], 0xc4
	s_cmp_lt_u32 s33, 2
	s_waitcnt lgkmcnt(0)
	v_mul_hi_u32 v3, s9, v1
	v_add_u32_e32 v3, v1, v3
	v_lshrrev_b32_e32 v3, s10, v3
	v_mul_lo_u32 v5, v3, s8
	v_sub_u32_e32 v1, v1, v5
	v_mul_lo_u32 v12, v1, s12
	v_mul_lo_u32 v14, v1, s14
	;; [unrolled: 1-line block ×3, first 2 shown]
	s_cbranch_scc1 .LBB5_82
; %bb.81:
	s_load_dwordx4 s[8:11], s[4:5], 0x10
	s_load_dwordx4 s[12:15], s[4:5], 0xd0
	s_waitcnt lgkmcnt(0)
	v_mul_hi_u32 v1, s9, v3
	v_add_u32_e32 v1, v3, v1
	v_lshrrev_b32_e32 v1, s10, v1
	v_mul_lo_u32 v1, v1, s8
	v_sub_u32_e32 v1, v3, v1
	v_mad_u64_u32 v[12:13], s[2:3], v1, s12, v[12:13]
	v_mad_u64_u32 v[16:17], s[2:3], v1, s13, v[16:17]
	;; [unrolled: 1-line block ×3, first 2 shown]
.LBB5_82:
	s_and_b64 vcc, exec, s[0:1]
	s_cbranch_vccnz .LBB5_88
; %bb.83:
	s_cmp_lg_u32 s33, 0
	v_mov_b32_e32 v20, 0
	v_mov_b32_e32 v22, 0
	;; [unrolled: 1-line block ×3, first 2 shown]
	s_cbranch_scc0 .LBB5_89
; %bb.84:
	s_min_u32 s2, s34, 15
	s_add_i32 s0, s2, 1
	s_and_b32 s3, s0, 30
	s_add_u32 s0, s4, 0xffffffec
	s_addc_u32 s1, s5, -1
	v_mov_b32_e32 v18, 0
	v_mov_b32_e32 v1, v24
	;; [unrolled: 1-line block ×4, first 2 shown]
.LBB5_85:                               ; =>This Inner Loop Header: Depth=1
	s_mov_b64 s[6:7], s[0:1]
	s_load_dwordx4 s[8:11], s[6:7], 0x18
	s_load_dwordx2 s[16:17], s[6:7], 0x28
	s_load_dwordx2 s[18:19], s[6:7], 0xe8
	s_load_dwordx4 s[12:15], s[6:7], 0xd8
	s_add_u32 s0, s6, 24
	s_waitcnt lgkmcnt(0)
	v_mul_hi_u32 v3, s9, v1
	v_add_u32_e32 v3, v1, v3
	v_lshrrev_b32_e32 v3, s10, v3
	v_mul_lo_u32 v5, v3, s8
	v_mul_hi_u32 v7, s16, v3
	v_sub_u32_e32 v1, v1, v5
	v_add_u32_e32 v5, v3, v7
	v_mul_lo_u32 v7, v1, s12
	v_mul_lo_u32 v9, v1, s13
	;; [unrolled: 1-line block ×3, first 2 shown]
	v_lshrrev_b32_e32 v1, s17, v5
	v_mul_lo_u32 v5, v1, s11
	v_sub_u32_e32 v3, v3, v5
	s_addc_u32 s1, s7, 0
	s_add_i32 s3, s3, -2
	v_mul_lo_u32 v5, v3, s15
	v_mul_lo_u32 v13, v3, s18
	;; [unrolled: 1-line block ×3, first 2 shown]
	s_cmp_lg_u32 s3, 0
	v_add3_u32 v18, v7, v18, v5
	v_add3_u32 v20, v11, v20, v3
	;; [unrolled: 1-line block ×3, first 2 shown]
	s_cbranch_scc1 .LBB5_85
; %bb.86:
	s_bitcmp1_b32 s2, 0
	s_cselect_b64 s[2:3], -1, 0
	s_and_b64 vcc, exec, s[2:3]
	s_cbranch_vccnz .LBB5_89
; %bb.87:
	s_load_dwordx2 s[2:3], s[0:1], 0x18
	s_load_dword s8, s[0:1], 0x20
	s_load_dword s9, s[0:1], 0xe0
	s_load_dwordx2 s[6:7], s[0:1], 0xd8
	s_waitcnt lgkmcnt(0)
	v_mul_hi_u32 v3, s3, v1
	v_add_u32_e32 v3, v1, v3
	v_lshrrev_b32_e32 v3, s8, v3
	v_mul_lo_u32 v3, v3, s2
	v_sub_u32_e32 v1, v1, v3
	v_mad_u64_u32 v[18:19], s[0:1], v1, s6, v[18:19]
	v_mad_u64_u32 v[22:23], s[0:1], v1, s7, v[22:23]
	;; [unrolled: 1-line block ×3, first 2 shown]
	s_cbranch_execz .LBB5_90
	s_branch .LBB5_92
.LBB5_88:
                                        ; implicit-def: $vgpr20
                                        ; implicit-def: $vgpr22
                                        ; implicit-def: $vgpr18
	s_branch .LBB5_90
.LBB5_89:
	s_cbranch_execnz .LBB5_92
.LBB5_90:
	s_load_dwordx4 s[0:3], s[4:5], 0x4
	s_load_dwordx4 s[8:11], s[4:5], 0xc4
	s_cmp_lt_u32 s33, 2
	s_waitcnt lgkmcnt(0)
	v_mul_hi_u32 v1, s1, v24
	v_add_u32_e32 v1, v24, v1
	v_lshrrev_b32_e32 v1, s2, v1
	v_mul_lo_u32 v3, v1, s0
	v_sub_u32_e32 v3, v24, v3
	v_mul_lo_u32 v18, v3, s8
	v_mul_lo_u32 v20, v3, s10
	;; [unrolled: 1-line block ×3, first 2 shown]
	s_cbranch_scc1 .LBB5_92
; %bb.91:
	s_load_dwordx4 s[0:3], s[4:5], 0x10
	s_load_dwordx4 s[8:11], s[4:5], 0xd0
	s_waitcnt lgkmcnt(0)
	v_mul_hi_u32 v3, s1, v1
	v_add_u32_e32 v3, v1, v3
	v_lshrrev_b32_e32 v3, s2, v3
	v_mul_lo_u32 v3, v3, s0
	v_sub_u32_e32 v1, v1, v3
	v_mad_u64_u32 v[18:19], s[0:1], v1, s8, v[18:19]
	v_mad_u64_u32 v[22:23], s[0:1], v1, s9, v[22:23]
	;; [unrolled: 1-line block ×3, first 2 shown]
.LBB5_92:
	s_load_dwordx4 s[0:3], s[4:5], 0x188
	s_load_dwordx2 s[6:7], s[4:5], 0x198
	s_waitcnt lgkmcnt(0)
	global_load_dwordx2 v[24:25], v2, s[2:3]
	global_load_dwordx2 v[26:27], v4, s[6:7]
	;; [unrolled: 1-line block ×8, first 2 shown]
	s_waitcnt vmcnt(7)
	v_cmp_lt_f64_e32 vcc, 0, v[24:25]
	s_waitcnt vmcnt(6)
	v_mul_f64 v[2:3], v[24:25], v[26:27]
	v_cndmask_b32_e32 v3, v3, v25, vcc
	s_waitcnt vmcnt(4)
	v_mul_f64 v[4:5], v[28:29], v[30:31]
	v_cndmask_b32_e32 v2, v2, v24, vcc
	v_cmp_lt_f64_e32 vcc, 0, v[28:29]
	s_waitcnt vmcnt(2)
	v_mul_f64 v[8:9], v[32:33], v[34:35]
	v_cndmask_b32_e32 v5, v5, v29, vcc
	v_cndmask_b32_e32 v4, v4, v28, vcc
	v_cmp_lt_f64_e32 vcc, 0, v[32:33]
	s_waitcnt vmcnt(0)
	v_mul_f64 v[10:11], v[36:37], v[38:39]
	v_cndmask_b32_e32 v9, v9, v33, vcc
	v_cndmask_b32_e32 v8, v8, v32, vcc
	v_cmp_lt_f64_e32 vcc, 0, v[36:37]
	v_cndmask_b32_e32 v11, v11, v37, vcc
	v_cndmask_b32_e32 v10, v10, v36, vcc
	global_store_dwordx2 v0, v[2:3], s[0:1]
	global_store_dwordx2 v6, v[4:5], s[0:1]
	;; [unrolled: 1-line block ×4, first 2 shown]
	s_endpgm
	.section	.rodata,"a",@progbits
	.p2align	6, 0x0
	.amdhsa_kernel _ZN2at6native32elementwise_kernel_manual_unrollILi128ELi4EZNS0_22gpu_kernel_impl_nocastIZZZNS0_12prelu_kernelERNS_14TensorIteratorEENKUlvE_clEvENKUlvE_clEvEUlddE_EEvRNS_18TensorIteratorBaseERKT_EUlibE_EEviT1_
		.amdhsa_group_segment_fixed_size 0
		.amdhsa_private_segment_fixed_size 0
		.amdhsa_kernarg_size 432
		.amdhsa_user_sgpr_count 6
		.amdhsa_user_sgpr_private_segment_buffer 1
		.amdhsa_user_sgpr_dispatch_ptr 0
		.amdhsa_user_sgpr_queue_ptr 0
		.amdhsa_user_sgpr_kernarg_segment_ptr 1
		.amdhsa_user_sgpr_dispatch_id 0
		.amdhsa_user_sgpr_flat_scratch_init 0
		.amdhsa_user_sgpr_kernarg_preload_length 0
		.amdhsa_user_sgpr_kernarg_preload_offset 0
		.amdhsa_user_sgpr_private_segment_size 0
		.amdhsa_uses_dynamic_stack 0
		.amdhsa_system_sgpr_private_segment_wavefront_offset 0
		.amdhsa_system_sgpr_workgroup_id_x 1
		.amdhsa_system_sgpr_workgroup_id_y 0
		.amdhsa_system_sgpr_workgroup_id_z 0
		.amdhsa_system_sgpr_workgroup_info 0
		.amdhsa_system_vgpr_workitem_id 0
		.amdhsa_next_free_vgpr 40
		.amdhsa_next_free_sgpr 52
		.amdhsa_accum_offset 40
		.amdhsa_reserve_vcc 1
		.amdhsa_reserve_flat_scratch 0
		.amdhsa_float_round_mode_32 0
		.amdhsa_float_round_mode_16_64 0
		.amdhsa_float_denorm_mode_32 3
		.amdhsa_float_denorm_mode_16_64 3
		.amdhsa_dx10_clamp 1
		.amdhsa_ieee_mode 1
		.amdhsa_fp16_overflow 0
		.amdhsa_tg_split 0
		.amdhsa_exception_fp_ieee_invalid_op 0
		.amdhsa_exception_fp_denorm_src 0
		.amdhsa_exception_fp_ieee_div_zero 0
		.amdhsa_exception_fp_ieee_overflow 0
		.amdhsa_exception_fp_ieee_underflow 0
		.amdhsa_exception_fp_ieee_inexact 0
		.amdhsa_exception_int_div_zero 0
	.end_amdhsa_kernel
	.section	.text._ZN2at6native32elementwise_kernel_manual_unrollILi128ELi4EZNS0_22gpu_kernel_impl_nocastIZZZNS0_12prelu_kernelERNS_14TensorIteratorEENKUlvE_clEvENKUlvE_clEvEUlddE_EEvRNS_18TensorIteratorBaseERKT_EUlibE_EEviT1_,"axG",@progbits,_ZN2at6native32elementwise_kernel_manual_unrollILi128ELi4EZNS0_22gpu_kernel_impl_nocastIZZZNS0_12prelu_kernelERNS_14TensorIteratorEENKUlvE_clEvENKUlvE_clEvEUlddE_EEvRNS_18TensorIteratorBaseERKT_EUlibE_EEviT1_,comdat
.Lfunc_end5:
	.size	_ZN2at6native32elementwise_kernel_manual_unrollILi128ELi4EZNS0_22gpu_kernel_impl_nocastIZZZNS0_12prelu_kernelERNS_14TensorIteratorEENKUlvE_clEvENKUlvE_clEvEUlddE_EEvRNS_18TensorIteratorBaseERKT_EUlibE_EEviT1_, .Lfunc_end5-_ZN2at6native32elementwise_kernel_manual_unrollILi128ELi4EZNS0_22gpu_kernel_impl_nocastIZZZNS0_12prelu_kernelERNS_14TensorIteratorEENKUlvE_clEvENKUlvE_clEvEUlddE_EEvRNS_18TensorIteratorBaseERKT_EUlibE_EEviT1_
                                        ; -- End function
	.section	.AMDGPU.csdata,"",@progbits
; Kernel info:
; codeLenInByte = 4800
; NumSgprs: 56
; NumVgprs: 40
; NumAgprs: 0
; TotalNumVgprs: 40
; ScratchSize: 0
; MemoryBound: 0
; FloatMode: 240
; IeeeMode: 1
; LDSByteSize: 0 bytes/workgroup (compile time only)
; SGPRBlocks: 6
; VGPRBlocks: 4
; NumSGPRsForWavesPerEU: 56
; NumVGPRsForWavesPerEU: 40
; AccumOffset: 40
; Occupancy: 8
; WaveLimiterHint : 1
; COMPUTE_PGM_RSRC2:SCRATCH_EN: 0
; COMPUTE_PGM_RSRC2:USER_SGPR: 6
; COMPUTE_PGM_RSRC2:TRAP_HANDLER: 0
; COMPUTE_PGM_RSRC2:TGID_X_EN: 1
; COMPUTE_PGM_RSRC2:TGID_Y_EN: 0
; COMPUTE_PGM_RSRC2:TGID_Z_EN: 0
; COMPUTE_PGM_RSRC2:TIDIG_COMP_CNT: 0
; COMPUTE_PGM_RSRC3_GFX90A:ACCUM_OFFSET: 9
; COMPUTE_PGM_RSRC3_GFX90A:TG_SPLIT: 0
	.section	.text._ZN2at6native32elementwise_kernel_manual_unrollILi128ELi4EZNS0_15gpu_kernel_implIZZZNS0_12prelu_kernelERNS_14TensorIteratorEENKUlvE_clEvENKUlvE_clEvEUlddE_EEvRNS_18TensorIteratorBaseERKT_EUlibE_EEviT1_,"axG",@progbits,_ZN2at6native32elementwise_kernel_manual_unrollILi128ELi4EZNS0_15gpu_kernel_implIZZZNS0_12prelu_kernelERNS_14TensorIteratorEENKUlvE_clEvENKUlvE_clEvEUlddE_EEvRNS_18TensorIteratorBaseERKT_EUlibE_EEviT1_,comdat
	.globl	_ZN2at6native32elementwise_kernel_manual_unrollILi128ELi4EZNS0_15gpu_kernel_implIZZZNS0_12prelu_kernelERNS_14TensorIteratorEENKUlvE_clEvENKUlvE_clEvEUlddE_EEvRNS_18TensorIteratorBaseERKT_EUlibE_EEviT1_ ; -- Begin function _ZN2at6native32elementwise_kernel_manual_unrollILi128ELi4EZNS0_15gpu_kernel_implIZZZNS0_12prelu_kernelERNS_14TensorIteratorEENKUlvE_clEvENKUlvE_clEvEUlddE_EEvRNS_18TensorIteratorBaseERKT_EUlibE_EEviT1_
	.p2align	8
	.type	_ZN2at6native32elementwise_kernel_manual_unrollILi128ELi4EZNS0_15gpu_kernel_implIZZZNS0_12prelu_kernelERNS_14TensorIteratorEENKUlvE_clEvENKUlvE_clEvEUlddE_EEvRNS_18TensorIteratorBaseERKT_EUlibE_EEviT1_,@function
_ZN2at6native32elementwise_kernel_manual_unrollILi128ELi4EZNS0_15gpu_kernel_implIZZZNS0_12prelu_kernelERNS_14TensorIteratorEENKUlvE_clEvENKUlvE_clEvEUlddE_EEvRNS_18TensorIteratorBaseERKT_EUlibE_EEviT1_: ; @_ZN2at6native32elementwise_kernel_manual_unrollILi128ELi4EZNS0_15gpu_kernel_implIZZZNS0_12prelu_kernelERNS_14TensorIteratorEENKUlvE_clEvENKUlvE_clEvEUlddE_EEvRNS_18TensorIteratorBaseERKT_EUlibE_EEviT1_
; %bb.0:
	v_mov_b32_e32 v1, 0
	global_load_ushort v18, v1, s[4:5] offset:45
	global_load_sbyte v20, v1, s[4:5] offset:47
	s_load_dword s33, s[4:5], 0x0
	s_load_dwordx4 s[8:11], s[4:5], 0x8
	s_load_dwordx2 s[2:3], s[4:5], 0x18
	s_load_dwordx4 s[12:15], s[4:5], 0x20
	v_lshl_or_b32 v19, s6, 9, v0
	v_or_b32_e32 v0, 0x180, v19
	s_mov_b64 s[16:17], 0
	s_waitcnt lgkmcnt(0)
	v_cmp_le_i32_e32 vcc, s33, v0
	s_mov_b64 s[6:7], 0
	s_waitcnt vmcnt(1)
	v_lshrrev_b32_e32 v16, 8, v18
	s_and_saveexec_b64 s[0:1], vcc
	s_xor_b64 s[4:5], exec, s[0:1]
	s_cbranch_execz .LBB6_1540
; %bb.1:
	v_cmp_gt_i32_e32 vcc, s33, v19
	s_mov_b64 s[0:1], -1
	s_mov_b64 s[26:27], 0
	s_mov_b64 s[20:21], 0
	;; [unrolled: 1-line block ×3, first 2 shown]
	s_and_saveexec_b64 s[22:23], vcc
	s_cbranch_execz .LBB6_384
; %bb.2:
	v_mul_lo_u32 v0, v19, s13
	v_ashrrev_i32_e32 v1, 31, v0
	v_mov_b32_e32 v3, s11
	v_add_co_u32_e32 v2, vcc, s10, v0
	v_mov_b32_e32 v0, 11
	v_addc_co_u32_e32 v3, vcc, v3, v1, vcc
	v_cmp_lt_i16_sdwa s[0:1], v16, v0 src0_sel:BYTE_0 src1_sel:DWORD
	s_and_b64 vcc, exec, s[0:1]
	s_cbranch_vccnz .LBB6_9
; %bb.3:
	v_mov_b32_e32 v0, 25
	v_cmp_gt_i16_sdwa s[0:1], v16, v0 src0_sel:BYTE_0 src1_sel:DWORD
	s_and_b64 vcc, exec, s[0:1]
	s_cbranch_vccz .LBB6_18
; %bb.4:
	v_mov_b32_e32 v0, 28
	v_cmp_gt_i16_sdwa s[0:1], v16, v0 src0_sel:BYTE_0 src1_sel:DWORD
	s_and_b64 vcc, exec, s[0:1]
	s_cbranch_vccz .LBB6_75
; %bb.5:
	v_mov_b32_e32 v0, 43
	v_cmp_gt_i16_sdwa s[0:1], v16, v0 src0_sel:BYTE_0 src1_sel:DWORD
	s_and_b64 vcc, exec, s[0:1]
	s_cbranch_vccz .LBB6_77
; %bb.6:
	v_mov_b32_e32 v0, 45
	v_cmp_gt_i16_sdwa s[0:1], v16, v0 src0_sel:BYTE_0 src1_sel:DWORD
	s_and_b64 vcc, exec, s[0:1]
	s_cbranch_vccz .LBB6_80
; %bb.7:
	v_mov_b32_e32 v0, 46
	v_cmp_eq_u16_sdwa s[0:1], v16, v0 src0_sel:BYTE_0 src1_sel:DWORD
	s_and_b64 vcc, exec, s[0:1]
	s_cbranch_vccz .LBB6_83
; %bb.8:
	global_load_dword v0, v[2:3], off
	s_mov_b64 s[0:1], -1
	s_waitcnt vmcnt(0)
	v_lshlrev_b32_e32 v0, 16, v0
	v_cvt_f64_f32_e32 v[0:1], v0
	s_branch .LBB6_85
.LBB6_9:
                                        ; implicit-def: $vgpr0_vgpr1
	s_mov_b64 s[0:1], 0
	s_cbranch_execnz .LBB6_216
.LBB6_10:
	s_andn2_b64 vcc, exec, s[0:1]
	s_cbranch_vccnz .LBB6_263
.LBB6_11:
	v_mul_lo_u32 v2, v19, s14
	v_ashrrev_i32_e32 v3, 31, v2
	v_mov_b32_e32 v4, s3
	v_add_co_u32_e32 v2, vcc, s2, v2
	v_addc_co_u32_e32 v3, vcc, v4, v3, vcc
	v_mov_b32_e32 v4, 11
	s_waitcnt vmcnt(0)
	v_cmp_lt_i16_sdwa s[0:1], v20, v4 src0_sel:BYTE_0 src1_sel:DWORD
	s_and_b64 vcc, exec, s[0:1]
	s_cbranch_vccnz .LBB6_19
; %bb.12:
	v_mov_b32_e32 v4, 25
	v_cmp_gt_i16_sdwa s[0:1], v20, v4 src0_sel:BYTE_0 src1_sel:DWORD
	s_and_b64 vcc, exec, s[0:1]
	s_cbranch_vccz .LBB6_76
; %bb.13:
	v_mov_b32_e32 v4, 28
	v_cmp_gt_i16_sdwa s[0:1], v20, v4 src0_sel:BYTE_0 src1_sel:DWORD
	s_and_b64 vcc, exec, s[0:1]
	s_cbranch_vccz .LBB6_78
	;; [unrolled: 5-line block ×4, first 2 shown]
; %bb.16:
	v_mov_b32_e32 v4, 46
	v_cmp_eq_u16_sdwa s[0:1], v20, v4 src0_sel:BYTE_0 src1_sel:DWORD
	s_mov_b64 s[6:7], 0
	s_and_b64 vcc, exec, s[0:1]
	s_cbranch_vccz .LBB6_264
; %bb.17:
	global_load_dword v4, v[2:3], off
	s_mov_b64 s[0:1], -1
	s_mov_b64 s[18:19], 0
	s_waitcnt vmcnt(0)
	v_lshlrev_b32_e32 v4, 16, v4
	v_cvt_f64_f32_e32 v[4:5], v4
	s_branch .LBB6_266
.LBB6_18:
	s_mov_b64 s[0:1], 0
                                        ; implicit-def: $vgpr0_vgpr1
	s_cbranch_execnz .LBB6_181
	s_branch .LBB6_215
.LBB6_19:
	s_mov_b64 s[18:19], 0
                                        ; implicit-def: $vgpr4_vgpr5
	s_mov_b64 s[0:1], 0
	s_cbranch_execnz .LBB6_333
.LBB6_20:
	s_andn2_b64 vcc, exec, s[0:1]
	s_cbranch_vccnz .LBB6_381
.LBB6_21:
	s_waitcnt vmcnt(0)
	v_mul_f64 v[2:3], v[0:1], v[4:5]
	v_cmp_lt_f64_e32 vcc, 0, v[0:1]
	v_cndmask_b32_e32 v0, v2, v0, vcc
	v_mul_lo_u32 v2, v19, s12
	v_cndmask_b32_e32 v1, v3, v1, vcc
	v_ashrrev_i32_e32 v3, 31, v2
	v_mov_b32_e32 v5, s9
	v_add_co_u32_e32 v4, vcc, s8, v2
	v_mov_b32_e32 v2, 11
	v_addc_co_u32_e32 v5, vcc, v5, v3, vcc
	v_cmp_lt_i16_sdwa s[6:7], v18, v2 src0_sel:BYTE_0 src1_sel:DWORD
	s_mov_b64 s[0:1], 0
	s_mov_b64 s[24:25], -1
	s_and_b64 vcc, exec, s[6:7]
	s_mov_b64 s[6:7], 0
	s_cbranch_vccnz .LBB6_35
; %bb.22:
	v_mov_b32_e32 v2, 25
	v_cmp_gt_i16_sdwa s[0:1], v18, v2 src0_sel:BYTE_0 src1_sel:DWORD
	s_and_b64 vcc, exec, s[0:1]
	s_cbranch_vccz .LBB6_79
; %bb.23:
	v_mov_b32_e32 v2, 28
	v_cmp_gt_i16_sdwa s[0:1], v18, v2 src0_sel:BYTE_0 src1_sel:DWORD
	s_and_b64 vcc, exec, s[0:1]
	s_cbranch_vccz .LBB6_82
	;; [unrolled: 5-line block ×4, first 2 shown]
; %bb.26:
	v_mov_b32_e32 v2, 46
	v_cmp_eq_u16_sdwa s[6:7], v18, v2 src0_sel:BYTE_0 src1_sel:DWORD
	s_mov_b64 s[24:25], 0
	s_mov_b64 s[0:1], -1
	s_and_b64 vcc, exec, s[6:7]
	s_mov_b64 s[6:7], 0
	s_cbranch_vccz .LBB6_29
; %bb.27:
	v_cvt_f32_f64_e32 v2, v[0:1]
	v_bfe_u32 v3, v2, 16, 1
	s_movk_i32 s0, 0x7fff
	v_add3_u32 v3, v2, v3, s0
	v_lshrrev_b32_e32 v3, 16, v3
	v_mov_b32_e32 v6, 0x7fc0
	v_cmp_o_f32_e32 vcc, v2, v2
	v_cndmask_b32_e32 v2, v6, v3, vcc
	global_store_dword v[4:5], v2, off
	s_mov_b64 s[6:7], -1
.LBB6_28:
	s_mov_b64 s[0:1], 0
.LBB6_29:
	s_and_b64 vcc, exec, s[24:25]
	s_cbranch_vccz .LBB6_34
; %bb.30:
	v_mov_b32_e32 v2, 44
	v_cmp_eq_u16_sdwa s[24:25], v18, v2 src0_sel:BYTE_0 src1_sel:DWORD
	s_mov_b64 s[0:1], -1
	s_and_b64 vcc, exec, s[24:25]
	s_cbranch_vccz .LBB6_34
; %bb.31:
	v_cvt_f32_f64_e32 v2, v[0:1]
	v_bfe_u32 v3, v2, 23, 8
	s_movk_i32 s0, 0xff
	v_cmp_ne_u32_e32 vcc, s0, v3
	v_mov_b32_e32 v6, 0xff
	s_and_saveexec_b64 s[6:7], vcc
; %bb.32:
	s_mov_b32 s0, 0x3fffff
	v_lshrrev_b32_e32 v6, 23, v2
	v_and_b32_e32 v7, 0x400000, v2
	v_and_or_b32 v2, v2, s0, v3
	v_cmp_ne_u32_e32 vcc, 0, v7
	v_cmp_ne_u32_e64 s[0:1], 0, v2
	s_and_b64 s[0:1], vcc, s[0:1]
	v_cndmask_b32_e64 v2, 0, 1, s[0:1]
	v_add_u32_e32 v6, v6, v2
; %bb.33:
	s_or_b64 exec, exec, s[6:7]
	s_mov_b64 s[6:7], -1
	s_mov_b64 s[0:1], 0
	global_store_byte v[4:5], v6, off
.LBB6_34:
	s_mov_b64 s[24:25], 0
	s_branch .LBB6_90
.LBB6_35:
	s_and_b64 vcc, exec, s[24:25]
	s_cbranch_vccz .LBB6_153
; %bb.36:
	v_mov_b32_e32 v2, 5
	v_cmp_lt_i16_sdwa s[24:25], v18, v2 src0_sel:BYTE_0 src1_sel:DWORD
	s_mov_b64 s[6:7], -1
	s_and_b64 vcc, exec, s[24:25]
	s_cbranch_vccnz .LBB6_57
; %bb.37:
	v_mov_b32_e32 v2, 8
	v_cmp_lt_i16_sdwa s[24:25], v18, v2 src0_sel:BYTE_0 src1_sel:DWORD
	s_and_b64 vcc, exec, s[24:25]
	s_cbranch_vccnz .LBB6_47
; %bb.38:
	v_mov_b32_e32 v2, 9
	v_cmp_lt_i16_sdwa s[24:25], v18, v2 src0_sel:BYTE_0 src1_sel:DWORD
	s_and_b64 vcc, exec, s[24:25]
	s_cbranch_vccnz .LBB6_44
; %bb.39:
	v_cmp_gt_i16_sdwa s[24:25], v18, v2 src0_sel:BYTE_0 src1_sel:DWORD
	s_and_b64 vcc, exec, s[24:25]
	s_cbranch_vccz .LBB6_41
; %bb.40:
	v_mov_b32_e32 v2, 0
	v_mov_b32_e32 v3, v2
	global_store_dwordx4 v[4:5], v[0:3], off
	s_mov_b64 s[6:7], 0
.LBB6_41:
	s_andn2_b64 vcc, exec, s[6:7]
	s_cbranch_vccnz .LBB6_43
; %bb.42:
	v_cvt_f32_f64_e32 v2, v[0:1]
	v_mov_b32_e32 v3, 0
	global_store_dwordx2 v[4:5], v[2:3], off
.LBB6_43:
	s_mov_b64 s[6:7], 0
.LBB6_44:
	s_andn2_b64 vcc, exec, s[6:7]
	s_cbranch_vccnz .LBB6_46
; %bb.45:
	v_cvt_f32_f64_e32 v2, v[0:1]
	v_cvt_f16_f32_e32 v2, v2
	global_store_dword v[4:5], v2, off
.LBB6_46:
	s_mov_b64 s[6:7], 0
.LBB6_47:
	s_andn2_b64 vcc, exec, s[6:7]
	s_cbranch_vccnz .LBB6_56
; %bb.48:
	v_mov_b32_e32 v2, 6
	v_cmp_lt_i16_sdwa s[24:25], v18, v2 src0_sel:BYTE_0 src1_sel:DWORD
	s_mov_b64 s[6:7], -1
	s_and_b64 vcc, exec, s[24:25]
	s_cbranch_vccnz .LBB6_54
; %bb.49:
	v_cmp_gt_i16_sdwa s[24:25], v18, v2 src0_sel:BYTE_0 src1_sel:DWORD
	s_and_b64 vcc, exec, s[24:25]
	s_cbranch_vccz .LBB6_51
; %bb.50:
	global_store_dwordx2 v[4:5], v[0:1], off
	s_mov_b64 s[6:7], 0
.LBB6_51:
	s_andn2_b64 vcc, exec, s[6:7]
	s_cbranch_vccnz .LBB6_53
; %bb.52:
	v_cvt_f32_f64_e32 v2, v[0:1]
	global_store_dword v[4:5], v2, off
.LBB6_53:
	s_mov_b64 s[6:7], 0
.LBB6_54:
	s_andn2_b64 vcc, exec, s[6:7]
	s_cbranch_vccnz .LBB6_56
; %bb.55:
	v_cvt_f32_f64_e32 v2, v[0:1]
	v_cvt_f16_f32_e32 v2, v2
	global_store_short v[4:5], v2, off
.LBB6_56:
	s_mov_b64 s[6:7], 0
.LBB6_57:
	s_andn2_b64 vcc, exec, s[6:7]
	s_cbranch_vccnz .LBB6_73
; %bb.58:
	v_mov_b32_e32 v2, 2
	v_cmp_lt_i16_sdwa s[24:25], v18, v2 src0_sel:BYTE_0 src1_sel:DWORD
	s_mov_b64 s[6:7], -1
	s_and_b64 vcc, exec, s[24:25]
	s_cbranch_vccnz .LBB6_68
; %bb.59:
	v_mov_b32_e32 v2, 3
	v_cmp_lt_i16_sdwa s[24:25], v18, v2 src0_sel:BYTE_0 src1_sel:DWORD
	s_and_b64 vcc, exec, s[24:25]
	s_cbranch_vccnz .LBB6_65
; %bb.60:
	v_cmp_gt_i16_sdwa s[24:25], v18, v2 src0_sel:BYTE_0 src1_sel:DWORD
	s_and_b64 vcc, exec, s[24:25]
	s_cbranch_vccz .LBB6_62
; %bb.61:
	v_trunc_f64_e32 v[2:3], v[0:1]
	s_movk_i32 s6, 0xffe0
	v_ldexp_f64 v[6:7], v[2:3], s6
	v_floor_f64_e32 v[6:7], v[6:7]
	v_fmac_f64_e32 v[2:3], 0xc1f00000, v[6:7]
	v_cvt_i32_f64_e32 v9, v[6:7]
	v_cvt_u32_f64_e32 v8, v[2:3]
	global_store_dwordx2 v[4:5], v[8:9], off
	s_mov_b64 s[6:7], 0
.LBB6_62:
	s_andn2_b64 vcc, exec, s[6:7]
	s_cbranch_vccnz .LBB6_64
; %bb.63:
	v_cvt_i32_f64_e32 v2, v[0:1]
	global_store_dword v[4:5], v2, off
.LBB6_64:
	s_mov_b64 s[6:7], 0
.LBB6_65:
	s_andn2_b64 vcc, exec, s[6:7]
	s_cbranch_vccnz .LBB6_67
; %bb.66:
	v_cvt_i32_f64_e32 v2, v[0:1]
	global_store_short v[4:5], v2, off
.LBB6_67:
	s_mov_b64 s[6:7], 0
.LBB6_68:
	s_andn2_b64 vcc, exec, s[6:7]
	s_cbranch_vccnz .LBB6_73
; %bb.69:
	v_mov_b32_e32 v2, 0
	v_cmp_gt_i16_sdwa s[24:25], v18, v2 src0_sel:BYTE_0 src1_sel:DWORD
	s_mov_b64 s[6:7], -1
	s_and_b64 vcc, exec, s[24:25]
	s_cbranch_vccz .LBB6_71
; %bb.70:
	v_cvt_i32_f64_e32 v2, v[0:1]
	global_store_byte v[4:5], v2, off
	s_mov_b64 s[6:7], 0
.LBB6_71:
	s_andn2_b64 vcc, exec, s[6:7]
	s_cbranch_vccnz .LBB6_73
; %bb.72:
	v_trunc_f64_e32 v[0:1], v[0:1]
	s_movk_i32 s6, 0xffe0
	v_ldexp_f64 v[2:3], v[0:1], s6
	v_floor_f64_e32 v[2:3], v[2:3]
	v_fmac_f64_e32 v[0:1], 0xc1f00000, v[2:3]
	v_cvt_u32_f64_e32 v0, v[0:1]
	global_store_byte v[4:5], v0, off
.LBB6_73:
	s_branch .LBB6_154
.LBB6_74:
	s_mov_b64 s[24:25], 0
                                        ; implicit-def: $vgpr19
	s_branch .LBB6_383
.LBB6_75:
	s_mov_b64 s[6:7], -1
	s_mov_b64 s[0:1], 0
                                        ; implicit-def: $vgpr0_vgpr1
	s_branch .LBB6_162
.LBB6_76:
	s_mov_b64 s[6:7], -1
	s_mov_b64 s[18:19], 0
	s_mov_b64 s[0:1], 0
                                        ; implicit-def: $vgpr4_vgpr5
	s_branch .LBB6_297
.LBB6_77:
	s_mov_b64 s[6:7], -1
	s_mov_b64 s[0:1], 0
                                        ; implicit-def: $vgpr0_vgpr1
	s_branch .LBB6_157
.LBB6_78:
	s_mov_b64 s[6:7], -1
	s_mov_b64 s[18:19], 0
	s_mov_b64 s[0:1], 0
                                        ; implicit-def: $vgpr4_vgpr5
	s_branch .LBB6_278
.LBB6_79:
	s_mov_b64 s[0:1], 0
	s_branch .LBB6_111
.LBB6_80:
	s_mov_b64 s[6:7], -1
	s_branch .LBB6_84
.LBB6_81:
	s_mov_b64 s[6:7], -1
	s_mov_b64 s[18:19], 0
	s_mov_b64 s[0:1], 0
                                        ; implicit-def: $vgpr4_vgpr5
	s_branch .LBB6_273
.LBB6_82:
	s_mov_b64 s[0:1], 0
	s_branch .LBB6_94
.LBB6_83:
	s_mov_b64 s[20:21], -1
.LBB6_84:
	s_mov_b64 s[0:1], 0
                                        ; implicit-def: $vgpr0_vgpr1
.LBB6_85:
	s_and_b64 vcc, exec, s[6:7]
	s_cbranch_vccz .LBB6_156
; %bb.86:
	v_mov_b32_e32 v0, 44
	v_cmp_eq_u16_sdwa s[6:7], v16, v0 src0_sel:BYTE_0 src1_sel:DWORD
	s_and_b64 vcc, exec, s[6:7]
	s_cbranch_vccz .LBB6_155
; %bb.87:
	global_load_ubyte v4, v[2:3], off
	s_movk_i32 s6, 0xff
	v_bfrev_b32_e32 v5, 4
	v_mov_b32_e32 v6, 0x7ff80000
	v_bfrev_b32_e32 v7, 28
	s_mov_b64 s[0:1], -1
	s_mov_b64 s[20:21], 0
	s_waitcnt vmcnt(0)
	v_lshlrev_b32_e32 v0, 23, v4
	v_cvt_f64_f32_e32 v[0:1], v0
	v_cmp_ne_u32_e32 vcc, s6, v4
	v_cndmask_b32_e32 v0, v5, v0, vcc
	v_cndmask_b32_e32 v1, v6, v1, vcc
	v_cmp_ne_u32_e32 vcc, 0, v4
	v_cndmask_b32_e32 v1, v7, v1, vcc
	v_cndmask_b32_e32 v0, 0, v0, vcc
	s_branch .LBB6_156
.LBB6_88:
	s_mov_b64 s[6:7], -1
	s_mov_b64 s[18:19], 0
	s_branch .LBB6_265
.LBB6_89:
	s_mov_b64 s[0:1], 0
.LBB6_90:
	s_and_b64 vcc, exec, s[24:25]
	s_cbranch_vccz .LBB6_93
; %bb.91:
	v_mov_b32_e32 v2, 29
	v_cmp_eq_u16_sdwa s[24:25], v18, v2 src0_sel:BYTE_0 src1_sel:DWORD
	s_mov_b64 s[0:1], -1
	s_and_b64 vcc, exec, s[24:25]
	s_cbranch_vccz .LBB6_93
; %bb.92:
	v_trunc_f64_e32 v[2:3], v[0:1]
	s_movk_i32 s0, 0xffe0
	v_ldexp_f64 v[6:7], v[2:3], s0
	v_floor_f64_e32 v[6:7], v[6:7]
	v_fmac_f64_e32 v[2:3], 0xc1f00000, v[6:7]
	v_cvt_u32_f64_e32 v9, v[6:7]
	v_cvt_u32_f64_e32 v8, v[2:3]
	global_store_dwordx2 v[4:5], v[8:9], off
	s_mov_b64 s[6:7], -1
	s_mov_b64 s[0:1], 0
.LBB6_93:
	s_mov_b64 s[24:25], 0
.LBB6_94:
	s_and_b64 vcc, exec, s[24:25]
	s_cbranch_vccz .LBB6_110
; %bb.95:
	v_mov_b32_e32 v2, 27
	v_cmp_lt_i16_sdwa s[24:25], v18, v2 src0_sel:BYTE_0 src1_sel:DWORD
	s_mov_b64 s[6:7], -1
	s_and_b64 vcc, exec, s[24:25]
	s_cbranch_vccnz .LBB6_101
; %bb.96:
	v_cmp_gt_i16_sdwa s[24:25], v18, v2 src0_sel:BYTE_0 src1_sel:DWORD
	s_and_b64 vcc, exec, s[24:25]
	v_cvt_u32_f64_e32 v2, v[0:1]
	s_cbranch_vccz .LBB6_98
; %bb.97:
	s_mov_b64 s[6:7], 0
	global_store_dword v[4:5], v2, off
.LBB6_98:
	s_andn2_b64 vcc, exec, s[6:7]
	s_cbranch_vccnz .LBB6_100
; %bb.99:
	global_store_short v[4:5], v2, off
.LBB6_100:
	s_mov_b64 s[6:7], 0
.LBB6_101:
	s_andn2_b64 vcc, exec, s[6:7]
	s_cbranch_vccnz .LBB6_109
; %bb.102:
	v_cvt_f32_f64_e32 v2, v[0:1]
	v_and_b32_e32 v3, 0x7fffffff, v2
	s_mov_b32 s6, 0x43800000
	v_cmp_gt_u32_e32 vcc, s6, v3
	v_mov_b32_e32 v6, 0x80
	s_and_saveexec_b64 s[6:7], vcc
	s_cbranch_execz .LBB6_108
; %bb.103:
	s_mov_b32 s15, 0x3bffffff
	v_cmp_lt_u32_e32 vcc, s15, v3
	s_mov_b64 s[24:25], 0
                                        ; implicit-def: $vgpr3
	s_and_saveexec_b64 s[28:29], vcc
	s_xor_b64 s[28:29], exec, s[28:29]
	s_cbranch_execz .LBB6_269
; %bb.104:
	v_bfe_u32 v3, v2, 20, 1
	s_mov_b32 s15, 0x487ffff
	v_add3_u32 v3, v2, v3, s15
	s_mov_b64 s[24:25], exec
	v_lshrrev_b32_e32 v3, 20, v3
	s_or_saveexec_b64 s[28:29], s[28:29]
                                        ; implicit-def: $sgpr15
	s_xor_b64 exec, exec, s[28:29]
	s_cbranch_execnz .LBB6_270
.LBB6_105:
	s_or_b64 exec, exec, s[28:29]
	v_mov_b32_e32 v6, s15
	s_and_saveexec_b64 s[28:29], s[24:25]
.LBB6_106:
	v_lshrrev_b32_e32 v2, 24, v2
	s_movk_i32 s15, 0x80
	v_and_or_b32 v6, v2, s15, v3
.LBB6_107:
	s_or_b64 exec, exec, s[28:29]
.LBB6_108:
	s_or_b64 exec, exec, s[6:7]
	global_store_byte v[4:5], v6, off
.LBB6_109:
	s_mov_b64 s[6:7], -1
.LBB6_110:
	s_mov_b64 s[24:25], 0
.LBB6_111:
	s_and_b64 vcc, exec, s[24:25]
	s_cbranch_vccz .LBB6_152
; %bb.112:
	v_mov_b32_e32 v2, 22
	v_cmp_gt_i16_sdwa s[28:29], v18, v2 src0_sel:BYTE_0 src1_sel:DWORD
	s_mov_b64 s[24:25], -1
	s_and_b64 vcc, exec, s[28:29]
	s_cbranch_vccz .LBB6_144
; %bb.113:
	v_mov_b32_e32 v2, 24
	v_cmp_lt_i16_sdwa s[24:25], v18, v2 src0_sel:BYTE_0 src1_sel:DWORD
	s_mov_b64 s[6:7], -1
	s_and_b64 vcc, exec, s[24:25]
	s_cbranch_vccnz .LBB6_133
; %bb.114:
	v_cmp_gt_i16_sdwa s[24:25], v18, v2 src0_sel:BYTE_0 src1_sel:DWORD
	s_and_b64 vcc, exec, s[24:25]
	s_cbranch_vccz .LBB6_122
; %bb.115:
	v_cvt_f32_f64_e32 v2, v[0:1]
	v_and_b32_e32 v3, 0x7fffffff, v2
	s_mov_b32 s6, 0x47800000
	v_cmp_gt_u32_e32 vcc, s6, v3
	v_mov_b32_e32 v6, 0x80
	s_and_saveexec_b64 s[6:7], vcc
	s_cbranch_execz .LBB6_121
; %bb.116:
	s_mov_b32 s15, 0x37ffffff
	v_cmp_lt_u32_e32 vcc, s15, v3
	s_mov_b64 s[24:25], 0
                                        ; implicit-def: $vgpr3
	s_and_saveexec_b64 s[28:29], vcc
	s_xor_b64 s[28:29], exec, s[28:29]
	s_cbranch_execz .LBB6_530
; %bb.117:
	v_bfe_u32 v3, v2, 21, 1
	s_mov_b32 s15, 0x88fffff
	v_add3_u32 v3, v2, v3, s15
	s_mov_b64 s[24:25], exec
	v_lshrrev_b32_e32 v3, 21, v3
	s_or_saveexec_b64 s[28:29], s[28:29]
                                        ; implicit-def: $sgpr15
	s_xor_b64 exec, exec, s[28:29]
	s_cbranch_execnz .LBB6_531
.LBB6_118:
	s_or_b64 exec, exec, s[28:29]
	v_mov_b32_e32 v6, s15
	s_and_saveexec_b64 s[28:29], s[24:25]
.LBB6_119:
	v_lshrrev_b32_e32 v2, 24, v2
	s_movk_i32 s15, 0x80
	v_and_or_b32 v6, v2, s15, v3
.LBB6_120:
	s_or_b64 exec, exec, s[28:29]
.LBB6_121:
	s_or_b64 exec, exec, s[6:7]
	s_mov_b64 s[6:7], 0
	global_store_byte v[4:5], v6, off
.LBB6_122:
	s_and_b64 vcc, exec, s[6:7]
	s_cbranch_vccz .LBB6_132
; %bb.123:
	v_cvt_f32_f64_e32 v2, v[0:1]
	v_and_b32_e32 v6, 0x7fffffff, v2
	s_mov_b32 s6, 0x43f00000
	v_cmp_gt_u32_e32 vcc, s6, v6
                                        ; implicit-def: $vgpr3
	s_and_saveexec_b64 s[6:7], vcc
	s_xor_b64 s[6:7], exec, s[6:7]
	s_cbranch_execz .LBB6_129
; %bb.124:
	s_mov_b32 s15, 0x3c7fffff
	v_cmp_lt_u32_e32 vcc, s15, v6
                                        ; implicit-def: $vgpr3
	s_and_saveexec_b64 s[24:25], vcc
	s_xor_b64 s[24:25], exec, s[24:25]
; %bb.125:
	v_bfe_u32 v3, v2, 20, 1
	s_mov_b32 s15, 0x407ffff
	v_add3_u32 v3, v2, v3, s15
	v_lshrrev_b32_e32 v6, 20, v3
	v_and_b32_e32 v3, 0xff00000, v3
	s_mov_b32 s15, 0x7f00000
	v_mov_b32_e32 v7, 0x7e
	v_cmp_ne_u32_e32 vcc, s15, v3
	v_cndmask_b32_e32 v3, v7, v6, vcc
; %bb.126:
	s_andn2_saveexec_b64 s[24:25], s[24:25]
; %bb.127:
	s_mov_b32 s15, 0x46800000
	v_add_f32_e64 v3, |v2|, s15
; %bb.128:
	s_or_b64 exec, exec, s[24:25]
                                        ; implicit-def: $vgpr6
.LBB6_129:
	s_andn2_saveexec_b64 s[6:7], s[6:7]
; %bb.130:
	s_mov_b32 s15, 0x7f800000
	v_mov_b32_e32 v3, 0x7e
	v_mov_b32_e32 v7, 0x7f
	v_cmp_lt_u32_e32 vcc, s15, v6
	v_cndmask_b32_e32 v3, v3, v7, vcc
; %bb.131:
	s_or_b64 exec, exec, s[6:7]
	v_lshrrev_b32_e32 v2, 24, v2
	s_movk_i32 s6, 0x80
	v_and_or_b32 v2, v2, s6, v3
	global_store_byte v[4:5], v2, off
.LBB6_132:
	s_mov_b64 s[6:7], 0
.LBB6_133:
	s_andn2_b64 vcc, exec, s[6:7]
	s_cbranch_vccnz .LBB6_143
; %bb.134:
	v_cvt_f32_f64_e32 v2, v[0:1]
	v_and_b32_e32 v6, 0x7fffffff, v2
	s_mov_b32 s6, 0x47800000
	v_cmp_gt_u32_e32 vcc, s6, v6
                                        ; implicit-def: $vgpr3
	s_and_saveexec_b64 s[6:7], vcc
	s_xor_b64 s[6:7], exec, s[6:7]
	s_cbranch_execz .LBB6_140
; %bb.135:
	s_mov_b32 s15, 0x387fffff
	v_cmp_lt_u32_e32 vcc, s15, v6
                                        ; implicit-def: $vgpr3
	s_and_saveexec_b64 s[24:25], vcc
	s_xor_b64 s[24:25], exec, s[24:25]
; %bb.136:
	v_bfe_u32 v3, v2, 21, 1
	s_mov_b32 s15, 0x80fffff
	v_add3_u32 v3, v2, v3, s15
	v_lshrrev_b32_e32 v3, 21, v3
; %bb.137:
	s_andn2_saveexec_b64 s[24:25], s[24:25]
; %bb.138:
	s_mov_b32 s15, 0x43000000
	v_add_f32_e64 v3, |v2|, s15
; %bb.139:
	s_or_b64 exec, exec, s[24:25]
                                        ; implicit-def: $vgpr6
.LBB6_140:
	s_andn2_saveexec_b64 s[6:7], s[6:7]
; %bb.141:
	s_mov_b32 s15, 0x7f800000
	v_mov_b32_e32 v3, 0x7c
	v_mov_b32_e32 v7, 0x7f
	v_cmp_lt_u32_e32 vcc, s15, v6
	v_cndmask_b32_e32 v3, v3, v7, vcc
; %bb.142:
	s_or_b64 exec, exec, s[6:7]
	v_lshrrev_b32_e32 v2, 24, v2
	s_movk_i32 s6, 0x80
	v_and_or_b32 v2, v2, s6, v3
	global_store_byte v[4:5], v2, off
.LBB6_143:
	s_mov_b64 s[24:25], 0
	s_mov_b64 s[6:7], -1
.LBB6_144:
	s_andn2_b64 vcc, exec, s[24:25]
	s_cbranch_vccnz .LBB6_152
; %bb.145:
	v_mov_b32_e32 v2, 14
	v_cmp_gt_i16_sdwa s[28:29], v18, v2 src0_sel:BYTE_0 src1_sel:DWORD
	s_mov_b64 s[24:25], -1
	s_and_b64 vcc, exec, s[28:29]
	s_cbranch_vccz .LBB6_149
; %bb.146:
	v_mov_b32_e32 v2, 15
	v_cmp_eq_u16_sdwa s[24:25], v18, v2 src0_sel:BYTE_0 src1_sel:DWORD
	s_mov_b64 s[0:1], -1
	s_and_b64 vcc, exec, s[24:25]
	s_cbranch_vccz .LBB6_148
; %bb.147:
	v_cvt_f32_f64_e32 v2, v[0:1]
	v_bfe_u32 v3, v2, 16, 1
	s_movk_i32 s0, 0x7fff
	v_add3_u32 v3, v2, v3, s0
	v_lshrrev_b32_e32 v3, 16, v3
	v_mov_b32_e32 v6, 0x7fc0
	v_cmp_o_f32_e32 vcc, v2, v2
	v_cndmask_b32_e32 v2, v6, v3, vcc
	global_store_short v[4:5], v2, off
	s_mov_b64 s[6:7], -1
	s_mov_b64 s[0:1], 0
.LBB6_148:
	s_mov_b64 s[24:25], 0
.LBB6_149:
	s_and_b64 vcc, exec, s[24:25]
	s_cbranch_vccz .LBB6_152
; %bb.150:
	v_mov_b32_e32 v2, 11
	v_cmp_eq_u16_sdwa s[24:25], v18, v2 src0_sel:BYTE_0 src1_sel:DWORD
	s_mov_b64 s[0:1], -1
	s_and_b64 vcc, exec, s[24:25]
	s_cbranch_vccz .LBB6_152
; %bb.151:
	v_cmp_neq_f64_e32 vcc, 0, v[0:1]
	s_mov_b64 s[0:1], 0
	v_cndmask_b32_e64 v2, 0, 1, vcc
	s_mov_b64 s[6:7], -1
	global_store_byte v[4:5], v2, off
.LBB6_152:
.LBB6_153:
	s_andn2_b64 vcc, exec, s[6:7]
	s_cbranch_vccnz .LBB6_74
.LBB6_154:
	v_add_u32_e32 v19, 0x80, v19
	s_mov_b64 s[24:25], -1
	s_branch .LBB6_383
.LBB6_155:
	s_mov_b64 s[20:21], -1
                                        ; implicit-def: $vgpr0_vgpr1
.LBB6_156:
	s_mov_b64 s[6:7], 0
.LBB6_157:
	s_and_b64 vcc, exec, s[6:7]
	s_cbranch_vccz .LBB6_161
; %bb.158:
	v_mov_b32_e32 v0, 29
	v_cmp_eq_u16_sdwa s[6:7], v16, v0 src0_sel:BYTE_0 src1_sel:DWORD
	s_and_b64 vcc, exec, s[6:7]
	s_cbranch_vccz .LBB6_160
; %bb.159:
	global_load_dwordx2 v[0:1], v[2:3], off
	s_mov_b64 s[0:1], -1
	s_mov_b64 s[20:21], 0
	s_mov_b64 s[6:7], 0
	s_waitcnt vmcnt(0)
	v_cvt_f64_u32_e32 v[4:5], v1
	v_cvt_f64_u32_e32 v[0:1], v0
	v_ldexp_f64 v[4:5], v[4:5], 32
	v_add_f64 v[0:1], v[4:5], v[0:1]
	s_branch .LBB6_162
.LBB6_160:
	s_mov_b64 s[20:21], -1
                                        ; implicit-def: $vgpr0_vgpr1
.LBB6_161:
	s_mov_b64 s[6:7], 0
.LBB6_162:
	s_and_b64 vcc, exec, s[6:7]
	s_cbranch_vccz .LBB6_180
; %bb.163:
	v_mov_b32_e32 v0, 27
	v_cmp_lt_i16_sdwa s[0:1], v16, v0 src0_sel:BYTE_0 src1_sel:DWORD
	s_and_b64 vcc, exec, s[0:1]
	s_cbranch_vccnz .LBB6_166
; %bb.164:
	v_cmp_gt_i16_sdwa s[0:1], v16, v0 src0_sel:BYTE_0 src1_sel:DWORD
	s_and_b64 vcc, exec, s[0:1]
	s_cbranch_vccz .LBB6_167
; %bb.165:
	global_load_dword v0, v[2:3], off
	s_mov_b64 s[0:1], 0
	s_waitcnt vmcnt(0)
	v_cvt_f64_u32_e32 v[0:1], v0
	s_branch .LBB6_168
.LBB6_166:
	s_mov_b64 s[0:1], -1
                                        ; implicit-def: $vgpr0_vgpr1
	s_branch .LBB6_171
.LBB6_167:
	s_mov_b64 s[0:1], -1
                                        ; implicit-def: $vgpr0_vgpr1
.LBB6_168:
	s_andn2_b64 vcc, exec, s[0:1]
	s_cbranch_vccnz .LBB6_170
; %bb.169:
	global_load_ushort v0, v[2:3], off
	s_waitcnt vmcnt(0)
	v_cvt_f64_u32_e32 v[0:1], v0
.LBB6_170:
	s_mov_b64 s[0:1], 0
.LBB6_171:
	s_andn2_b64 vcc, exec, s[0:1]
	s_cbranch_vccnz .LBB6_179
; %bb.172:
	global_load_ubyte v4, v[2:3], off
	s_movk_i32 s0, 0x7f
                                        ; implicit-def: $sgpr6_sgpr7
	s_waitcnt vmcnt(0)
	v_cmp_lt_i16_e32 vcc, s0, v4
	s_mov_b64 s[0:1], 0
	s_and_saveexec_b64 s[18:19], vcc
	s_xor_b64 s[18:19], exec, s[18:19]
	s_cbranch_execz .LBB6_192
; %bb.173:
	s_movk_i32 s0, 0x80
	v_cmp_eq_u16_e32 vcc, s0, v4
	s_mov_b64 s[24:25], -1
                                        ; implicit-def: $sgpr6_sgpr7
	s_and_saveexec_b64 s[0:1], vcc
; %bb.174:
	s_mov_b32 s7, 0x7ff80000
	s_brev_b32 s6, 4
	s_xor_b64 s[24:25], exec, -1
; %bb.175:
	s_or_b64 exec, exec, s[0:1]
	s_and_b64 s[0:1], s[24:25], exec
	s_or_saveexec_b64 s[18:19], s[18:19]
	v_pk_mov_b32 v[0:1], s[6:7], s[6:7] op_sel:[0,1]
	s_xor_b64 exec, exec, s[18:19]
	s_cbranch_execnz .LBB6_193
.LBB6_176:
	s_or_b64 exec, exec, s[18:19]
	s_and_saveexec_b64 s[6:7], s[0:1]
	s_cbranch_execz .LBB6_178
.LBB6_177:
	v_and_b32_e32 v1, 0xffff, v4
	v_lshlrev_b32_e32 v0, 24, v4
	v_and_b32_e32 v4, 7, v1
	v_ffbh_u32_e32 v6, v4
	v_min_u32_e32 v6, 32, v6
	v_subrev_u32_e32 v7, 28, v6
	v_bfe_u32 v5, v1, 3, 4
	v_lshlrev_b32_e32 v1, v7, v1
	v_sub_u32_e32 v6, 29, v6
	v_and_b32_e32 v1, 7, v1
	v_cmp_eq_u32_e32 vcc, 0, v5
	v_cndmask_b32_e32 v5, v5, v6, vcc
	v_cndmask_b32_e32 v1, v4, v1, vcc
	v_mov_b32_e32 v4, 0x3b800000
	v_lshlrev_b32_e32 v1, 20, v1
	v_and_b32_e32 v0, 0x80000000, v0
	v_lshl_add_u32 v4, v5, 23, v4
	v_or3_b32 v0, v0, v4, v1
	v_cvt_f64_f32_e32 v[0:1], v0
.LBB6_178:
	s_or_b64 exec, exec, s[6:7]
.LBB6_179:
	s_mov_b64 s[0:1], -1
.LBB6_180:
	s_branch .LBB6_215
.LBB6_181:
	v_mov_b32_e32 v0, 22
	v_cmp_gt_i16_sdwa s[6:7], v16, v0 src0_sel:BYTE_0 src1_sel:DWORD
	s_and_b64 vcc, exec, s[6:7]
	s_cbranch_vccz .LBB6_191
; %bb.182:
	v_mov_b32_e32 v0, 24
	v_cmp_lt_i16_sdwa s[0:1], v16, v0 src0_sel:BYTE_0 src1_sel:DWORD
	s_and_b64 vcc, exec, s[0:1]
	s_cbranch_vccnz .LBB6_194
; %bb.183:
	v_cmp_gt_i16_sdwa s[0:1], v16, v0 src0_sel:BYTE_0 src1_sel:DWORD
	s_and_b64 vcc, exec, s[0:1]
	s_cbranch_vccz .LBB6_195
; %bb.184:
	global_load_ubyte v4, v[2:3], off
	s_movk_i32 s0, 0x7f
                                        ; implicit-def: $sgpr6_sgpr7
	s_waitcnt vmcnt(0)
	v_cmp_lt_i16_e32 vcc, s0, v4
	s_mov_b64 s[0:1], 0
	s_and_saveexec_b64 s[18:19], vcc
	s_xor_b64 s[18:19], exec, s[18:19]
	s_cbranch_execz .LBB6_207
; %bb.185:
	s_movk_i32 s0, 0x80
	v_cmp_eq_u16_e32 vcc, s0, v4
	s_mov_b64 s[24:25], -1
                                        ; implicit-def: $sgpr6_sgpr7
	s_and_saveexec_b64 s[0:1], vcc
; %bb.186:
	s_mov_b32 s7, 0x7ff80000
	s_brev_b32 s6, 4
	s_xor_b64 s[24:25], exec, -1
; %bb.187:
	s_or_b64 exec, exec, s[0:1]
	s_and_b64 s[0:1], s[24:25], exec
	s_or_saveexec_b64 s[18:19], s[18:19]
	v_pk_mov_b32 v[0:1], s[6:7], s[6:7] op_sel:[0,1]
	s_xor_b64 exec, exec, s[18:19]
	s_cbranch_execnz .LBB6_208
.LBB6_188:
	s_or_b64 exec, exec, s[18:19]
	s_and_saveexec_b64 s[6:7], s[0:1]
	s_cbranch_execz .LBB6_190
.LBB6_189:
	v_and_b32_e32 v1, 0xffff, v4
	v_lshlrev_b32_e32 v0, 24, v4
	v_and_b32_e32 v4, 3, v1
	v_ffbh_u32_e32 v6, v4
	v_min_u32_e32 v6, 32, v6
	v_subrev_u32_e32 v7, 29, v6
	v_bfe_u32 v5, v1, 2, 5
	v_lshlrev_b32_e32 v1, v7, v1
	v_sub_u32_e32 v6, 30, v6
	v_and_b32_e32 v1, 3, v1
	v_cmp_eq_u32_e32 vcc, 0, v5
	v_cndmask_b32_e32 v5, v5, v6, vcc
	v_cndmask_b32_e32 v1, v4, v1, vcc
	v_mov_b32_e32 v4, 0x37800000
	v_lshlrev_b32_e32 v1, 21, v1
	v_and_b32_e32 v0, 0x80000000, v0
	v_lshl_add_u32 v4, v5, 23, v4
	v_or3_b32 v0, v0, v4, v1
	v_cvt_f64_f32_e32 v[0:1], v0
.LBB6_190:
	s_or_b64 exec, exec, s[6:7]
	s_mov_b64 s[0:1], 0
	s_branch .LBB6_196
.LBB6_191:
	s_mov_b64 s[6:7], -1
                                        ; implicit-def: $vgpr0_vgpr1
	s_branch .LBB6_202
.LBB6_192:
	s_or_saveexec_b64 s[18:19], s[18:19]
	v_pk_mov_b32 v[0:1], s[6:7], s[6:7] op_sel:[0,1]
	s_xor_b64 exec, exec, s[18:19]
	s_cbranch_execz .LBB6_176
.LBB6_193:
	v_cmp_ne_u16_e32 vcc, 0, v4
	s_andn2_b64 s[0:1], s[0:1], exec
	s_and_b64 s[6:7], vcc, exec
	v_pk_mov_b32 v[0:1], 0, 0
	s_or_b64 s[0:1], s[0:1], s[6:7]
	s_or_b64 exec, exec, s[18:19]
	s_and_saveexec_b64 s[6:7], s[0:1]
	s_cbranch_execnz .LBB6_177
	s_branch .LBB6_178
.LBB6_194:
	s_mov_b64 s[0:1], -1
                                        ; implicit-def: $vgpr0_vgpr1
	s_branch .LBB6_199
.LBB6_195:
	s_mov_b64 s[0:1], -1
                                        ; implicit-def: $vgpr0_vgpr1
.LBB6_196:
	s_and_b64 vcc, exec, s[0:1]
	s_cbranch_vccz .LBB6_198
; %bb.197:
	global_load_ubyte v0, v[2:3], off
	s_mov_b32 s0, 0x7f800000
	s_waitcnt vmcnt(0)
	v_lshlrev_b32_e32 v0, 24, v0
	v_and_b32_e32 v1, 0x7f000000, v0
	v_ffbh_u32_e32 v4, v1
	v_min_u32_e32 v4, 32, v4
	v_sub_u32_e64 v4, v4, 4 clamp
	v_lshlrev_b32_e32 v6, v4, v1
	v_lshlrev_b32_e32 v4, 23, v4
	v_lshrrev_b32_e32 v6, 4, v6
	v_add_u32_e32 v5, 0x1000000, v1
	v_sub_u32_e32 v4, v6, v4
	v_ashrrev_i32_e32 v5, 8, v5
	v_add_u32_e32 v4, 0x3c000000, v4
	v_and_or_b32 v4, v5, s0, v4
	v_cmp_ne_u32_e32 vcc, 0, v1
	v_cndmask_b32_e32 v1, 0, v4, vcc
	s_brev_b32 s0, 1
	v_and_or_b32 v0, v0, s0, v1
	v_cvt_f64_f32_e32 v[0:1], v0
.LBB6_198:
	s_mov_b64 s[0:1], 0
.LBB6_199:
	s_andn2_b64 vcc, exec, s[0:1]
	s_cbranch_vccnz .LBB6_201
; %bb.200:
	global_load_ubyte v0, v[2:3], off
	s_movk_i32 s0, 0x7f00
	s_brev_b32 s1, 16
	s_waitcnt vmcnt(0)
	v_lshlrev_b16_e32 v1, 8, v0
	v_lshlrev_b32_e32 v0, 25, v0
	v_lshrrev_b32_e32 v4, 4, v0
	v_and_or_b32 v5, v1, s0, 0.5
	v_or_b32_e32 v4, 0x70000000, v4
	v_add_f32_e32 v5, -0.5, v5
	v_mul_f32_e32 v4, 0x7800000, v4
	v_cmp_gt_u32_e32 vcc, s1, v0
	v_bfe_i32 v1, v1, 0, 16
	v_cndmask_b32_e32 v0, v4, v5, vcc
	s_brev_b32 s0, 1
	v_and_or_b32 v0, v1, s0, v0
	v_cvt_f64_f32_e32 v[0:1], v0
.LBB6_201:
	s_mov_b64 s[6:7], 0
	s_mov_b64 s[0:1], -1
.LBB6_202:
	s_andn2_b64 vcc, exec, s[6:7]
	s_cbranch_vccnz .LBB6_215
; %bb.203:
	v_mov_b32_e32 v0, 14
	v_cmp_gt_i16_sdwa s[6:7], v16, v0 src0_sel:BYTE_0 src1_sel:DWORD
	s_and_b64 vcc, exec, s[6:7]
	s_cbranch_vccz .LBB6_206
; %bb.204:
	v_mov_b32_e32 v0, 15
	v_cmp_eq_u16_sdwa s[6:7], v16, v0 src0_sel:BYTE_0 src1_sel:DWORD
	s_and_b64 vcc, exec, s[6:7]
	s_cbranch_vccz .LBB6_209
; %bb.205:
	global_load_ushort v0, v[2:3], off
	s_mov_b64 s[0:1], -1
	s_mov_b64 s[20:21], 0
	s_waitcnt vmcnt(0)
	v_lshlrev_b32_e32 v0, 16, v0
	v_cvt_f64_f32_e32 v[0:1], v0
	s_branch .LBB6_210
.LBB6_206:
	s_mov_b64 s[6:7], -1
                                        ; implicit-def: $vgpr0_vgpr1
	s_branch .LBB6_211
.LBB6_207:
	s_or_saveexec_b64 s[18:19], s[18:19]
	v_pk_mov_b32 v[0:1], s[6:7], s[6:7] op_sel:[0,1]
	s_xor_b64 exec, exec, s[18:19]
	s_cbranch_execz .LBB6_188
.LBB6_208:
	v_cmp_ne_u16_e32 vcc, 0, v4
	s_andn2_b64 s[0:1], s[0:1], exec
	s_and_b64 s[6:7], vcc, exec
	v_pk_mov_b32 v[0:1], 0, 0
	s_or_b64 s[0:1], s[0:1], s[6:7]
	s_or_b64 exec, exec, s[18:19]
	s_and_saveexec_b64 s[6:7], s[0:1]
	s_cbranch_execnz .LBB6_189
	s_branch .LBB6_190
.LBB6_209:
	s_mov_b64 s[20:21], -1
                                        ; implicit-def: $vgpr0_vgpr1
.LBB6_210:
	s_mov_b64 s[6:7], 0
.LBB6_211:
	s_and_b64 vcc, exec, s[6:7]
	s_cbranch_vccz .LBB6_215
; %bb.212:
	v_mov_b32_e32 v0, 11
	v_cmp_eq_u16_sdwa s[6:7], v16, v0 src0_sel:BYTE_0 src1_sel:DWORD
	s_and_b64 vcc, exec, s[6:7]
	s_cbranch_vccz .LBB6_214
; %bb.213:
	global_load_ubyte v1, v[2:3], off
	v_mov_b32_e32 v4, 0x3ff00000
	v_mov_b32_e32 v0, 0
	s_mov_b64 s[0:1], -1
	s_mov_b64 s[20:21], 0
	s_waitcnt vmcnt(0)
	v_cmp_ne_u16_e32 vcc, 0, v1
	v_cndmask_b32_e32 v1, 0, v4, vcc
	s_branch .LBB6_215
.LBB6_214:
	s_mov_b64 s[20:21], -1
                                        ; implicit-def: $vgpr0_vgpr1
.LBB6_215:
	s_branch .LBB6_10
.LBB6_216:
	v_mov_b32_e32 v0, 5
	v_cmp_lt_i16_sdwa s[0:1], v16, v0 src0_sel:BYTE_0 src1_sel:DWORD
	s_and_b64 vcc, exec, s[0:1]
	s_cbranch_vccnz .LBB6_221
; %bb.217:
	v_mov_b32_e32 v0, 8
	v_cmp_lt_i16_sdwa s[0:1], v16, v0 src0_sel:BYTE_0 src1_sel:DWORD
	s_and_b64 vcc, exec, s[0:1]
	s_cbranch_vccnz .LBB6_222
; %bb.218:
	;; [unrolled: 5-line block ×3, first 2 shown]
	v_cmp_gt_i16_sdwa s[0:1], v16, v0 src0_sel:BYTE_0 src1_sel:DWORD
	s_and_b64 vcc, exec, s[0:1]
	s_cbranch_vccz .LBB6_224
; %bb.220:
	global_load_dwordx2 v[0:1], v[2:3], off
	s_mov_b64 s[0:1], 0
	s_branch .LBB6_225
.LBB6_221:
                                        ; implicit-def: $vgpr0_vgpr1
	s_branch .LBB6_243
.LBB6_222:
	s_mov_b64 s[0:1], -1
                                        ; implicit-def: $vgpr0_vgpr1
	s_branch .LBB6_231
.LBB6_223:
	s_mov_b64 s[0:1], -1
                                        ; implicit-def: $vgpr0_vgpr1
	s_branch .LBB6_228
.LBB6_224:
	s_mov_b64 s[0:1], -1
                                        ; implicit-def: $vgpr0_vgpr1
.LBB6_225:
	s_andn2_b64 vcc, exec, s[0:1]
	s_cbranch_vccnz .LBB6_227
; %bb.226:
	global_load_dword v0, v[2:3], off
	s_waitcnt vmcnt(0)
	v_cvt_f64_f32_e32 v[0:1], v0
.LBB6_227:
	s_mov_b64 s[0:1], 0
.LBB6_228:
	s_andn2_b64 vcc, exec, s[0:1]
	s_cbranch_vccnz .LBB6_230
; %bb.229:
	global_load_dword v0, v[2:3], off
	s_waitcnt vmcnt(0)
	v_cvt_f32_f16_e32 v0, v0
	v_cvt_f64_f32_e32 v[0:1], v0
.LBB6_230:
	s_mov_b64 s[0:1], 0
.LBB6_231:
	s_andn2_b64 vcc, exec, s[0:1]
	s_cbranch_vccnz .LBB6_242
; %bb.232:
	s_waitcnt vmcnt(0)
	v_mov_b32_e32 v0, 6
	v_cmp_lt_i16_sdwa s[0:1], v16, v0 src0_sel:BYTE_0 src1_sel:DWORD
	s_and_b64 vcc, exec, s[0:1]
	s_cbranch_vccnz .LBB6_235
; %bb.233:
	v_cmp_gt_i16_sdwa s[0:1], v16, v0 src0_sel:BYTE_0 src1_sel:DWORD
	s_and_b64 vcc, exec, s[0:1]
	s_cbranch_vccz .LBB6_236
; %bb.234:
	global_load_dwordx2 v[0:1], v[2:3], off
	s_mov_b64 s[0:1], 0
	s_branch .LBB6_237
.LBB6_235:
	s_mov_b64 s[0:1], -1
                                        ; implicit-def: $vgpr0_vgpr1
	s_branch .LBB6_240
.LBB6_236:
	s_mov_b64 s[0:1], -1
                                        ; implicit-def: $vgpr0_vgpr1
.LBB6_237:
	s_andn2_b64 vcc, exec, s[0:1]
	s_cbranch_vccnz .LBB6_239
; %bb.238:
	global_load_dword v0, v[2:3], off
	s_waitcnt vmcnt(0)
	v_cvt_f64_f32_e32 v[0:1], v0
.LBB6_239:
	s_mov_b64 s[0:1], 0
.LBB6_240:
	s_andn2_b64 vcc, exec, s[0:1]
	s_cbranch_vccnz .LBB6_242
; %bb.241:
	global_load_ushort v0, v[2:3], off
	s_waitcnt vmcnt(0)
	v_cvt_f32_f16_e32 v0, v0
	v_cvt_f64_f32_e32 v[0:1], v0
.LBB6_242:
	s_cbranch_execnz .LBB6_262
.LBB6_243:
	s_waitcnt vmcnt(0)
	v_mov_b32_e32 v0, 2
	v_cmp_lt_i16_sdwa s[0:1], v16, v0 src0_sel:BYTE_0 src1_sel:DWORD
	s_and_b64 vcc, exec, s[0:1]
	s_cbranch_vccnz .LBB6_247
; %bb.244:
	v_mov_b32_e32 v0, 3
	v_cmp_lt_i16_sdwa s[0:1], v16, v0 src0_sel:BYTE_0 src1_sel:DWORD
	s_and_b64 vcc, exec, s[0:1]
	s_cbranch_vccnz .LBB6_248
; %bb.245:
	v_cmp_gt_i16_sdwa s[0:1], v16, v0 src0_sel:BYTE_0 src1_sel:DWORD
	s_and_b64 vcc, exec, s[0:1]
	s_cbranch_vccz .LBB6_249
; %bb.246:
	global_load_dwordx2 v[0:1], v[2:3], off
	s_mov_b64 s[0:1], 0
	s_waitcnt vmcnt(0)
	v_cvt_f64_i32_e32 v[4:5], v1
	v_cvt_f64_u32_e32 v[0:1], v0
	v_ldexp_f64 v[4:5], v[4:5], 32
	v_add_f64 v[0:1], v[4:5], v[0:1]
	s_branch .LBB6_250
.LBB6_247:
	s_mov_b64 s[0:1], -1
                                        ; implicit-def: $vgpr0_vgpr1
	s_branch .LBB6_256
.LBB6_248:
	s_mov_b64 s[0:1], -1
                                        ; implicit-def: $vgpr0_vgpr1
	s_branch .LBB6_253
.LBB6_249:
	s_mov_b64 s[0:1], -1
                                        ; implicit-def: $vgpr0_vgpr1
.LBB6_250:
	s_andn2_b64 vcc, exec, s[0:1]
	s_cbranch_vccnz .LBB6_252
; %bb.251:
	global_load_dword v0, v[2:3], off
	s_waitcnt vmcnt(0)
	v_cvt_f64_i32_e32 v[0:1], v0
.LBB6_252:
	s_mov_b64 s[0:1], 0
.LBB6_253:
	s_andn2_b64 vcc, exec, s[0:1]
	s_cbranch_vccnz .LBB6_255
; %bb.254:
	global_load_sshort v0, v[2:3], off
	s_waitcnt vmcnt(0)
	v_cvt_f64_i32_e32 v[0:1], v0
.LBB6_255:
	s_mov_b64 s[0:1], 0
.LBB6_256:
	s_andn2_b64 vcc, exec, s[0:1]
	s_cbranch_vccnz .LBB6_262
; %bb.257:
	v_mov_b32_e32 v0, 0
	v_cmp_gt_i16_sdwa s[0:1], v16, v0 src0_sel:BYTE_0 src1_sel:DWORD
	s_and_b64 vcc, exec, s[0:1]
	s_cbranch_vccz .LBB6_259
; %bb.258:
	global_load_sbyte v0, v[2:3], off
	s_mov_b64 s[0:1], 0
	s_waitcnt vmcnt(0)
	v_cvt_f64_i32_e32 v[0:1], v0
	s_branch .LBB6_260
.LBB6_259:
	s_mov_b64 s[0:1], -1
                                        ; implicit-def: $vgpr0_vgpr1
.LBB6_260:
	s_andn2_b64 vcc, exec, s[0:1]
	s_cbranch_vccnz .LBB6_262
; %bb.261:
	global_load_ubyte v0, v[2:3], off
	s_waitcnt vmcnt(0)
	v_cvt_f64_u32_e32 v[0:1], v0
.LBB6_262:
	s_branch .LBB6_11
.LBB6_263:
	s_mov_b64 s[0:1], 0
	s_mov_b64 s[18:19], 0
	s_branch .LBB6_382
.LBB6_264:
	s_mov_b64 s[18:19], -1
.LBB6_265:
	s_mov_b64 s[0:1], 0
                                        ; implicit-def: $vgpr4_vgpr5
.LBB6_266:
	s_and_b64 vcc, exec, s[6:7]
	s_cbranch_vccz .LBB6_272
; %bb.267:
	v_mov_b32_e32 v4, 44
	v_cmp_eq_u16_sdwa s[6:7], v20, v4 src0_sel:BYTE_0 src1_sel:DWORD
	s_and_b64 vcc, exec, s[6:7]
	s_cbranch_vccz .LBB6_271
; %bb.268:
	global_load_ubyte v6, v[2:3], off
	s_movk_i32 s6, 0xff
	v_bfrev_b32_e32 v7, 4
	v_mov_b32_e32 v8, 0x7ff80000
	v_bfrev_b32_e32 v9, 28
	s_mov_b64 s[0:1], -1
	s_mov_b64 s[18:19], 0
	s_waitcnt vmcnt(0)
	v_lshlrev_b32_e32 v4, 23, v6
	v_cvt_f64_f32_e32 v[4:5], v4
	v_cmp_ne_u32_e32 vcc, s6, v6
	v_cndmask_b32_e32 v4, v7, v4, vcc
	v_cndmask_b32_e32 v5, v8, v5, vcc
	v_cmp_ne_u32_e32 vcc, 0, v6
	v_cndmask_b32_e32 v5, v9, v5, vcc
	v_cndmask_b32_e32 v4, 0, v4, vcc
	s_branch .LBB6_272
.LBB6_269:
	s_or_saveexec_b64 s[28:29], s[28:29]
                                        ; implicit-def: $sgpr15
	s_xor_b64 exec, exec, s[28:29]
	s_cbranch_execz .LBB6_105
.LBB6_270:
	s_mov_b32 s15, 0x46000000
	v_add_f32_e64 v3, |v2|, s15
	v_and_b32_e32 v3, 0xff, v3
	v_cmp_ne_u32_e32 vcc, 0, v3
	s_andn2_b64 s[24:25], s[24:25], exec
	s_and_b64 s[30:31], vcc, exec
	s_mov_b32 s15, 0
	s_or_b64 s[24:25], s[24:25], s[30:31]
	s_or_b64 exec, exec, s[28:29]
	v_mov_b32_e32 v6, s15
	s_and_saveexec_b64 s[28:29], s[24:25]
	s_cbranch_execnz .LBB6_106
	s_branch .LBB6_107
.LBB6_271:
	s_mov_b64 s[18:19], -1
                                        ; implicit-def: $vgpr4_vgpr5
.LBB6_272:
	s_mov_b64 s[6:7], 0
.LBB6_273:
	s_and_b64 vcc, exec, s[6:7]
	s_cbranch_vccz .LBB6_277
; %bb.274:
	v_mov_b32_e32 v4, 29
	v_cmp_eq_u16_sdwa s[6:7], v20, v4 src0_sel:BYTE_0 src1_sel:DWORD
	s_and_b64 vcc, exec, s[6:7]
	s_cbranch_vccz .LBB6_276
; %bb.275:
	global_load_dwordx2 v[4:5], v[2:3], off
	s_mov_b64 s[0:1], -1
	s_mov_b64 s[18:19], 0
	s_mov_b64 s[6:7], 0
	s_waitcnt vmcnt(0)
	v_cvt_f64_u32_e32 v[6:7], v5
	v_cvt_f64_u32_e32 v[4:5], v4
	v_ldexp_f64 v[6:7], v[6:7], 32
	v_add_f64 v[4:5], v[6:7], v[4:5]
	s_branch .LBB6_278
.LBB6_276:
	s_mov_b64 s[18:19], -1
                                        ; implicit-def: $vgpr4_vgpr5
.LBB6_277:
	s_mov_b64 s[6:7], 0
.LBB6_278:
	s_and_b64 vcc, exec, s[6:7]
	s_cbranch_vccz .LBB6_296
; %bb.279:
	v_mov_b32_e32 v4, 27
	v_cmp_lt_i16_sdwa s[0:1], v20, v4 src0_sel:BYTE_0 src1_sel:DWORD
	s_and_b64 vcc, exec, s[0:1]
	s_cbranch_vccnz .LBB6_282
; %bb.280:
	v_cmp_gt_i16_sdwa s[0:1], v20, v4 src0_sel:BYTE_0 src1_sel:DWORD
	s_and_b64 vcc, exec, s[0:1]
	s_cbranch_vccz .LBB6_283
; %bb.281:
	global_load_dword v4, v[2:3], off
	s_mov_b64 s[0:1], 0
	s_waitcnt vmcnt(0)
	v_cvt_f64_u32_e32 v[4:5], v4
	s_branch .LBB6_284
.LBB6_282:
	s_mov_b64 s[0:1], -1
                                        ; implicit-def: $vgpr4_vgpr5
	s_branch .LBB6_287
.LBB6_283:
	s_mov_b64 s[0:1], -1
                                        ; implicit-def: $vgpr4_vgpr5
.LBB6_284:
	s_andn2_b64 vcc, exec, s[0:1]
	s_cbranch_vccnz .LBB6_286
; %bb.285:
	global_load_ushort v4, v[2:3], off
	s_waitcnt vmcnt(0)
	v_cvt_f64_u32_e32 v[4:5], v4
.LBB6_286:
	s_mov_b64 s[0:1], 0
.LBB6_287:
	s_andn2_b64 vcc, exec, s[0:1]
	s_cbranch_vccnz .LBB6_295
; %bb.288:
	global_load_ubyte v6, v[2:3], off
	s_movk_i32 s0, 0x7f
                                        ; implicit-def: $sgpr6_sgpr7
	s_waitcnt vmcnt(0)
	v_cmp_lt_i16_e32 vcc, s0, v6
	s_mov_b64 s[0:1], 0
	s_and_saveexec_b64 s[24:25], vcc
	s_xor_b64 s[24:25], exec, s[24:25]
	s_cbranch_execz .LBB6_309
; %bb.289:
	s_movk_i32 s0, 0x80
	v_cmp_eq_u16_e32 vcc, s0, v6
	s_mov_b64 s[28:29], -1
                                        ; implicit-def: $sgpr6_sgpr7
	s_and_saveexec_b64 s[0:1], vcc
; %bb.290:
	s_mov_b32 s7, 0x7ff80000
	s_brev_b32 s6, 4
	s_xor_b64 s[28:29], exec, -1
; %bb.291:
	s_or_b64 exec, exec, s[0:1]
	s_and_b64 s[0:1], s[28:29], exec
	s_or_saveexec_b64 s[24:25], s[24:25]
	v_pk_mov_b32 v[4:5], s[6:7], s[6:7] op_sel:[0,1]
	s_xor_b64 exec, exec, s[24:25]
	s_cbranch_execnz .LBB6_310
.LBB6_292:
	s_or_b64 exec, exec, s[24:25]
	s_and_saveexec_b64 s[6:7], s[0:1]
	s_cbranch_execz .LBB6_294
.LBB6_293:
	v_and_b32_e32 v5, 0xffff, v6
	v_lshlrev_b32_e32 v4, 24, v6
	v_and_b32_e32 v6, 7, v5
	v_ffbh_u32_e32 v8, v6
	v_min_u32_e32 v8, 32, v8
	v_subrev_u32_e32 v9, 28, v8
	v_bfe_u32 v7, v5, 3, 4
	v_lshlrev_b32_e32 v5, v9, v5
	v_sub_u32_e32 v8, 29, v8
	v_and_b32_e32 v5, 7, v5
	v_cmp_eq_u32_e32 vcc, 0, v7
	v_cndmask_b32_e32 v7, v7, v8, vcc
	v_cndmask_b32_e32 v5, v6, v5, vcc
	v_mov_b32_e32 v6, 0x3b800000
	v_lshlrev_b32_e32 v5, 20, v5
	v_and_b32_e32 v4, 0x80000000, v4
	v_lshl_add_u32 v6, v7, 23, v6
	v_or3_b32 v4, v4, v6, v5
	v_cvt_f64_f32_e32 v[4:5], v4
.LBB6_294:
	s_or_b64 exec, exec, s[6:7]
.LBB6_295:
	s_mov_b64 s[0:1], -1
.LBB6_296:
	s_mov_b64 s[6:7], 0
.LBB6_297:
	s_and_b64 vcc, exec, s[6:7]
	s_cbranch_vccz .LBB6_332
; %bb.298:
	v_mov_b32_e32 v4, 22
	v_cmp_gt_i16_sdwa s[6:7], v20, v4 src0_sel:BYTE_0 src1_sel:DWORD
	s_and_b64 vcc, exec, s[6:7]
	s_cbranch_vccz .LBB6_308
; %bb.299:
	v_mov_b32_e32 v4, 24
	v_cmp_lt_i16_sdwa s[0:1], v20, v4 src0_sel:BYTE_0 src1_sel:DWORD
	s_and_b64 vcc, exec, s[0:1]
	s_cbranch_vccnz .LBB6_311
; %bb.300:
	v_cmp_gt_i16_sdwa s[0:1], v20, v4 src0_sel:BYTE_0 src1_sel:DWORD
	s_and_b64 vcc, exec, s[0:1]
	s_cbranch_vccz .LBB6_312
; %bb.301:
	global_load_ubyte v6, v[2:3], off
	s_movk_i32 s0, 0x7f
                                        ; implicit-def: $sgpr6_sgpr7
	s_waitcnt vmcnt(0)
	v_cmp_lt_i16_e32 vcc, s0, v6
	s_mov_b64 s[0:1], 0
	s_and_saveexec_b64 s[24:25], vcc
	s_xor_b64 s[24:25], exec, s[24:25]
	s_cbranch_execz .LBB6_324
; %bb.302:
	s_movk_i32 s0, 0x80
	v_cmp_eq_u16_e32 vcc, s0, v6
	s_mov_b64 s[28:29], -1
                                        ; implicit-def: $sgpr6_sgpr7
	s_and_saveexec_b64 s[0:1], vcc
; %bb.303:
	s_mov_b32 s7, 0x7ff80000
	s_brev_b32 s6, 4
	s_xor_b64 s[28:29], exec, -1
; %bb.304:
	s_or_b64 exec, exec, s[0:1]
	s_and_b64 s[0:1], s[28:29], exec
	s_or_saveexec_b64 s[24:25], s[24:25]
	v_pk_mov_b32 v[4:5], s[6:7], s[6:7] op_sel:[0,1]
	s_xor_b64 exec, exec, s[24:25]
	s_cbranch_execnz .LBB6_325
.LBB6_305:
	s_or_b64 exec, exec, s[24:25]
	s_and_saveexec_b64 s[6:7], s[0:1]
	s_cbranch_execz .LBB6_307
.LBB6_306:
	v_and_b32_e32 v5, 0xffff, v6
	v_lshlrev_b32_e32 v4, 24, v6
	v_and_b32_e32 v6, 3, v5
	v_ffbh_u32_e32 v8, v6
	v_min_u32_e32 v8, 32, v8
	v_subrev_u32_e32 v9, 29, v8
	v_bfe_u32 v7, v5, 2, 5
	v_lshlrev_b32_e32 v5, v9, v5
	v_sub_u32_e32 v8, 30, v8
	v_and_b32_e32 v5, 3, v5
	v_cmp_eq_u32_e32 vcc, 0, v7
	v_cndmask_b32_e32 v7, v7, v8, vcc
	v_cndmask_b32_e32 v5, v6, v5, vcc
	v_mov_b32_e32 v6, 0x37800000
	v_lshlrev_b32_e32 v5, 21, v5
	v_and_b32_e32 v4, 0x80000000, v4
	v_lshl_add_u32 v6, v7, 23, v6
	v_or3_b32 v4, v4, v6, v5
	v_cvt_f64_f32_e32 v[4:5], v4
.LBB6_307:
	s_or_b64 exec, exec, s[6:7]
	s_mov_b64 s[0:1], 0
	s_branch .LBB6_313
.LBB6_308:
	s_mov_b64 s[6:7], -1
                                        ; implicit-def: $vgpr4_vgpr5
	s_branch .LBB6_319
.LBB6_309:
	s_or_saveexec_b64 s[24:25], s[24:25]
	v_pk_mov_b32 v[4:5], s[6:7], s[6:7] op_sel:[0,1]
	s_xor_b64 exec, exec, s[24:25]
	s_cbranch_execz .LBB6_292
.LBB6_310:
	v_cmp_ne_u16_e32 vcc, 0, v6
	s_andn2_b64 s[0:1], s[0:1], exec
	s_and_b64 s[6:7], vcc, exec
	v_pk_mov_b32 v[4:5], 0, 0
	s_or_b64 s[0:1], s[0:1], s[6:7]
	s_or_b64 exec, exec, s[24:25]
	s_and_saveexec_b64 s[6:7], s[0:1]
	s_cbranch_execnz .LBB6_293
	s_branch .LBB6_294
.LBB6_311:
	s_mov_b64 s[0:1], -1
                                        ; implicit-def: $vgpr4_vgpr5
	s_branch .LBB6_316
.LBB6_312:
	s_mov_b64 s[0:1], -1
                                        ; implicit-def: $vgpr4_vgpr5
.LBB6_313:
	s_and_b64 vcc, exec, s[0:1]
	s_cbranch_vccz .LBB6_315
; %bb.314:
	global_load_ubyte v4, v[2:3], off
	s_mov_b32 s0, 0x7f800000
	s_waitcnt vmcnt(0)
	v_lshlrev_b32_e32 v4, 24, v4
	v_and_b32_e32 v5, 0x7f000000, v4
	v_ffbh_u32_e32 v6, v5
	v_min_u32_e32 v6, 32, v6
	v_sub_u32_e64 v6, v6, 4 clamp
	v_lshlrev_b32_e32 v8, v6, v5
	v_lshlrev_b32_e32 v6, 23, v6
	v_lshrrev_b32_e32 v8, 4, v8
	v_add_u32_e32 v7, 0x1000000, v5
	v_sub_u32_e32 v6, v8, v6
	v_ashrrev_i32_e32 v7, 8, v7
	v_add_u32_e32 v6, 0x3c000000, v6
	v_and_or_b32 v6, v7, s0, v6
	v_cmp_ne_u32_e32 vcc, 0, v5
	v_cndmask_b32_e32 v5, 0, v6, vcc
	s_brev_b32 s0, 1
	v_and_or_b32 v4, v4, s0, v5
	v_cvt_f64_f32_e32 v[4:5], v4
.LBB6_315:
	s_mov_b64 s[0:1], 0
.LBB6_316:
	s_andn2_b64 vcc, exec, s[0:1]
	s_cbranch_vccnz .LBB6_318
; %bb.317:
	global_load_ubyte v4, v[2:3], off
	s_movk_i32 s0, 0x7f00
	s_brev_b32 s1, 16
	s_waitcnt vmcnt(0)
	v_lshlrev_b16_e32 v5, 8, v4
	v_lshlrev_b32_e32 v4, 25, v4
	v_lshrrev_b32_e32 v6, 4, v4
	v_and_or_b32 v7, v5, s0, 0.5
	v_or_b32_e32 v6, 0x70000000, v6
	v_add_f32_e32 v7, -0.5, v7
	v_mul_f32_e32 v6, 0x7800000, v6
	v_cmp_gt_u32_e32 vcc, s1, v4
	v_bfe_i32 v5, v5, 0, 16
	v_cndmask_b32_e32 v4, v6, v7, vcc
	s_brev_b32 s0, 1
	v_and_or_b32 v4, v5, s0, v4
	v_cvt_f64_f32_e32 v[4:5], v4
.LBB6_318:
	s_mov_b64 s[6:7], 0
	s_mov_b64 s[0:1], -1
.LBB6_319:
	s_andn2_b64 vcc, exec, s[6:7]
	s_cbranch_vccnz .LBB6_332
; %bb.320:
	v_mov_b32_e32 v4, 14
	v_cmp_gt_i16_sdwa s[6:7], v20, v4 src0_sel:BYTE_0 src1_sel:DWORD
	s_and_b64 vcc, exec, s[6:7]
	s_cbranch_vccz .LBB6_323
; %bb.321:
	v_mov_b32_e32 v4, 15
	v_cmp_eq_u16_sdwa s[6:7], v20, v4 src0_sel:BYTE_0 src1_sel:DWORD
	s_and_b64 vcc, exec, s[6:7]
	s_cbranch_vccz .LBB6_326
; %bb.322:
	global_load_ushort v4, v[2:3], off
	s_mov_b64 s[0:1], -1
	s_mov_b64 s[18:19], 0
	s_waitcnt vmcnt(0)
	v_lshlrev_b32_e32 v4, 16, v4
	v_cvt_f64_f32_e32 v[4:5], v4
	s_branch .LBB6_327
.LBB6_323:
	s_mov_b64 s[6:7], -1
                                        ; implicit-def: $vgpr4_vgpr5
	s_branch .LBB6_328
.LBB6_324:
	s_or_saveexec_b64 s[24:25], s[24:25]
	v_pk_mov_b32 v[4:5], s[6:7], s[6:7] op_sel:[0,1]
	s_xor_b64 exec, exec, s[24:25]
	s_cbranch_execz .LBB6_305
.LBB6_325:
	v_cmp_ne_u16_e32 vcc, 0, v6
	s_andn2_b64 s[0:1], s[0:1], exec
	s_and_b64 s[6:7], vcc, exec
	v_pk_mov_b32 v[4:5], 0, 0
	s_or_b64 s[0:1], s[0:1], s[6:7]
	s_or_b64 exec, exec, s[24:25]
	s_and_saveexec_b64 s[6:7], s[0:1]
	s_cbranch_execnz .LBB6_306
	s_branch .LBB6_307
.LBB6_326:
	s_mov_b64 s[18:19], -1
                                        ; implicit-def: $vgpr4_vgpr5
.LBB6_327:
	s_mov_b64 s[6:7], 0
.LBB6_328:
	s_and_b64 vcc, exec, s[6:7]
	s_cbranch_vccz .LBB6_332
; %bb.329:
	v_mov_b32_e32 v4, 11
	v_cmp_eq_u16_sdwa s[6:7], v20, v4 src0_sel:BYTE_0 src1_sel:DWORD
	s_and_b64 vcc, exec, s[6:7]
	s_cbranch_vccz .LBB6_331
; %bb.330:
	global_load_ubyte v5, v[2:3], off
	v_mov_b32_e32 v6, 0x3ff00000
	v_mov_b32_e32 v4, 0
	s_mov_b64 s[0:1], -1
	s_mov_b64 s[18:19], 0
	s_waitcnt vmcnt(0)
	v_cmp_ne_u16_e32 vcc, 0, v5
	v_cndmask_b32_e32 v5, 0, v6, vcc
	s_branch .LBB6_332
.LBB6_331:
	s_mov_b64 s[18:19], -1
                                        ; implicit-def: $vgpr4_vgpr5
.LBB6_332:
	s_branch .LBB6_20
.LBB6_333:
	v_mov_b32_e32 v4, 5
	v_cmp_lt_i16_sdwa s[0:1], v20, v4 src0_sel:BYTE_0 src1_sel:DWORD
	s_and_b64 vcc, exec, s[0:1]
	s_cbranch_vccnz .LBB6_338
; %bb.334:
	v_mov_b32_e32 v4, 8
	v_cmp_lt_i16_sdwa s[0:1], v20, v4 src0_sel:BYTE_0 src1_sel:DWORD
	s_and_b64 vcc, exec, s[0:1]
	s_cbranch_vccnz .LBB6_339
; %bb.335:
	;; [unrolled: 5-line block ×3, first 2 shown]
	v_cmp_gt_i16_sdwa s[0:1], v20, v4 src0_sel:BYTE_0 src1_sel:DWORD
	s_and_b64 vcc, exec, s[0:1]
	s_cbranch_vccz .LBB6_341
; %bb.337:
	global_load_dwordx2 v[4:5], v[2:3], off
	s_mov_b64 s[0:1], 0
	s_branch .LBB6_342
.LBB6_338:
	s_mov_b64 s[0:1], -1
                                        ; implicit-def: $vgpr4_vgpr5
	s_branch .LBB6_360
.LBB6_339:
	s_mov_b64 s[0:1], -1
                                        ; implicit-def: $vgpr4_vgpr5
	s_branch .LBB6_348
.LBB6_340:
	s_mov_b64 s[0:1], -1
                                        ; implicit-def: $vgpr4_vgpr5
	s_branch .LBB6_345
.LBB6_341:
	s_mov_b64 s[0:1], -1
                                        ; implicit-def: $vgpr4_vgpr5
.LBB6_342:
	s_andn2_b64 vcc, exec, s[0:1]
	s_cbranch_vccnz .LBB6_344
; %bb.343:
	global_load_dword v4, v[2:3], off
	s_waitcnt vmcnt(0)
	v_cvt_f64_f32_e32 v[4:5], v4
.LBB6_344:
	s_mov_b64 s[0:1], 0
.LBB6_345:
	s_andn2_b64 vcc, exec, s[0:1]
	s_cbranch_vccnz .LBB6_347
; %bb.346:
	global_load_dword v4, v[2:3], off
	s_waitcnt vmcnt(0)
	v_cvt_f32_f16_e32 v4, v4
	v_cvt_f64_f32_e32 v[4:5], v4
.LBB6_347:
	s_mov_b64 s[0:1], 0
.LBB6_348:
	s_andn2_b64 vcc, exec, s[0:1]
	s_cbranch_vccnz .LBB6_359
; %bb.349:
	s_waitcnt vmcnt(0)
	v_mov_b32_e32 v4, 6
	v_cmp_lt_i16_sdwa s[0:1], v20, v4 src0_sel:BYTE_0 src1_sel:DWORD
	s_and_b64 vcc, exec, s[0:1]
	s_cbranch_vccnz .LBB6_352
; %bb.350:
	v_cmp_gt_i16_sdwa s[0:1], v20, v4 src0_sel:BYTE_0 src1_sel:DWORD
	s_and_b64 vcc, exec, s[0:1]
	s_cbranch_vccz .LBB6_353
; %bb.351:
	global_load_dwordx2 v[4:5], v[2:3], off
	s_mov_b64 s[0:1], 0
	s_branch .LBB6_354
.LBB6_352:
	s_mov_b64 s[0:1], -1
                                        ; implicit-def: $vgpr4_vgpr5
	s_branch .LBB6_357
.LBB6_353:
	s_mov_b64 s[0:1], -1
                                        ; implicit-def: $vgpr4_vgpr5
.LBB6_354:
	s_andn2_b64 vcc, exec, s[0:1]
	s_cbranch_vccnz .LBB6_356
; %bb.355:
	global_load_dword v4, v[2:3], off
	s_waitcnt vmcnt(0)
	v_cvt_f64_f32_e32 v[4:5], v4
.LBB6_356:
	s_mov_b64 s[0:1], 0
.LBB6_357:
	s_andn2_b64 vcc, exec, s[0:1]
	s_cbranch_vccnz .LBB6_359
; %bb.358:
	global_load_ushort v4, v[2:3], off
	s_waitcnt vmcnt(0)
	v_cvt_f32_f16_e32 v4, v4
	v_cvt_f64_f32_e32 v[4:5], v4
.LBB6_359:
	s_mov_b64 s[0:1], 0
.LBB6_360:
	s_andn2_b64 vcc, exec, s[0:1]
	s_cbranch_vccnz .LBB6_380
; %bb.361:
	s_waitcnt vmcnt(0)
	v_mov_b32_e32 v4, 2
	v_cmp_lt_i16_sdwa s[0:1], v20, v4 src0_sel:BYTE_0 src1_sel:DWORD
	s_and_b64 vcc, exec, s[0:1]
	s_cbranch_vccnz .LBB6_365
; %bb.362:
	v_mov_b32_e32 v4, 3
	v_cmp_lt_i16_sdwa s[0:1], v20, v4 src0_sel:BYTE_0 src1_sel:DWORD
	s_and_b64 vcc, exec, s[0:1]
	s_cbranch_vccnz .LBB6_366
; %bb.363:
	v_cmp_gt_i16_sdwa s[0:1], v20, v4 src0_sel:BYTE_0 src1_sel:DWORD
	s_and_b64 vcc, exec, s[0:1]
	s_cbranch_vccz .LBB6_367
; %bb.364:
	global_load_dwordx2 v[4:5], v[2:3], off
	s_mov_b64 s[0:1], 0
	s_waitcnt vmcnt(0)
	v_cvt_f64_i32_e32 v[6:7], v5
	v_cvt_f64_u32_e32 v[4:5], v4
	v_ldexp_f64 v[6:7], v[6:7], 32
	v_add_f64 v[4:5], v[6:7], v[4:5]
	s_branch .LBB6_368
.LBB6_365:
	s_mov_b64 s[0:1], -1
                                        ; implicit-def: $vgpr4_vgpr5
	s_branch .LBB6_374
.LBB6_366:
	s_mov_b64 s[0:1], -1
                                        ; implicit-def: $vgpr4_vgpr5
	s_branch .LBB6_371
.LBB6_367:
	s_mov_b64 s[0:1], -1
                                        ; implicit-def: $vgpr4_vgpr5
.LBB6_368:
	s_andn2_b64 vcc, exec, s[0:1]
	s_cbranch_vccnz .LBB6_370
; %bb.369:
	global_load_dword v4, v[2:3], off
	s_waitcnt vmcnt(0)
	v_cvt_f64_i32_e32 v[4:5], v4
.LBB6_370:
	s_mov_b64 s[0:1], 0
.LBB6_371:
	s_andn2_b64 vcc, exec, s[0:1]
	s_cbranch_vccnz .LBB6_373
; %bb.372:
	global_load_sshort v4, v[2:3], off
	s_waitcnt vmcnt(0)
	v_cvt_f64_i32_e32 v[4:5], v4
.LBB6_373:
	s_mov_b64 s[0:1], 0
.LBB6_374:
	s_andn2_b64 vcc, exec, s[0:1]
	s_cbranch_vccnz .LBB6_380
; %bb.375:
	v_mov_b32_e32 v4, 0
	v_cmp_gt_i16_sdwa s[0:1], v20, v4 src0_sel:BYTE_0 src1_sel:DWORD
	s_and_b64 vcc, exec, s[0:1]
	s_cbranch_vccz .LBB6_377
; %bb.376:
	global_load_sbyte v4, v[2:3], off
	s_mov_b64 s[0:1], 0
	s_waitcnt vmcnt(0)
	v_cvt_f64_i32_e32 v[4:5], v4
	s_branch .LBB6_378
.LBB6_377:
	s_mov_b64 s[0:1], -1
                                        ; implicit-def: $vgpr4_vgpr5
.LBB6_378:
	s_andn2_b64 vcc, exec, s[0:1]
	s_cbranch_vccnz .LBB6_380
; %bb.379:
	global_load_ubyte v2, v[2:3], off
	s_waitcnt vmcnt(0)
	v_cvt_f64_u32_e32 v[4:5], v2
.LBB6_380:
	s_branch .LBB6_21
.LBB6_381:
	s_mov_b64 s[0:1], 0
.LBB6_382:
                                        ; implicit-def: $vgpr19
	s_mov_b64 s[24:25], 0
.LBB6_383:
	s_and_b64 s[6:7], s[0:1], exec
	s_and_b64 s[18:19], s[18:19], exec
	;; [unrolled: 1-line block ×3, first 2 shown]
	s_orn2_b64 s[0:1], s[24:25], exec
.LBB6_384:
	s_or_b64 exec, exec, s[22:23]
	s_mov_b64 s[30:31], 0
	s_mov_b64 s[28:29], 0
                                        ; implicit-def: $vgpr4
                                        ; implicit-def: $vgpr0_vgpr1
                                        ; implicit-def: $vgpr2_vgpr3
	s_and_saveexec_b64 s[22:23], s[0:1]
	s_cbranch_execz .LBB6_393
; %bb.385:
	v_cmp_gt_i32_e32 vcc, s33, v19
	s_mov_b64 s[0:1], -1
	s_mov_b64 s[24:25], s[20:21]
	s_mov_b64 s[26:27], s[18:19]
	;; [unrolled: 1-line block ×3, first 2 shown]
	s_and_saveexec_b64 s[30:31], vcc
	s_cbranch_execz .LBB6_772
; %bb.386:
	s_waitcnt vmcnt(0)
	v_mul_lo_u32 v0, v19, s13
	v_ashrrev_i32_e32 v1, 31, v0
	v_mov_b32_e32 v3, s11
	v_add_co_u32_e32 v2, vcc, s10, v0
	v_mov_b32_e32 v0, 11
	v_addc_co_u32_e32 v3, vcc, v3, v1, vcc
	v_cmp_lt_i16_sdwa s[0:1], v16, v0 src0_sel:BYTE_0 src1_sel:DWORD
	s_and_b64 vcc, exec, s[0:1]
	s_cbranch_vccnz .LBB6_396
; %bb.387:
	v_mov_b32_e32 v0, 25
	v_cmp_gt_i16_sdwa s[0:1], v16, v0 src0_sel:BYTE_0 src1_sel:DWORD
	s_and_b64 vcc, exec, s[0:1]
	s_cbranch_vccz .LBB6_405
; %bb.388:
	v_mov_b32_e32 v0, 28
	v_cmp_gt_i16_sdwa s[0:1], v16, v0 src0_sel:BYTE_0 src1_sel:DWORD
	s_and_b64 vcc, exec, s[0:1]
	s_cbranch_vccz .LBB6_407
	;; [unrolled: 5-line block ×4, first 2 shown]
; %bb.391:
	v_mov_b32_e32 v0, 46
	v_cmp_eq_u16_sdwa s[0:1], v16, v0 src0_sel:BYTE_0 src1_sel:DWORD
	s_mov_b64 s[26:27], 0
	s_and_b64 vcc, exec, s[0:1]
	s_cbranch_vccz .LBB6_413
; %bb.392:
	global_load_dword v0, v[2:3], off
	s_mov_b64 s[0:1], -1
	s_mov_b64 s[24:25], 0
	s_waitcnt vmcnt(0)
	v_lshlrev_b32_e32 v0, 16, v0
	v_cvt_f64_f32_e32 v[0:1], v0
	s_branch .LBB6_414
.LBB6_393:
	s_or_b64 exec, exec, s[22:23]
	s_mov_b64 s[22:23], 0
	s_and_saveexec_b64 s[0:1], s[20:21]
	s_cbranch_execnz .LBB6_1245
.LBB6_394:
	s_or_b64 exec, exec, s[0:1]
	s_and_saveexec_b64 s[0:1], s[26:27]
	s_xor_b64 s[0:1], exec, s[0:1]
	s_cbranch_execz .LBB6_1246
.LBB6_395:
	s_waitcnt vmcnt(0)
	global_load_ubyte v3, v[0:1], off
	v_mov_b32_e32 v5, 0x3ff00000
	v_mov_b32_e32 v2, 0
	s_or_b64 s[28:29], s[28:29], exec
	s_waitcnt vmcnt(0)
	v_cmp_ne_u16_e32 vcc, 0, v3
	v_cndmask_b32_e32 v3, 0, v5, vcc
	s_or_b64 exec, exec, s[0:1]
	s_and_saveexec_b64 s[0:1], s[30:31]
	s_cbranch_execz .LBB6_1292
	s_branch .LBB6_1247
.LBB6_396:
	s_mov_b64 s[0:1], 0
                                        ; implicit-def: $vgpr0_vgpr1
	s_mov_b64 s[24:25], s[20:21]
	s_cbranch_execnz .LBB6_480
.LBB6_397:
	s_andn2_b64 vcc, exec, s[0:1]
	s_cbranch_vccnz .LBB6_528
.LBB6_398:
	v_mul_lo_u32 v2, v19, s14
	v_ashrrev_i32_e32 v3, 31, v2
	v_mov_b32_e32 v4, s3
	v_add_co_u32_e32 v2, vcc, s2, v2
	v_addc_co_u32_e32 v3, vcc, v4, v3, vcc
	v_mov_b32_e32 v4, 11
	v_cmp_lt_i16_sdwa s[0:1], v20, v4 src0_sel:BYTE_0 src1_sel:DWORD
	s_and_b64 vcc, exec, s[0:1]
	s_cbranch_vccnz .LBB6_406
; %bb.399:
	v_mov_b32_e32 v4, 25
	v_cmp_gt_i16_sdwa s[0:1], v20, v4 src0_sel:BYTE_0 src1_sel:DWORD
	s_and_b64 vcc, exec, s[0:1]
	s_cbranch_vccz .LBB6_408
; %bb.400:
	v_mov_b32_e32 v4, 28
	v_cmp_gt_i16_sdwa s[0:1], v20, v4 src0_sel:BYTE_0 src1_sel:DWORD
	s_and_b64 vcc, exec, s[0:1]
	s_cbranch_vccz .LBB6_410
	;; [unrolled: 5-line block ×4, first 2 shown]
; %bb.403:
	v_mov_b32_e32 v4, 46
	v_cmp_eq_u16_sdwa s[0:1], v20, v4 src0_sel:BYTE_0 src1_sel:DWORD
	s_mov_b64 s[28:29], 0
	s_and_b64 vcc, exec, s[0:1]
	s_cbranch_vccz .LBB6_532
; %bb.404:
	global_load_dword v4, v[2:3], off
	s_mov_b64 s[0:1], -1
	s_mov_b64 s[26:27], 0
	s_waitcnt vmcnt(0)
	v_lshlrev_b32_e32 v4, 16, v4
	v_cvt_f64_f32_e32 v[4:5], v4
	s_branch .LBB6_533
.LBB6_405:
	s_mov_b64 s[26:27], -1
	s_mov_b64 s[0:1], 0
	s_mov_b64 s[24:25], s[20:21]
                                        ; implicit-def: $vgpr0_vgpr1
	s_branch .LBB6_444
.LBB6_406:
	s_mov_b64 s[28:29], -1
	s_mov_b64 s[0:1], 0
                                        ; implicit-def: $vgpr4_vgpr5
	s_mov_b64 s[26:27], s[18:19]
	s_branch .LBB6_598
.LBB6_407:
	s_mov_b64 s[26:27], -1
	s_mov_b64 s[0:1], 0
	s_mov_b64 s[24:25], s[20:21]
                                        ; implicit-def: $vgpr0_vgpr1
	s_branch .LBB6_425
.LBB6_408:
	s_mov_b64 s[28:29], -1
	s_mov_b64 s[0:1], 0
	s_mov_b64 s[26:27], s[18:19]
                                        ; implicit-def: $vgpr4_vgpr5
	s_branch .LBB6_562
.LBB6_409:
	s_mov_b64 s[26:27], -1
	s_mov_b64 s[0:1], 0
	s_mov_b64 s[24:25], s[20:21]
                                        ; implicit-def: $vgpr0_vgpr1
	s_branch .LBB6_420
.LBB6_410:
	s_mov_b64 s[28:29], -1
	s_mov_b64 s[0:1], 0
	s_mov_b64 s[26:27], s[18:19]
                                        ; implicit-def: $vgpr4_vgpr5
	s_branch .LBB6_543
.LBB6_411:
	s_mov_b64 s[26:27], -1
	s_mov_b64 s[0:1], 0
	s_mov_b64 s[24:25], s[20:21]
                                        ; implicit-def: $vgpr0_vgpr1
	s_branch .LBB6_414
.LBB6_412:
	s_mov_b64 s[28:29], -1
	s_mov_b64 s[0:1], 0
	s_mov_b64 s[26:27], s[18:19]
                                        ; implicit-def: $vgpr4_vgpr5
	s_branch .LBB6_538
.LBB6_413:
	s_mov_b64 s[24:25], -1
                                        ; implicit-def: $vgpr0_vgpr1
	s_mov_b64 s[0:1], 0
.LBB6_414:
	s_and_b64 vcc, exec, s[26:27]
	s_cbranch_vccz .LBB6_419
; %bb.415:
	v_mov_b32_e32 v0, 44
	v_cmp_eq_u16_sdwa s[24:25], v16, v0 src0_sel:BYTE_0 src1_sel:DWORD
	s_and_b64 vcc, exec, s[24:25]
	s_cbranch_vccz .LBB6_418
; %bb.416:
	global_load_ubyte v4, v[2:3], off
	s_movk_i32 s15, 0xff
	v_bfrev_b32_e32 v5, 4
	v_mov_b32_e32 v6, 0x7ff80000
	v_bfrev_b32_e32 v7, 28
	s_mov_b64 s[0:1], -1
	s_mov_b64 s[24:25], 0
	s_waitcnt vmcnt(0)
	v_lshlrev_b32_e32 v0, 23, v4
	v_cvt_f64_f32_e32 v[0:1], v0
	v_cmp_ne_u32_e32 vcc, s15, v4
	v_cndmask_b32_e32 v0, v5, v0, vcc
	v_cndmask_b32_e32 v1, v6, v1, vcc
	v_cmp_ne_u32_e32 vcc, 0, v4
	v_cndmask_b32_e32 v1, v7, v1, vcc
	v_cndmask_b32_e32 v0, 0, v0, vcc
	s_branch .LBB6_419
.LBB6_417:
	s_mov_b64 s[28:29], -1
	s_mov_b64 s[0:1], 0
	s_mov_b64 s[26:27], s[18:19]
                                        ; implicit-def: $vgpr4_vgpr5
	s_branch .LBB6_533
.LBB6_418:
	s_mov_b64 s[24:25], -1
                                        ; implicit-def: $vgpr0_vgpr1
.LBB6_419:
	s_mov_b64 s[26:27], 0
.LBB6_420:
	s_and_b64 vcc, exec, s[26:27]
	s_cbranch_vccz .LBB6_424
; %bb.421:
	v_mov_b32_e32 v0, 29
	v_cmp_eq_u16_sdwa s[24:25], v16, v0 src0_sel:BYTE_0 src1_sel:DWORD
	s_and_b64 vcc, exec, s[24:25]
	s_cbranch_vccz .LBB6_423
; %bb.422:
	global_load_dwordx2 v[0:1], v[2:3], off
	s_mov_b64 s[0:1], -1
	s_mov_b64 s[24:25], 0
	s_mov_b64 s[26:27], 0
	s_waitcnt vmcnt(0)
	v_cvt_f64_u32_e32 v[4:5], v1
	v_cvt_f64_u32_e32 v[0:1], v0
	v_ldexp_f64 v[4:5], v[4:5], 32
	v_add_f64 v[0:1], v[4:5], v[0:1]
	s_branch .LBB6_425
.LBB6_423:
	s_mov_b64 s[24:25], -1
                                        ; implicit-def: $vgpr0_vgpr1
.LBB6_424:
	s_mov_b64 s[26:27], 0
.LBB6_425:
	s_and_b64 vcc, exec, s[26:27]
	s_cbranch_vccz .LBB6_443
; %bb.426:
	v_mov_b32_e32 v0, 27
	v_cmp_lt_i16_sdwa s[0:1], v16, v0 src0_sel:BYTE_0 src1_sel:DWORD
	s_and_b64 vcc, exec, s[0:1]
	s_cbranch_vccnz .LBB6_429
; %bb.427:
	v_cmp_gt_i16_sdwa s[0:1], v16, v0 src0_sel:BYTE_0 src1_sel:DWORD
	s_and_b64 vcc, exec, s[0:1]
	s_cbranch_vccz .LBB6_430
; %bb.428:
	global_load_dword v0, v[2:3], off
	s_mov_b64 s[0:1], 0
	s_waitcnt vmcnt(0)
	v_cvt_f64_u32_e32 v[0:1], v0
	s_branch .LBB6_431
.LBB6_429:
	s_mov_b64 s[0:1], -1
                                        ; implicit-def: $vgpr0_vgpr1
	s_branch .LBB6_434
.LBB6_430:
	s_mov_b64 s[0:1], -1
                                        ; implicit-def: $vgpr0_vgpr1
.LBB6_431:
	s_andn2_b64 vcc, exec, s[0:1]
	s_cbranch_vccnz .LBB6_433
; %bb.432:
	global_load_ushort v0, v[2:3], off
	s_waitcnt vmcnt(0)
	v_cvt_f64_u32_e32 v[0:1], v0
.LBB6_433:
	s_mov_b64 s[0:1], 0
.LBB6_434:
	s_andn2_b64 vcc, exec, s[0:1]
	s_cbranch_vccnz .LBB6_442
; %bb.435:
	global_load_ubyte v4, v[2:3], off
	s_movk_i32 s0, 0x7f
                                        ; implicit-def: $sgpr26_sgpr27
	s_waitcnt vmcnt(0)
	v_cmp_lt_i16_e32 vcc, s0, v4
	s_mov_b64 s[0:1], 0
	s_and_saveexec_b64 s[28:29], vcc
	s_xor_b64 s[28:29], exec, s[28:29]
	s_cbranch_execz .LBB6_456
; %bb.436:
	s_movk_i32 s0, 0x80
	v_cmp_eq_u16_e32 vcc, s0, v4
	s_mov_b64 s[34:35], -1
                                        ; implicit-def: $sgpr26_sgpr27
	s_and_saveexec_b64 s[0:1], vcc
; %bb.437:
	s_mov_b32 s27, 0x7ff80000
	s_brev_b32 s26, 4
	s_xor_b64 s[34:35], exec, -1
; %bb.438:
	s_or_b64 exec, exec, s[0:1]
	s_and_b64 s[0:1], s[34:35], exec
	s_or_saveexec_b64 s[28:29], s[28:29]
	v_pk_mov_b32 v[0:1], s[26:27], s[26:27] op_sel:[0,1]
	s_xor_b64 exec, exec, s[28:29]
	s_cbranch_execnz .LBB6_457
.LBB6_439:
	s_or_b64 exec, exec, s[28:29]
	s_and_saveexec_b64 s[26:27], s[0:1]
	s_cbranch_execz .LBB6_441
.LBB6_440:
	v_and_b32_e32 v1, 0xffff, v4
	v_lshlrev_b32_e32 v0, 24, v4
	v_and_b32_e32 v4, 7, v1
	v_ffbh_u32_e32 v6, v4
	v_min_u32_e32 v6, 32, v6
	v_subrev_u32_e32 v7, 28, v6
	v_bfe_u32 v5, v1, 3, 4
	v_lshlrev_b32_e32 v1, v7, v1
	v_sub_u32_e32 v6, 29, v6
	v_and_b32_e32 v1, 7, v1
	v_cmp_eq_u32_e32 vcc, 0, v5
	v_cndmask_b32_e32 v5, v5, v6, vcc
	v_cndmask_b32_e32 v1, v4, v1, vcc
	v_mov_b32_e32 v4, 0x3b800000
	v_lshlrev_b32_e32 v1, 20, v1
	v_and_b32_e32 v0, 0x80000000, v0
	v_lshl_add_u32 v4, v5, 23, v4
	v_or3_b32 v0, v0, v4, v1
	v_cvt_f64_f32_e32 v[0:1], v0
.LBB6_441:
	s_or_b64 exec, exec, s[26:27]
.LBB6_442:
	s_mov_b64 s[0:1], -1
.LBB6_443:
	s_mov_b64 s[26:27], 0
.LBB6_444:
	s_and_b64 vcc, exec, s[26:27]
	s_cbranch_vccz .LBB6_479
; %bb.445:
	v_mov_b32_e32 v0, 22
	v_cmp_gt_i16_sdwa s[26:27], v16, v0 src0_sel:BYTE_0 src1_sel:DWORD
	s_and_b64 vcc, exec, s[26:27]
	s_cbranch_vccz .LBB6_455
; %bb.446:
	v_mov_b32_e32 v0, 24
	v_cmp_lt_i16_sdwa s[0:1], v16, v0 src0_sel:BYTE_0 src1_sel:DWORD
	s_and_b64 vcc, exec, s[0:1]
	s_cbranch_vccnz .LBB6_458
; %bb.447:
	v_cmp_gt_i16_sdwa s[0:1], v16, v0 src0_sel:BYTE_0 src1_sel:DWORD
	s_and_b64 vcc, exec, s[0:1]
	s_cbranch_vccz .LBB6_459
; %bb.448:
	global_load_ubyte v4, v[2:3], off
	s_movk_i32 s0, 0x7f
                                        ; implicit-def: $sgpr26_sgpr27
	s_waitcnt vmcnt(0)
	v_cmp_lt_i16_e32 vcc, s0, v4
	s_mov_b64 s[0:1], 0
	s_and_saveexec_b64 s[28:29], vcc
	s_xor_b64 s[28:29], exec, s[28:29]
	s_cbranch_execz .LBB6_471
; %bb.449:
	s_movk_i32 s0, 0x80
	v_cmp_eq_u16_e32 vcc, s0, v4
	s_mov_b64 s[34:35], -1
                                        ; implicit-def: $sgpr26_sgpr27
	s_and_saveexec_b64 s[0:1], vcc
; %bb.450:
	s_mov_b32 s27, 0x7ff80000
	s_brev_b32 s26, 4
	s_xor_b64 s[34:35], exec, -1
; %bb.451:
	s_or_b64 exec, exec, s[0:1]
	s_and_b64 s[0:1], s[34:35], exec
	s_or_saveexec_b64 s[28:29], s[28:29]
	v_pk_mov_b32 v[0:1], s[26:27], s[26:27] op_sel:[0,1]
	s_xor_b64 exec, exec, s[28:29]
	s_cbranch_execnz .LBB6_472
.LBB6_452:
	s_or_b64 exec, exec, s[28:29]
	s_and_saveexec_b64 s[26:27], s[0:1]
	s_cbranch_execz .LBB6_454
.LBB6_453:
	v_and_b32_e32 v1, 0xffff, v4
	v_lshlrev_b32_e32 v0, 24, v4
	v_and_b32_e32 v4, 3, v1
	v_ffbh_u32_e32 v6, v4
	v_min_u32_e32 v6, 32, v6
	v_subrev_u32_e32 v7, 29, v6
	v_bfe_u32 v5, v1, 2, 5
	v_lshlrev_b32_e32 v1, v7, v1
	v_sub_u32_e32 v6, 30, v6
	v_and_b32_e32 v1, 3, v1
	v_cmp_eq_u32_e32 vcc, 0, v5
	v_cndmask_b32_e32 v5, v5, v6, vcc
	v_cndmask_b32_e32 v1, v4, v1, vcc
	v_mov_b32_e32 v4, 0x37800000
	v_lshlrev_b32_e32 v1, 21, v1
	v_and_b32_e32 v0, 0x80000000, v0
	v_lshl_add_u32 v4, v5, 23, v4
	v_or3_b32 v0, v0, v4, v1
	v_cvt_f64_f32_e32 v[0:1], v0
.LBB6_454:
	s_or_b64 exec, exec, s[26:27]
	s_mov_b64 s[0:1], 0
	s_branch .LBB6_460
.LBB6_455:
	s_mov_b64 s[26:27], -1
                                        ; implicit-def: $vgpr0_vgpr1
	s_branch .LBB6_466
.LBB6_456:
	s_or_saveexec_b64 s[28:29], s[28:29]
	v_pk_mov_b32 v[0:1], s[26:27], s[26:27] op_sel:[0,1]
	s_xor_b64 exec, exec, s[28:29]
	s_cbranch_execz .LBB6_439
.LBB6_457:
	v_cmp_ne_u16_e32 vcc, 0, v4
	s_andn2_b64 s[0:1], s[0:1], exec
	s_and_b64 s[26:27], vcc, exec
	v_pk_mov_b32 v[0:1], 0, 0
	s_or_b64 s[0:1], s[0:1], s[26:27]
	s_or_b64 exec, exec, s[28:29]
	s_and_saveexec_b64 s[26:27], s[0:1]
	s_cbranch_execnz .LBB6_440
	s_branch .LBB6_441
.LBB6_458:
	s_mov_b64 s[0:1], -1
                                        ; implicit-def: $vgpr0_vgpr1
	s_branch .LBB6_463
.LBB6_459:
	s_mov_b64 s[0:1], -1
                                        ; implicit-def: $vgpr0_vgpr1
.LBB6_460:
	s_and_b64 vcc, exec, s[0:1]
	s_cbranch_vccz .LBB6_462
; %bb.461:
	global_load_ubyte v0, v[2:3], off
	s_mov_b32 s0, 0x7f800000
	s_waitcnt vmcnt(0)
	v_lshlrev_b32_e32 v0, 24, v0
	v_and_b32_e32 v1, 0x7f000000, v0
	v_ffbh_u32_e32 v4, v1
	v_min_u32_e32 v4, 32, v4
	v_sub_u32_e64 v4, v4, 4 clamp
	v_lshlrev_b32_e32 v6, v4, v1
	v_lshlrev_b32_e32 v4, 23, v4
	v_lshrrev_b32_e32 v6, 4, v6
	v_add_u32_e32 v5, 0x1000000, v1
	v_sub_u32_e32 v4, v6, v4
	v_ashrrev_i32_e32 v5, 8, v5
	v_add_u32_e32 v4, 0x3c000000, v4
	v_and_or_b32 v4, v5, s0, v4
	v_cmp_ne_u32_e32 vcc, 0, v1
	v_cndmask_b32_e32 v1, 0, v4, vcc
	s_brev_b32 s0, 1
	v_and_or_b32 v0, v0, s0, v1
	v_cvt_f64_f32_e32 v[0:1], v0
.LBB6_462:
	s_mov_b64 s[0:1], 0
.LBB6_463:
	s_andn2_b64 vcc, exec, s[0:1]
	s_cbranch_vccnz .LBB6_465
; %bb.464:
	global_load_ubyte v0, v[2:3], off
	s_movk_i32 s0, 0x7f00
	s_brev_b32 s1, 16
	s_waitcnt vmcnt(0)
	v_lshlrev_b16_e32 v1, 8, v0
	v_lshlrev_b32_e32 v0, 25, v0
	v_lshrrev_b32_e32 v4, 4, v0
	v_and_or_b32 v5, v1, s0, 0.5
	v_or_b32_e32 v4, 0x70000000, v4
	v_add_f32_e32 v5, -0.5, v5
	v_mul_f32_e32 v4, 0x7800000, v4
	v_cmp_gt_u32_e32 vcc, s1, v0
	v_bfe_i32 v1, v1, 0, 16
	v_cndmask_b32_e32 v0, v4, v5, vcc
	s_brev_b32 s0, 1
	v_and_or_b32 v0, v1, s0, v0
	v_cvt_f64_f32_e32 v[0:1], v0
.LBB6_465:
	s_mov_b64 s[26:27], 0
	s_mov_b64 s[0:1], -1
.LBB6_466:
	s_andn2_b64 vcc, exec, s[26:27]
	s_cbranch_vccnz .LBB6_479
; %bb.467:
	v_mov_b32_e32 v0, 14
	v_cmp_gt_i16_sdwa s[26:27], v16, v0 src0_sel:BYTE_0 src1_sel:DWORD
	s_and_b64 vcc, exec, s[26:27]
	s_cbranch_vccz .LBB6_470
; %bb.468:
	v_mov_b32_e32 v0, 15
	v_cmp_eq_u16_sdwa s[24:25], v16, v0 src0_sel:BYTE_0 src1_sel:DWORD
	s_and_b64 vcc, exec, s[24:25]
	s_cbranch_vccz .LBB6_473
; %bb.469:
	global_load_ushort v0, v[2:3], off
	s_mov_b64 s[0:1], -1
	s_mov_b64 s[24:25], 0
	s_waitcnt vmcnt(0)
	v_lshlrev_b32_e32 v0, 16, v0
	v_cvt_f64_f32_e32 v[0:1], v0
	s_branch .LBB6_474
.LBB6_470:
	s_mov_b64 s[26:27], -1
                                        ; implicit-def: $vgpr0_vgpr1
	s_branch .LBB6_475
.LBB6_471:
	s_or_saveexec_b64 s[28:29], s[28:29]
	v_pk_mov_b32 v[0:1], s[26:27], s[26:27] op_sel:[0,1]
	s_xor_b64 exec, exec, s[28:29]
	s_cbranch_execz .LBB6_452
.LBB6_472:
	v_cmp_ne_u16_e32 vcc, 0, v4
	s_andn2_b64 s[0:1], s[0:1], exec
	s_and_b64 s[26:27], vcc, exec
	v_pk_mov_b32 v[0:1], 0, 0
	s_or_b64 s[0:1], s[0:1], s[26:27]
	s_or_b64 exec, exec, s[28:29]
	s_and_saveexec_b64 s[26:27], s[0:1]
	s_cbranch_execnz .LBB6_453
	s_branch .LBB6_454
.LBB6_473:
	s_mov_b64 s[24:25], -1
                                        ; implicit-def: $vgpr0_vgpr1
.LBB6_474:
	s_mov_b64 s[26:27], 0
.LBB6_475:
	s_and_b64 vcc, exec, s[26:27]
	s_cbranch_vccz .LBB6_479
; %bb.476:
	v_mov_b32_e32 v0, 11
	v_cmp_eq_u16_sdwa s[24:25], v16, v0 src0_sel:BYTE_0 src1_sel:DWORD
	s_and_b64 vcc, exec, s[24:25]
	s_cbranch_vccz .LBB6_478
; %bb.477:
	global_load_ubyte v1, v[2:3], off
	v_mov_b32_e32 v4, 0x3ff00000
	v_mov_b32_e32 v0, 0
	s_mov_b64 s[0:1], -1
	s_mov_b64 s[24:25], 0
	s_waitcnt vmcnt(0)
	v_cmp_ne_u16_e32 vcc, 0, v1
	v_cndmask_b32_e32 v1, 0, v4, vcc
	s_branch .LBB6_479
.LBB6_478:
	s_mov_b64 s[24:25], -1
                                        ; implicit-def: $vgpr0_vgpr1
.LBB6_479:
	s_branch .LBB6_397
.LBB6_480:
	v_mov_b32_e32 v0, 5
	v_cmp_lt_i16_sdwa s[0:1], v16, v0 src0_sel:BYTE_0 src1_sel:DWORD
	s_and_b64 vcc, exec, s[0:1]
	s_cbranch_vccnz .LBB6_485
; %bb.481:
	v_mov_b32_e32 v0, 8
	v_cmp_lt_i16_sdwa s[0:1], v16, v0 src0_sel:BYTE_0 src1_sel:DWORD
	s_and_b64 vcc, exec, s[0:1]
	s_cbranch_vccnz .LBB6_486
; %bb.482:
	;; [unrolled: 5-line block ×3, first 2 shown]
	v_cmp_gt_i16_sdwa s[0:1], v16, v0 src0_sel:BYTE_0 src1_sel:DWORD
	s_and_b64 vcc, exec, s[0:1]
	s_cbranch_vccz .LBB6_488
; %bb.484:
	global_load_dwordx2 v[0:1], v[2:3], off
	s_mov_b64 s[0:1], 0
	s_branch .LBB6_489
.LBB6_485:
	s_mov_b64 s[0:1], -1
                                        ; implicit-def: $vgpr0_vgpr1
	s_branch .LBB6_507
.LBB6_486:
	s_mov_b64 s[0:1], -1
                                        ; implicit-def: $vgpr0_vgpr1
	s_branch .LBB6_495
.LBB6_487:
	s_mov_b64 s[0:1], -1
                                        ; implicit-def: $vgpr0_vgpr1
	s_branch .LBB6_492
.LBB6_488:
	s_mov_b64 s[0:1], -1
                                        ; implicit-def: $vgpr0_vgpr1
.LBB6_489:
	s_andn2_b64 vcc, exec, s[0:1]
	s_cbranch_vccnz .LBB6_491
; %bb.490:
	global_load_dword v0, v[2:3], off
	s_waitcnt vmcnt(0)
	v_cvt_f64_f32_e32 v[0:1], v0
.LBB6_491:
	s_mov_b64 s[0:1], 0
.LBB6_492:
	s_andn2_b64 vcc, exec, s[0:1]
	s_cbranch_vccnz .LBB6_494
; %bb.493:
	global_load_dword v0, v[2:3], off
	s_waitcnt vmcnt(0)
	v_cvt_f32_f16_e32 v0, v0
	v_cvt_f64_f32_e32 v[0:1], v0
.LBB6_494:
	s_mov_b64 s[0:1], 0
.LBB6_495:
	s_andn2_b64 vcc, exec, s[0:1]
	s_cbranch_vccnz .LBB6_506
; %bb.496:
	s_waitcnt vmcnt(0)
	v_mov_b32_e32 v0, 6
	v_cmp_lt_i16_sdwa s[0:1], v16, v0 src0_sel:BYTE_0 src1_sel:DWORD
	s_and_b64 vcc, exec, s[0:1]
	s_cbranch_vccnz .LBB6_499
; %bb.497:
	v_cmp_gt_i16_sdwa s[0:1], v16, v0 src0_sel:BYTE_0 src1_sel:DWORD
	s_and_b64 vcc, exec, s[0:1]
	s_cbranch_vccz .LBB6_500
; %bb.498:
	global_load_dwordx2 v[0:1], v[2:3], off
	s_mov_b64 s[0:1], 0
	s_branch .LBB6_501
.LBB6_499:
	s_mov_b64 s[0:1], -1
                                        ; implicit-def: $vgpr0_vgpr1
	s_branch .LBB6_504
.LBB6_500:
	s_mov_b64 s[0:1], -1
                                        ; implicit-def: $vgpr0_vgpr1
.LBB6_501:
	s_andn2_b64 vcc, exec, s[0:1]
	s_cbranch_vccnz .LBB6_503
; %bb.502:
	global_load_dword v0, v[2:3], off
	s_waitcnt vmcnt(0)
	v_cvt_f64_f32_e32 v[0:1], v0
.LBB6_503:
	s_mov_b64 s[0:1], 0
.LBB6_504:
	s_andn2_b64 vcc, exec, s[0:1]
	s_cbranch_vccnz .LBB6_506
; %bb.505:
	global_load_ushort v0, v[2:3], off
	s_waitcnt vmcnt(0)
	v_cvt_f32_f16_e32 v0, v0
	v_cvt_f64_f32_e32 v[0:1], v0
.LBB6_506:
	s_mov_b64 s[0:1], 0
.LBB6_507:
	s_andn2_b64 vcc, exec, s[0:1]
	s_cbranch_vccnz .LBB6_527
; %bb.508:
	s_waitcnt vmcnt(0)
	v_mov_b32_e32 v0, 2
	v_cmp_lt_i16_sdwa s[0:1], v16, v0 src0_sel:BYTE_0 src1_sel:DWORD
	s_and_b64 vcc, exec, s[0:1]
	s_cbranch_vccnz .LBB6_512
; %bb.509:
	v_mov_b32_e32 v0, 3
	v_cmp_lt_i16_sdwa s[0:1], v16, v0 src0_sel:BYTE_0 src1_sel:DWORD
	s_and_b64 vcc, exec, s[0:1]
	s_cbranch_vccnz .LBB6_513
; %bb.510:
	v_cmp_gt_i16_sdwa s[0:1], v16, v0 src0_sel:BYTE_0 src1_sel:DWORD
	s_and_b64 vcc, exec, s[0:1]
	s_cbranch_vccz .LBB6_514
; %bb.511:
	global_load_dwordx2 v[0:1], v[2:3], off
	s_mov_b64 s[0:1], 0
	s_waitcnt vmcnt(0)
	v_cvt_f64_i32_e32 v[4:5], v1
	v_cvt_f64_u32_e32 v[0:1], v0
	v_ldexp_f64 v[4:5], v[4:5], 32
	v_add_f64 v[0:1], v[4:5], v[0:1]
	s_branch .LBB6_515
.LBB6_512:
	s_mov_b64 s[0:1], -1
                                        ; implicit-def: $vgpr0_vgpr1
	s_branch .LBB6_521
.LBB6_513:
	s_mov_b64 s[0:1], -1
                                        ; implicit-def: $vgpr0_vgpr1
	s_branch .LBB6_518
.LBB6_514:
	s_mov_b64 s[0:1], -1
                                        ; implicit-def: $vgpr0_vgpr1
.LBB6_515:
	s_andn2_b64 vcc, exec, s[0:1]
	s_cbranch_vccnz .LBB6_517
; %bb.516:
	global_load_dword v0, v[2:3], off
	s_waitcnt vmcnt(0)
	v_cvt_f64_i32_e32 v[0:1], v0
.LBB6_517:
	s_mov_b64 s[0:1], 0
.LBB6_518:
	s_andn2_b64 vcc, exec, s[0:1]
	s_cbranch_vccnz .LBB6_520
; %bb.519:
	global_load_sshort v0, v[2:3], off
	s_waitcnt vmcnt(0)
	v_cvt_f64_i32_e32 v[0:1], v0
.LBB6_520:
	s_mov_b64 s[0:1], 0
.LBB6_521:
	s_andn2_b64 vcc, exec, s[0:1]
	s_cbranch_vccnz .LBB6_527
; %bb.522:
	v_mov_b32_e32 v0, 0
	v_cmp_gt_i16_sdwa s[0:1], v16, v0 src0_sel:BYTE_0 src1_sel:DWORD
	s_and_b64 vcc, exec, s[0:1]
	s_cbranch_vccz .LBB6_524
; %bb.523:
	global_load_sbyte v0, v[2:3], off
	s_mov_b64 s[0:1], 0
	s_waitcnt vmcnt(0)
	v_cvt_f64_i32_e32 v[0:1], v0
	s_branch .LBB6_525
.LBB6_524:
	s_mov_b64 s[0:1], -1
                                        ; implicit-def: $vgpr0_vgpr1
.LBB6_525:
	s_andn2_b64 vcc, exec, s[0:1]
	s_cbranch_vccnz .LBB6_527
; %bb.526:
	global_load_ubyte v0, v[2:3], off
	s_waitcnt vmcnt(0)
	v_cvt_f64_u32_e32 v[0:1], v0
.LBB6_527:
	s_branch .LBB6_398
.LBB6_528:
	s_mov_b64 s[34:35], 0
	s_mov_b64 s[0:1], s[6:7]
	;; [unrolled: 1-line block ×3, first 2 shown]
.LBB6_529:
                                        ; implicit-def: $vgpr19
	s_branch .LBB6_771
.LBB6_530:
	s_or_saveexec_b64 s[28:29], s[28:29]
                                        ; implicit-def: $sgpr15
	s_xor_b64 exec, exec, s[28:29]
	s_cbranch_execz .LBB6_118
.LBB6_531:
	s_mov_b32 s15, 0x42800000
	v_add_f32_e64 v3, |v2|, s15
	v_and_b32_e32 v3, 0xff, v3
	v_cmp_ne_u32_e32 vcc, 0, v3
	s_andn2_b64 s[24:25], s[24:25], exec
	s_and_b64 s[30:31], vcc, exec
	s_mov_b32 s15, 0
	s_or_b64 s[24:25], s[24:25], s[30:31]
	s_or_b64 exec, exec, s[28:29]
	v_mov_b32_e32 v6, s15
	s_and_saveexec_b64 s[28:29], s[24:25]
	s_cbranch_execnz .LBB6_119
	s_branch .LBB6_120
.LBB6_532:
	s_mov_b64 s[26:27], -1
                                        ; implicit-def: $vgpr4_vgpr5
	s_mov_b64 s[0:1], 0
.LBB6_533:
	s_and_b64 vcc, exec, s[28:29]
	s_cbranch_vccz .LBB6_537
; %bb.534:
	v_mov_b32_e32 v4, 44
	v_cmp_eq_u16_sdwa s[26:27], v20, v4 src0_sel:BYTE_0 src1_sel:DWORD
	s_and_b64 vcc, exec, s[26:27]
	s_cbranch_vccz .LBB6_536
; %bb.535:
	global_load_ubyte v6, v[2:3], off
	s_movk_i32 s15, 0xff
	v_bfrev_b32_e32 v7, 4
	v_mov_b32_e32 v8, 0x7ff80000
	v_bfrev_b32_e32 v9, 28
	s_mov_b64 s[0:1], -1
	s_mov_b64 s[26:27], 0
	s_waitcnt vmcnt(0)
	v_lshlrev_b32_e32 v4, 23, v6
	v_cvt_f64_f32_e32 v[4:5], v4
	v_cmp_ne_u32_e32 vcc, s15, v6
	v_cndmask_b32_e32 v4, v7, v4, vcc
	v_cndmask_b32_e32 v5, v8, v5, vcc
	v_cmp_ne_u32_e32 vcc, 0, v6
	v_cndmask_b32_e32 v5, v9, v5, vcc
	v_cndmask_b32_e32 v4, 0, v4, vcc
	s_branch .LBB6_537
.LBB6_536:
	s_mov_b64 s[26:27], -1
                                        ; implicit-def: $vgpr4_vgpr5
.LBB6_537:
	s_mov_b64 s[28:29], 0
.LBB6_538:
	s_and_b64 vcc, exec, s[28:29]
	s_cbranch_vccz .LBB6_542
; %bb.539:
	v_mov_b32_e32 v4, 29
	v_cmp_eq_u16_sdwa s[26:27], v20, v4 src0_sel:BYTE_0 src1_sel:DWORD
	s_and_b64 vcc, exec, s[26:27]
	s_cbranch_vccz .LBB6_541
; %bb.540:
	global_load_dwordx2 v[4:5], v[2:3], off
	s_mov_b64 s[0:1], -1
	s_mov_b64 s[26:27], 0
	s_mov_b64 s[28:29], 0
	s_waitcnt vmcnt(0)
	v_cvt_f64_u32_e32 v[6:7], v5
	v_cvt_f64_u32_e32 v[4:5], v4
	v_ldexp_f64 v[6:7], v[6:7], 32
	v_add_f64 v[4:5], v[6:7], v[4:5]
	s_branch .LBB6_543
.LBB6_541:
	s_mov_b64 s[26:27], -1
                                        ; implicit-def: $vgpr4_vgpr5
.LBB6_542:
	s_mov_b64 s[28:29], 0
.LBB6_543:
	s_and_b64 vcc, exec, s[28:29]
	s_cbranch_vccz .LBB6_561
; %bb.544:
	v_mov_b32_e32 v4, 27
	v_cmp_lt_i16_sdwa s[0:1], v20, v4 src0_sel:BYTE_0 src1_sel:DWORD
	s_and_b64 vcc, exec, s[0:1]
	s_cbranch_vccnz .LBB6_547
; %bb.545:
	v_cmp_gt_i16_sdwa s[0:1], v20, v4 src0_sel:BYTE_0 src1_sel:DWORD
	s_and_b64 vcc, exec, s[0:1]
	s_cbranch_vccz .LBB6_548
; %bb.546:
	global_load_dword v4, v[2:3], off
	s_mov_b64 s[0:1], 0
	s_waitcnt vmcnt(0)
	v_cvt_f64_u32_e32 v[4:5], v4
	s_branch .LBB6_549
.LBB6_547:
	s_mov_b64 s[0:1], -1
                                        ; implicit-def: $vgpr4_vgpr5
	s_branch .LBB6_552
.LBB6_548:
	s_mov_b64 s[0:1], -1
                                        ; implicit-def: $vgpr4_vgpr5
.LBB6_549:
	s_andn2_b64 vcc, exec, s[0:1]
	s_cbranch_vccnz .LBB6_551
; %bb.550:
	global_load_ushort v4, v[2:3], off
	s_waitcnt vmcnt(0)
	v_cvt_f64_u32_e32 v[4:5], v4
.LBB6_551:
	s_mov_b64 s[0:1], 0
.LBB6_552:
	s_andn2_b64 vcc, exec, s[0:1]
	s_cbranch_vccnz .LBB6_560
; %bb.553:
	global_load_ubyte v6, v[2:3], off
	s_movk_i32 s0, 0x7f
                                        ; implicit-def: $sgpr28_sgpr29
	s_waitcnt vmcnt(0)
	v_cmp_lt_i16_e32 vcc, s0, v6
	s_mov_b64 s[0:1], 0
	s_and_saveexec_b64 s[34:35], vcc
	s_xor_b64 s[34:35], exec, s[34:35]
	s_cbranch_execz .LBB6_574
; %bb.554:
	s_movk_i32 s0, 0x80
	v_cmp_eq_u16_e32 vcc, s0, v6
	s_mov_b64 s[36:37], -1
                                        ; implicit-def: $sgpr28_sgpr29
	s_and_saveexec_b64 s[0:1], vcc
; %bb.555:
	s_mov_b32 s29, 0x7ff80000
	s_brev_b32 s28, 4
	s_xor_b64 s[36:37], exec, -1
; %bb.556:
	s_or_b64 exec, exec, s[0:1]
	s_and_b64 s[0:1], s[36:37], exec
	s_or_saveexec_b64 s[34:35], s[34:35]
	v_pk_mov_b32 v[4:5], s[28:29], s[28:29] op_sel:[0,1]
	s_xor_b64 exec, exec, s[34:35]
	s_cbranch_execnz .LBB6_575
.LBB6_557:
	s_or_b64 exec, exec, s[34:35]
	s_and_saveexec_b64 s[28:29], s[0:1]
	s_cbranch_execz .LBB6_559
.LBB6_558:
	v_and_b32_e32 v5, 0xffff, v6
	v_lshlrev_b32_e32 v4, 24, v6
	v_and_b32_e32 v6, 7, v5
	v_ffbh_u32_e32 v8, v6
	v_min_u32_e32 v8, 32, v8
	v_subrev_u32_e32 v9, 28, v8
	v_bfe_u32 v7, v5, 3, 4
	v_lshlrev_b32_e32 v5, v9, v5
	v_sub_u32_e32 v8, 29, v8
	v_and_b32_e32 v5, 7, v5
	v_cmp_eq_u32_e32 vcc, 0, v7
	v_cndmask_b32_e32 v7, v7, v8, vcc
	v_cndmask_b32_e32 v5, v6, v5, vcc
	v_mov_b32_e32 v6, 0x3b800000
	v_lshlrev_b32_e32 v5, 20, v5
	v_and_b32_e32 v4, 0x80000000, v4
	v_lshl_add_u32 v6, v7, 23, v6
	v_or3_b32 v4, v4, v6, v5
	v_cvt_f64_f32_e32 v[4:5], v4
.LBB6_559:
	s_or_b64 exec, exec, s[28:29]
.LBB6_560:
	s_mov_b64 s[0:1], -1
.LBB6_561:
	s_mov_b64 s[28:29], 0
.LBB6_562:
	s_and_b64 vcc, exec, s[28:29]
	s_cbranch_vccz .LBB6_597
; %bb.563:
	v_mov_b32_e32 v4, 22
	v_cmp_gt_i16_sdwa s[28:29], v20, v4 src0_sel:BYTE_0 src1_sel:DWORD
	s_and_b64 vcc, exec, s[28:29]
	s_cbranch_vccz .LBB6_573
; %bb.564:
	v_mov_b32_e32 v4, 24
	v_cmp_lt_i16_sdwa s[0:1], v20, v4 src0_sel:BYTE_0 src1_sel:DWORD
	s_and_b64 vcc, exec, s[0:1]
	s_cbranch_vccnz .LBB6_576
; %bb.565:
	v_cmp_gt_i16_sdwa s[0:1], v20, v4 src0_sel:BYTE_0 src1_sel:DWORD
	s_and_b64 vcc, exec, s[0:1]
	s_cbranch_vccz .LBB6_577
; %bb.566:
	global_load_ubyte v6, v[2:3], off
	s_movk_i32 s0, 0x7f
                                        ; implicit-def: $sgpr28_sgpr29
	s_waitcnt vmcnt(0)
	v_cmp_lt_i16_e32 vcc, s0, v6
	s_mov_b64 s[0:1], 0
	s_and_saveexec_b64 s[34:35], vcc
	s_xor_b64 s[34:35], exec, s[34:35]
	s_cbranch_execz .LBB6_589
; %bb.567:
	s_movk_i32 s0, 0x80
	v_cmp_eq_u16_e32 vcc, s0, v6
	s_mov_b64 s[36:37], -1
                                        ; implicit-def: $sgpr28_sgpr29
	s_and_saveexec_b64 s[0:1], vcc
; %bb.568:
	s_mov_b32 s29, 0x7ff80000
	s_brev_b32 s28, 4
	s_xor_b64 s[36:37], exec, -1
; %bb.569:
	s_or_b64 exec, exec, s[0:1]
	s_and_b64 s[0:1], s[36:37], exec
	s_or_saveexec_b64 s[34:35], s[34:35]
	v_pk_mov_b32 v[4:5], s[28:29], s[28:29] op_sel:[0,1]
	s_xor_b64 exec, exec, s[34:35]
	s_cbranch_execnz .LBB6_590
.LBB6_570:
	s_or_b64 exec, exec, s[34:35]
	s_and_saveexec_b64 s[28:29], s[0:1]
	s_cbranch_execz .LBB6_572
.LBB6_571:
	v_and_b32_e32 v5, 0xffff, v6
	v_lshlrev_b32_e32 v4, 24, v6
	v_and_b32_e32 v6, 3, v5
	v_ffbh_u32_e32 v8, v6
	v_min_u32_e32 v8, 32, v8
	v_subrev_u32_e32 v9, 29, v8
	v_bfe_u32 v7, v5, 2, 5
	v_lshlrev_b32_e32 v5, v9, v5
	v_sub_u32_e32 v8, 30, v8
	v_and_b32_e32 v5, 3, v5
	v_cmp_eq_u32_e32 vcc, 0, v7
	v_cndmask_b32_e32 v7, v7, v8, vcc
	v_cndmask_b32_e32 v5, v6, v5, vcc
	v_mov_b32_e32 v6, 0x37800000
	v_lshlrev_b32_e32 v5, 21, v5
	v_and_b32_e32 v4, 0x80000000, v4
	v_lshl_add_u32 v6, v7, 23, v6
	v_or3_b32 v4, v4, v6, v5
	v_cvt_f64_f32_e32 v[4:5], v4
.LBB6_572:
	s_or_b64 exec, exec, s[28:29]
	s_mov_b64 s[0:1], 0
	s_branch .LBB6_578
.LBB6_573:
	s_mov_b64 s[28:29], -1
                                        ; implicit-def: $vgpr4_vgpr5
	s_branch .LBB6_584
.LBB6_574:
	s_or_saveexec_b64 s[34:35], s[34:35]
	v_pk_mov_b32 v[4:5], s[28:29], s[28:29] op_sel:[0,1]
	s_xor_b64 exec, exec, s[34:35]
	s_cbranch_execz .LBB6_557
.LBB6_575:
	v_cmp_ne_u16_e32 vcc, 0, v6
	s_andn2_b64 s[0:1], s[0:1], exec
	s_and_b64 s[28:29], vcc, exec
	v_pk_mov_b32 v[4:5], 0, 0
	s_or_b64 s[0:1], s[0:1], s[28:29]
	s_or_b64 exec, exec, s[34:35]
	s_and_saveexec_b64 s[28:29], s[0:1]
	s_cbranch_execnz .LBB6_558
	s_branch .LBB6_559
.LBB6_576:
	s_mov_b64 s[0:1], -1
                                        ; implicit-def: $vgpr4_vgpr5
	s_branch .LBB6_581
.LBB6_577:
	s_mov_b64 s[0:1], -1
                                        ; implicit-def: $vgpr4_vgpr5
.LBB6_578:
	s_and_b64 vcc, exec, s[0:1]
	s_cbranch_vccz .LBB6_580
; %bb.579:
	global_load_ubyte v4, v[2:3], off
	s_mov_b32 s0, 0x7f800000
	s_waitcnt vmcnt(0)
	v_lshlrev_b32_e32 v4, 24, v4
	v_and_b32_e32 v5, 0x7f000000, v4
	v_ffbh_u32_e32 v6, v5
	v_min_u32_e32 v6, 32, v6
	v_sub_u32_e64 v6, v6, 4 clamp
	v_lshlrev_b32_e32 v8, v6, v5
	v_lshlrev_b32_e32 v6, 23, v6
	v_lshrrev_b32_e32 v8, 4, v8
	v_add_u32_e32 v7, 0x1000000, v5
	v_sub_u32_e32 v6, v8, v6
	v_ashrrev_i32_e32 v7, 8, v7
	v_add_u32_e32 v6, 0x3c000000, v6
	v_and_or_b32 v6, v7, s0, v6
	v_cmp_ne_u32_e32 vcc, 0, v5
	v_cndmask_b32_e32 v5, 0, v6, vcc
	s_brev_b32 s0, 1
	v_and_or_b32 v4, v4, s0, v5
	v_cvt_f64_f32_e32 v[4:5], v4
.LBB6_580:
	s_mov_b64 s[0:1], 0
.LBB6_581:
	s_andn2_b64 vcc, exec, s[0:1]
	s_cbranch_vccnz .LBB6_583
; %bb.582:
	global_load_ubyte v4, v[2:3], off
	s_movk_i32 s0, 0x7f00
	s_brev_b32 s1, 16
	s_waitcnt vmcnt(0)
	v_lshlrev_b16_e32 v5, 8, v4
	v_lshlrev_b32_e32 v4, 25, v4
	v_lshrrev_b32_e32 v6, 4, v4
	v_and_or_b32 v7, v5, s0, 0.5
	v_or_b32_e32 v6, 0x70000000, v6
	v_add_f32_e32 v7, -0.5, v7
	v_mul_f32_e32 v6, 0x7800000, v6
	v_cmp_gt_u32_e32 vcc, s1, v4
	v_bfe_i32 v5, v5, 0, 16
	v_cndmask_b32_e32 v4, v6, v7, vcc
	s_brev_b32 s0, 1
	v_and_or_b32 v4, v5, s0, v4
	v_cvt_f64_f32_e32 v[4:5], v4
.LBB6_583:
	s_mov_b64 s[28:29], 0
	s_mov_b64 s[0:1], -1
.LBB6_584:
	s_andn2_b64 vcc, exec, s[28:29]
	s_cbranch_vccnz .LBB6_597
; %bb.585:
	v_mov_b32_e32 v4, 14
	v_cmp_gt_i16_sdwa s[28:29], v20, v4 src0_sel:BYTE_0 src1_sel:DWORD
	s_and_b64 vcc, exec, s[28:29]
	s_cbranch_vccz .LBB6_588
; %bb.586:
	v_mov_b32_e32 v4, 15
	v_cmp_eq_u16_sdwa s[26:27], v20, v4 src0_sel:BYTE_0 src1_sel:DWORD
	s_and_b64 vcc, exec, s[26:27]
	s_cbranch_vccz .LBB6_591
; %bb.587:
	global_load_ushort v4, v[2:3], off
	s_mov_b64 s[0:1], -1
	s_mov_b64 s[26:27], 0
	s_waitcnt vmcnt(0)
	v_lshlrev_b32_e32 v4, 16, v4
	v_cvt_f64_f32_e32 v[4:5], v4
	s_branch .LBB6_592
.LBB6_588:
	s_mov_b64 s[28:29], -1
                                        ; implicit-def: $vgpr4_vgpr5
	s_branch .LBB6_593
.LBB6_589:
	s_or_saveexec_b64 s[34:35], s[34:35]
	v_pk_mov_b32 v[4:5], s[28:29], s[28:29] op_sel:[0,1]
	s_xor_b64 exec, exec, s[34:35]
	s_cbranch_execz .LBB6_570
.LBB6_590:
	v_cmp_ne_u16_e32 vcc, 0, v6
	s_andn2_b64 s[0:1], s[0:1], exec
	s_and_b64 s[28:29], vcc, exec
	v_pk_mov_b32 v[4:5], 0, 0
	s_or_b64 s[0:1], s[0:1], s[28:29]
	s_or_b64 exec, exec, s[34:35]
	s_and_saveexec_b64 s[28:29], s[0:1]
	s_cbranch_execnz .LBB6_571
	s_branch .LBB6_572
.LBB6_591:
	s_mov_b64 s[26:27], -1
                                        ; implicit-def: $vgpr4_vgpr5
.LBB6_592:
	s_mov_b64 s[28:29], 0
.LBB6_593:
	s_and_b64 vcc, exec, s[28:29]
	s_cbranch_vccz .LBB6_597
; %bb.594:
	v_mov_b32_e32 v4, 11
	v_cmp_eq_u16_sdwa s[26:27], v20, v4 src0_sel:BYTE_0 src1_sel:DWORD
	s_and_b64 vcc, exec, s[26:27]
	s_cbranch_vccz .LBB6_596
; %bb.595:
	global_load_ubyte v5, v[2:3], off
	v_mov_b32_e32 v6, 0x3ff00000
	v_mov_b32_e32 v4, 0
	s_mov_b64 s[0:1], -1
	s_mov_b64 s[26:27], 0
	s_waitcnt vmcnt(0)
	v_cmp_ne_u16_e32 vcc, 0, v5
	v_cndmask_b32_e32 v5, 0, v6, vcc
	s_branch .LBB6_597
.LBB6_596:
	s_mov_b64 s[26:27], -1
                                        ; implicit-def: $vgpr4_vgpr5
.LBB6_597:
	s_mov_b64 s[28:29], 0
.LBB6_598:
	s_and_b64 vcc, exec, s[28:29]
	s_cbranch_vccz .LBB6_647
; %bb.599:
	v_mov_b32_e32 v4, 5
	v_cmp_lt_i16_sdwa s[0:1], v20, v4 src0_sel:BYTE_0 src1_sel:DWORD
	s_and_b64 vcc, exec, s[0:1]
	s_cbranch_vccnz .LBB6_604
; %bb.600:
	v_mov_b32_e32 v4, 8
	v_cmp_lt_i16_sdwa s[0:1], v20, v4 src0_sel:BYTE_0 src1_sel:DWORD
	s_and_b64 vcc, exec, s[0:1]
	s_cbranch_vccnz .LBB6_605
; %bb.601:
	v_mov_b32_e32 v4, 9
	v_cmp_lt_i16_sdwa s[0:1], v20, v4 src0_sel:BYTE_0 src1_sel:DWORD
	s_and_b64 vcc, exec, s[0:1]
	s_cbranch_vccnz .LBB6_606
; %bb.602:
	v_cmp_gt_i16_sdwa s[0:1], v20, v4 src0_sel:BYTE_0 src1_sel:DWORD
	s_and_b64 vcc, exec, s[0:1]
	s_cbranch_vccz .LBB6_607
; %bb.603:
	global_load_dwordx2 v[4:5], v[2:3], off
	s_mov_b64 s[0:1], 0
	s_branch .LBB6_608
.LBB6_604:
	s_mov_b64 s[0:1], -1
                                        ; implicit-def: $vgpr4_vgpr5
	s_branch .LBB6_626
.LBB6_605:
	s_mov_b64 s[0:1], -1
                                        ; implicit-def: $vgpr4_vgpr5
	s_branch .LBB6_614
.LBB6_606:
	s_mov_b64 s[0:1], -1
                                        ; implicit-def: $vgpr4_vgpr5
	s_branch .LBB6_611
.LBB6_607:
	s_mov_b64 s[0:1], -1
                                        ; implicit-def: $vgpr4_vgpr5
.LBB6_608:
	s_andn2_b64 vcc, exec, s[0:1]
	s_cbranch_vccnz .LBB6_610
; %bb.609:
	global_load_dword v4, v[2:3], off
	s_waitcnt vmcnt(0)
	v_cvt_f64_f32_e32 v[4:5], v4
.LBB6_610:
	s_mov_b64 s[0:1], 0
.LBB6_611:
	s_andn2_b64 vcc, exec, s[0:1]
	s_cbranch_vccnz .LBB6_613
; %bb.612:
	global_load_dword v4, v[2:3], off
	s_waitcnt vmcnt(0)
	v_cvt_f32_f16_e32 v4, v4
	v_cvt_f64_f32_e32 v[4:5], v4
.LBB6_613:
	s_mov_b64 s[0:1], 0
.LBB6_614:
	s_andn2_b64 vcc, exec, s[0:1]
	s_cbranch_vccnz .LBB6_625
; %bb.615:
	s_waitcnt vmcnt(0)
	v_mov_b32_e32 v4, 6
	v_cmp_lt_i16_sdwa s[0:1], v20, v4 src0_sel:BYTE_0 src1_sel:DWORD
	s_and_b64 vcc, exec, s[0:1]
	s_cbranch_vccnz .LBB6_618
; %bb.616:
	v_cmp_gt_i16_sdwa s[0:1], v20, v4 src0_sel:BYTE_0 src1_sel:DWORD
	s_and_b64 vcc, exec, s[0:1]
	s_cbranch_vccz .LBB6_619
; %bb.617:
	global_load_dwordx2 v[4:5], v[2:3], off
	s_mov_b64 s[0:1], 0
	s_branch .LBB6_620
.LBB6_618:
	s_mov_b64 s[0:1], -1
                                        ; implicit-def: $vgpr4_vgpr5
	s_branch .LBB6_623
.LBB6_619:
	s_mov_b64 s[0:1], -1
                                        ; implicit-def: $vgpr4_vgpr5
.LBB6_620:
	s_andn2_b64 vcc, exec, s[0:1]
	s_cbranch_vccnz .LBB6_622
; %bb.621:
	global_load_dword v4, v[2:3], off
	s_waitcnt vmcnt(0)
	v_cvt_f64_f32_e32 v[4:5], v4
.LBB6_622:
	s_mov_b64 s[0:1], 0
.LBB6_623:
	s_andn2_b64 vcc, exec, s[0:1]
	s_cbranch_vccnz .LBB6_625
; %bb.624:
	global_load_ushort v4, v[2:3], off
	s_waitcnt vmcnt(0)
	v_cvt_f32_f16_e32 v4, v4
	v_cvt_f64_f32_e32 v[4:5], v4
.LBB6_625:
	s_mov_b64 s[0:1], 0
.LBB6_626:
	s_andn2_b64 vcc, exec, s[0:1]
	s_cbranch_vccnz .LBB6_646
; %bb.627:
	s_waitcnt vmcnt(0)
	v_mov_b32_e32 v4, 2
	v_cmp_lt_i16_sdwa s[0:1], v20, v4 src0_sel:BYTE_0 src1_sel:DWORD
	s_and_b64 vcc, exec, s[0:1]
	s_cbranch_vccnz .LBB6_631
; %bb.628:
	v_mov_b32_e32 v4, 3
	v_cmp_lt_i16_sdwa s[0:1], v20, v4 src0_sel:BYTE_0 src1_sel:DWORD
	s_and_b64 vcc, exec, s[0:1]
	s_cbranch_vccnz .LBB6_632
; %bb.629:
	v_cmp_gt_i16_sdwa s[0:1], v20, v4 src0_sel:BYTE_0 src1_sel:DWORD
	s_and_b64 vcc, exec, s[0:1]
	s_cbranch_vccz .LBB6_633
; %bb.630:
	global_load_dwordx2 v[4:5], v[2:3], off
	s_mov_b64 s[0:1], 0
	s_waitcnt vmcnt(0)
	v_cvt_f64_i32_e32 v[6:7], v5
	v_cvt_f64_u32_e32 v[4:5], v4
	v_ldexp_f64 v[6:7], v[6:7], 32
	v_add_f64 v[4:5], v[6:7], v[4:5]
	s_branch .LBB6_634
.LBB6_631:
	s_mov_b64 s[0:1], -1
                                        ; implicit-def: $vgpr4_vgpr5
	s_branch .LBB6_640
.LBB6_632:
	s_mov_b64 s[0:1], -1
                                        ; implicit-def: $vgpr4_vgpr5
	s_branch .LBB6_637
.LBB6_633:
	s_mov_b64 s[0:1], -1
                                        ; implicit-def: $vgpr4_vgpr5
.LBB6_634:
	s_andn2_b64 vcc, exec, s[0:1]
	s_cbranch_vccnz .LBB6_636
; %bb.635:
	global_load_dword v4, v[2:3], off
	s_waitcnt vmcnt(0)
	v_cvt_f64_i32_e32 v[4:5], v4
.LBB6_636:
	s_mov_b64 s[0:1], 0
.LBB6_637:
	s_andn2_b64 vcc, exec, s[0:1]
	s_cbranch_vccnz .LBB6_639
; %bb.638:
	global_load_sshort v4, v[2:3], off
	s_waitcnt vmcnt(0)
	v_cvt_f64_i32_e32 v[4:5], v4
.LBB6_639:
	s_mov_b64 s[0:1], 0
.LBB6_640:
	s_andn2_b64 vcc, exec, s[0:1]
	s_cbranch_vccnz .LBB6_646
; %bb.641:
	v_mov_b32_e32 v4, 0
	v_cmp_gt_i16_sdwa s[0:1], v20, v4 src0_sel:BYTE_0 src1_sel:DWORD
	s_and_b64 vcc, exec, s[0:1]
	s_cbranch_vccz .LBB6_643
; %bb.642:
	global_load_sbyte v4, v[2:3], off
	s_mov_b64 s[0:1], 0
	s_waitcnt vmcnt(0)
	v_cvt_f64_i32_e32 v[4:5], v4
	s_branch .LBB6_644
.LBB6_643:
	s_mov_b64 s[0:1], -1
                                        ; implicit-def: $vgpr4_vgpr5
.LBB6_644:
	s_andn2_b64 vcc, exec, s[0:1]
	s_cbranch_vccnz .LBB6_646
; %bb.645:
	global_load_ubyte v2, v[2:3], off
	s_waitcnt vmcnt(0)
	v_cvt_f64_u32_e32 v[4:5], v2
.LBB6_646:
	s_mov_b64 s[0:1], -1
.LBB6_647:
	s_andn2_b64 vcc, exec, s[0:1]
	s_cbranch_vccnz .LBB6_655
; %bb.648:
	s_waitcnt vmcnt(0)
	v_mul_f64 v[2:3], v[0:1], v[4:5]
	v_cmp_lt_f64_e32 vcc, 0, v[0:1]
	v_cndmask_b32_e32 v0, v2, v0, vcc
	v_mul_lo_u32 v2, v19, s12
	v_cndmask_b32_e32 v1, v3, v1, vcc
	v_ashrrev_i32_e32 v3, 31, v2
	v_mov_b32_e32 v5, s9
	v_add_co_u32_e32 v4, vcc, s8, v2
	v_mov_b32_e32 v2, 11
	v_addc_co_u32_e32 v5, vcc, v5, v3, vcc
	v_cmp_lt_i16_sdwa s[0:1], v18, v2 src0_sel:BYTE_0 src1_sel:DWORD
	s_mov_b64 s[28:29], 0
	s_mov_b64 s[34:35], -1
	s_and_b64 vcc, exec, s[0:1]
	s_mov_b64 s[0:1], s[6:7]
	s_cbranch_vccnz .LBB6_656
; %bb.649:
	v_mov_b32_e32 v2, 25
	v_cmp_gt_i16_sdwa s[0:1], v18, v2 src0_sel:BYTE_0 src1_sel:DWORD
	s_and_b64 vcc, exec, s[0:1]
	s_cbranch_vccz .LBB6_696
; %bb.650:
	v_mov_b32_e32 v2, 28
	v_cmp_gt_i16_sdwa s[0:1], v18, v2 src0_sel:BYTE_0 src1_sel:DWORD
	s_and_b64 vcc, exec, s[0:1]
	s_cbranch_vccz .LBB6_697
	;; [unrolled: 5-line block ×4, first 2 shown]
; %bb.653:
	v_mov_b32_e32 v2, 46
	v_cmp_eq_u16_sdwa s[28:29], v18, v2 src0_sel:BYTE_0 src1_sel:DWORD
	s_mov_b64 s[34:35], 0
	s_mov_b64 s[0:1], -1
	s_and_b64 vcc, exec, s[28:29]
	s_mov_b64 s[28:29], 0
	s_cbranch_vccz .LBB6_700
; %bb.654:
	v_cvt_f32_f64_e32 v2, v[0:1]
	v_bfe_u32 v3, v2, 16, 1
	s_movk_i32 s0, 0x7fff
	v_add3_u32 v3, v2, v3, s0
	v_lshrrev_b32_e32 v3, 16, v3
	v_mov_b32_e32 v6, 0x7fc0
	v_cmp_o_f32_e32 vcc, v2, v2
	v_cndmask_b32_e32 v2, v6, v3, vcc
	global_store_dword v[4:5], v2, off
	s_mov_b64 s[28:29], -1
	s_mov_b64 s[0:1], 0
	s_branch .LBB6_700
.LBB6_655:
	s_mov_b64 s[34:35], 0
                                        ; implicit-def: $vgpr19
	s_mov_b64 s[0:1], s[6:7]
	s_branch .LBB6_771
.LBB6_656:
	s_and_b64 vcc, exec, s[34:35]
	s_cbranch_vccz .LBB6_769
; %bb.657:
	v_mov_b32_e32 v2, 5
	v_cmp_lt_i16_sdwa s[34:35], v18, v2 src0_sel:BYTE_0 src1_sel:DWORD
	s_mov_b64 s[28:29], -1
	s_and_b64 vcc, exec, s[34:35]
	s_cbranch_vccnz .LBB6_678
; %bb.658:
	v_mov_b32_e32 v2, 8
	v_cmp_lt_i16_sdwa s[34:35], v18, v2 src0_sel:BYTE_0 src1_sel:DWORD
	s_and_b64 vcc, exec, s[34:35]
	s_cbranch_vccnz .LBB6_668
; %bb.659:
	v_mov_b32_e32 v2, 9
	v_cmp_lt_i16_sdwa s[34:35], v18, v2 src0_sel:BYTE_0 src1_sel:DWORD
	s_and_b64 vcc, exec, s[34:35]
	s_cbranch_vccnz .LBB6_665
; %bb.660:
	v_cmp_gt_i16_sdwa s[34:35], v18, v2 src0_sel:BYTE_0 src1_sel:DWORD
	s_and_b64 vcc, exec, s[34:35]
	s_cbranch_vccz .LBB6_662
; %bb.661:
	v_mov_b32_e32 v2, 0
	v_mov_b32_e32 v3, v2
	s_mov_b64 s[28:29], 0
	global_store_dwordx4 v[4:5], v[0:3], off
.LBB6_662:
	s_andn2_b64 vcc, exec, s[28:29]
	s_cbranch_vccnz .LBB6_664
; %bb.663:
	v_cvt_f32_f64_e32 v2, v[0:1]
	v_mov_b32_e32 v3, 0
	global_store_dwordx2 v[4:5], v[2:3], off
.LBB6_664:
	s_mov_b64 s[28:29], 0
.LBB6_665:
	s_andn2_b64 vcc, exec, s[28:29]
	s_cbranch_vccnz .LBB6_667
; %bb.666:
	v_cvt_f32_f64_e32 v2, v[0:1]
	v_cvt_f16_f32_e32 v2, v2
	global_store_dword v[4:5], v2, off
.LBB6_667:
	s_mov_b64 s[28:29], 0
.LBB6_668:
	s_andn2_b64 vcc, exec, s[28:29]
	s_cbranch_vccnz .LBB6_677
; %bb.669:
	v_mov_b32_e32 v2, 6
	v_cmp_lt_i16_sdwa s[34:35], v18, v2 src0_sel:BYTE_0 src1_sel:DWORD
	s_mov_b64 s[28:29], -1
	s_and_b64 vcc, exec, s[34:35]
	s_cbranch_vccnz .LBB6_675
; %bb.670:
	v_cmp_gt_i16_sdwa s[34:35], v18, v2 src0_sel:BYTE_0 src1_sel:DWORD
	s_and_b64 vcc, exec, s[34:35]
	s_cbranch_vccz .LBB6_672
; %bb.671:
	s_mov_b64 s[28:29], 0
	global_store_dwordx2 v[4:5], v[0:1], off
.LBB6_672:
	s_andn2_b64 vcc, exec, s[28:29]
	s_cbranch_vccnz .LBB6_674
; %bb.673:
	v_cvt_f32_f64_e32 v2, v[0:1]
	global_store_dword v[4:5], v2, off
.LBB6_674:
	s_mov_b64 s[28:29], 0
.LBB6_675:
	s_andn2_b64 vcc, exec, s[28:29]
	s_cbranch_vccnz .LBB6_677
; %bb.676:
	v_cvt_f32_f64_e32 v2, v[0:1]
	v_cvt_f16_f32_e32 v2, v2
	global_store_short v[4:5], v2, off
.LBB6_677:
	s_mov_b64 s[28:29], 0
.LBB6_678:
	s_andn2_b64 vcc, exec, s[28:29]
	s_cbranch_vccnz .LBB6_694
; %bb.679:
	v_mov_b32_e32 v2, 2
	v_cmp_lt_i16_sdwa s[34:35], v18, v2 src0_sel:BYTE_0 src1_sel:DWORD
	s_mov_b64 s[28:29], -1
	s_and_b64 vcc, exec, s[34:35]
	s_cbranch_vccnz .LBB6_689
; %bb.680:
	v_mov_b32_e32 v2, 3
	v_cmp_lt_i16_sdwa s[34:35], v18, v2 src0_sel:BYTE_0 src1_sel:DWORD
	s_and_b64 vcc, exec, s[34:35]
	s_cbranch_vccnz .LBB6_686
; %bb.681:
	v_cmp_gt_i16_sdwa s[34:35], v18, v2 src0_sel:BYTE_0 src1_sel:DWORD
	s_and_b64 vcc, exec, s[34:35]
	s_cbranch_vccz .LBB6_683
; %bb.682:
	v_trunc_f64_e32 v[2:3], v[0:1]
	s_movk_i32 s15, 0xffe0
	v_ldexp_f64 v[6:7], v[2:3], s15
	v_floor_f64_e32 v[6:7], v[6:7]
	v_fmac_f64_e32 v[2:3], 0xc1f00000, v[6:7]
	v_cvt_i32_f64_e32 v9, v[6:7]
	v_cvt_u32_f64_e32 v8, v[2:3]
	s_mov_b64 s[28:29], 0
	global_store_dwordx2 v[4:5], v[8:9], off
.LBB6_683:
	s_andn2_b64 vcc, exec, s[28:29]
	s_cbranch_vccnz .LBB6_685
; %bb.684:
	v_cvt_i32_f64_e32 v2, v[0:1]
	global_store_dword v[4:5], v2, off
.LBB6_685:
	s_mov_b64 s[28:29], 0
.LBB6_686:
	s_andn2_b64 vcc, exec, s[28:29]
	s_cbranch_vccnz .LBB6_688
; %bb.687:
	v_cvt_i32_f64_e32 v2, v[0:1]
	global_store_short v[4:5], v2, off
.LBB6_688:
	s_mov_b64 s[28:29], 0
.LBB6_689:
	s_andn2_b64 vcc, exec, s[28:29]
	s_cbranch_vccnz .LBB6_694
; %bb.690:
	v_mov_b32_e32 v2, 0
	v_cmp_gt_i16_sdwa s[34:35], v18, v2 src0_sel:BYTE_0 src1_sel:DWORD
	s_mov_b64 s[28:29], -1
	s_and_b64 vcc, exec, s[34:35]
	s_cbranch_vccz .LBB6_692
; %bb.691:
	v_cvt_i32_f64_e32 v2, v[0:1]
	s_mov_b64 s[28:29], 0
	global_store_byte v[4:5], v2, off
.LBB6_692:
	s_andn2_b64 vcc, exec, s[28:29]
	s_cbranch_vccnz .LBB6_694
; %bb.693:
	v_trunc_f64_e32 v[0:1], v[0:1]
	s_movk_i32 s15, 0xffe0
	v_ldexp_f64 v[2:3], v[0:1], s15
	v_floor_f64_e32 v[2:3], v[2:3]
	v_fmac_f64_e32 v[0:1], 0xc1f00000, v[2:3]
	v_cvt_u32_f64_e32 v0, v[0:1]
	global_store_byte v[4:5], v0, off
.LBB6_694:
	s_branch .LBB6_770
.LBB6_695:
	s_mov_b64 s[34:35], 0
	s_branch .LBB6_529
.LBB6_696:
	s_mov_b64 s[0:1], s[6:7]
	s_branch .LBB6_727
.LBB6_697:
	s_mov_b64 s[0:1], s[6:7]
	s_branch .LBB6_710
.LBB6_698:
	s_mov_b64 s[0:1], s[6:7]
	s_branch .LBB6_706
.LBB6_699:
	s_mov_b64 s[0:1], s[6:7]
.LBB6_700:
	s_and_b64 vcc, exec, s[34:35]
	s_cbranch_vccz .LBB6_705
; %bb.701:
	v_mov_b32_e32 v2, 44
	v_cmp_eq_u16_sdwa s[34:35], v18, v2 src0_sel:BYTE_0 src1_sel:DWORD
	s_mov_b64 s[0:1], -1
	s_and_b64 vcc, exec, s[34:35]
	s_cbranch_vccz .LBB6_705
; %bb.702:
	v_cvt_f32_f64_e32 v2, v[0:1]
	v_bfe_u32 v3, v2, 23, 8
	s_movk_i32 s0, 0xff
	v_cmp_ne_u32_e32 vcc, s0, v3
	v_mov_b32_e32 v6, 0xff
	s_and_saveexec_b64 s[28:29], vcc
; %bb.703:
	s_mov_b32 s0, 0x3fffff
	v_lshrrev_b32_e32 v6, 23, v2
	v_and_b32_e32 v7, 0x400000, v2
	v_and_or_b32 v2, v2, s0, v3
	v_cmp_ne_u32_e32 vcc, 0, v7
	v_cmp_ne_u32_e64 s[0:1], 0, v2
	s_and_b64 s[0:1], vcc, s[0:1]
	v_cndmask_b32_e64 v2, 0, 1, s[0:1]
	v_add_u32_e32 v6, v6, v2
; %bb.704:
	s_or_b64 exec, exec, s[28:29]
	s_mov_b64 s[28:29], -1
	s_mov_b64 s[0:1], 0
	global_store_byte v[4:5], v6, off
.LBB6_705:
	s_mov_b64 s[34:35], 0
.LBB6_706:
	s_and_b64 vcc, exec, s[34:35]
	s_cbranch_vccz .LBB6_709
; %bb.707:
	v_mov_b32_e32 v2, 29
	v_cmp_eq_u16_sdwa s[34:35], v18, v2 src0_sel:BYTE_0 src1_sel:DWORD
	s_mov_b64 s[0:1], -1
	s_and_b64 vcc, exec, s[34:35]
	s_cbranch_vccz .LBB6_709
; %bb.708:
	v_trunc_f64_e32 v[2:3], v[0:1]
	s_movk_i32 s0, 0xffe0
	v_ldexp_f64 v[6:7], v[2:3], s0
	v_floor_f64_e32 v[6:7], v[6:7]
	v_fmac_f64_e32 v[2:3], 0xc1f00000, v[6:7]
	v_cvt_u32_f64_e32 v9, v[6:7]
	v_cvt_u32_f64_e32 v8, v[2:3]
	global_store_dwordx2 v[4:5], v[8:9], off
	s_mov_b64 s[28:29], -1
	s_mov_b64 s[0:1], 0
.LBB6_709:
	s_mov_b64 s[34:35], 0
.LBB6_710:
	s_and_b64 vcc, exec, s[34:35]
	s_cbranch_vccz .LBB6_726
; %bb.711:
	v_mov_b32_e32 v2, 27
	v_cmp_lt_i16_sdwa s[34:35], v18, v2 src0_sel:BYTE_0 src1_sel:DWORD
	s_mov_b64 s[28:29], -1
	s_and_b64 vcc, exec, s[34:35]
	s_cbranch_vccnz .LBB6_717
; %bb.712:
	v_cmp_gt_i16_sdwa s[34:35], v18, v2 src0_sel:BYTE_0 src1_sel:DWORD
	s_and_b64 vcc, exec, s[34:35]
	v_cvt_u32_f64_e32 v2, v[0:1]
	s_cbranch_vccz .LBB6_714
; %bb.713:
	s_mov_b64 s[28:29], 0
	global_store_dword v[4:5], v2, off
.LBB6_714:
	s_andn2_b64 vcc, exec, s[28:29]
	s_cbranch_vccnz .LBB6_716
; %bb.715:
	global_store_short v[4:5], v2, off
.LBB6_716:
	s_mov_b64 s[28:29], 0
.LBB6_717:
	s_andn2_b64 vcc, exec, s[28:29]
	s_cbranch_vccnz .LBB6_725
; %bb.718:
	v_cvt_f32_f64_e32 v2, v[0:1]
	v_and_b32_e32 v3, 0x7fffffff, v2
	s_mov_b32 s15, 0x43800000
	v_cmp_gt_u32_e32 vcc, s15, v3
	v_mov_b32_e32 v6, 0x80
	s_and_saveexec_b64 s[28:29], vcc
	s_cbranch_execz .LBB6_724
; %bb.719:
	s_mov_b32 s15, 0x3bffffff
	v_cmp_lt_u32_e32 vcc, s15, v3
	s_mov_b64 s[34:35], 0
                                        ; implicit-def: $vgpr3
	s_and_saveexec_b64 s[36:37], vcc
	s_xor_b64 s[36:37], exec, s[36:37]
	s_cbranch_execz .LBB6_786
; %bb.720:
	v_bfe_u32 v3, v2, 20, 1
	s_mov_b32 s15, 0x487ffff
	v_add3_u32 v3, v2, v3, s15
	s_mov_b64 s[34:35], exec
	v_lshrrev_b32_e32 v3, 20, v3
	s_or_saveexec_b64 s[36:37], s[36:37]
                                        ; implicit-def: $sgpr15
	s_xor_b64 exec, exec, s[36:37]
	s_cbranch_execnz .LBB6_787
.LBB6_721:
	s_or_b64 exec, exec, s[36:37]
	v_mov_b32_e32 v6, s15
	s_and_saveexec_b64 s[36:37], s[34:35]
.LBB6_722:
	v_lshrrev_b32_e32 v2, 24, v2
	s_movk_i32 s15, 0x80
	v_and_or_b32 v6, v2, s15, v3
.LBB6_723:
	s_or_b64 exec, exec, s[36:37]
.LBB6_724:
	s_or_b64 exec, exec, s[28:29]
	global_store_byte v[4:5], v6, off
.LBB6_725:
	s_mov_b64 s[28:29], -1
.LBB6_726:
	s_mov_b64 s[34:35], 0
.LBB6_727:
	s_and_b64 vcc, exec, s[34:35]
	s_cbranch_vccz .LBB6_768
; %bb.728:
	v_mov_b32_e32 v2, 22
	v_cmp_gt_i16_sdwa s[36:37], v18, v2 src0_sel:BYTE_0 src1_sel:DWORD
	s_mov_b64 s[34:35], -1
	s_and_b64 vcc, exec, s[36:37]
	s_cbranch_vccz .LBB6_760
; %bb.729:
	v_mov_b32_e32 v2, 24
	v_cmp_lt_i16_sdwa s[34:35], v18, v2 src0_sel:BYTE_0 src1_sel:DWORD
	s_mov_b64 s[28:29], -1
	s_and_b64 vcc, exec, s[34:35]
	s_cbranch_vccnz .LBB6_749
; %bb.730:
	v_cmp_gt_i16_sdwa s[34:35], v18, v2 src0_sel:BYTE_0 src1_sel:DWORD
	s_and_b64 vcc, exec, s[34:35]
	s_cbranch_vccz .LBB6_738
; %bb.731:
	v_cvt_f32_f64_e32 v2, v[0:1]
	v_and_b32_e32 v3, 0x7fffffff, v2
	s_mov_b32 s15, 0x47800000
	v_cmp_gt_u32_e32 vcc, s15, v3
	v_mov_b32_e32 v6, 0x80
	s_and_saveexec_b64 s[28:29], vcc
	s_cbranch_execz .LBB6_737
; %bb.732:
	s_mov_b32 s15, 0x37ffffff
	v_cmp_lt_u32_e32 vcc, s15, v3
	s_mov_b64 s[34:35], 0
                                        ; implicit-def: $vgpr3
	s_and_saveexec_b64 s[36:37], vcc
	s_xor_b64 s[36:37], exec, s[36:37]
	s_cbranch_execz .LBB6_918
; %bb.733:
	v_bfe_u32 v3, v2, 21, 1
	s_mov_b32 s15, 0x88fffff
	v_add3_u32 v3, v2, v3, s15
	s_mov_b64 s[34:35], exec
	v_lshrrev_b32_e32 v3, 21, v3
	s_or_saveexec_b64 s[36:37], s[36:37]
                                        ; implicit-def: $sgpr15
	s_xor_b64 exec, exec, s[36:37]
	s_cbranch_execnz .LBB6_919
.LBB6_734:
	s_or_b64 exec, exec, s[36:37]
	v_mov_b32_e32 v6, s15
	s_and_saveexec_b64 s[36:37], s[34:35]
.LBB6_735:
	v_lshrrev_b32_e32 v2, 24, v2
	s_movk_i32 s15, 0x80
	v_and_or_b32 v6, v2, s15, v3
.LBB6_736:
	s_or_b64 exec, exec, s[36:37]
.LBB6_737:
	s_or_b64 exec, exec, s[28:29]
	s_mov_b64 s[28:29], 0
	global_store_byte v[4:5], v6, off
.LBB6_738:
	s_and_b64 vcc, exec, s[28:29]
	s_cbranch_vccz .LBB6_748
; %bb.739:
	v_cvt_f32_f64_e32 v2, v[0:1]
	v_and_b32_e32 v6, 0x7fffffff, v2
	s_mov_b32 s15, 0x43f00000
	v_cmp_gt_u32_e32 vcc, s15, v6
                                        ; implicit-def: $vgpr3
	s_and_saveexec_b64 s[28:29], vcc
	s_xor_b64 s[28:29], exec, s[28:29]
	s_cbranch_execz .LBB6_745
; %bb.740:
	s_mov_b32 s15, 0x3c7fffff
	v_cmp_lt_u32_e32 vcc, s15, v6
                                        ; implicit-def: $vgpr3
	s_and_saveexec_b64 s[34:35], vcc
	s_xor_b64 s[34:35], exec, s[34:35]
; %bb.741:
	v_bfe_u32 v3, v2, 20, 1
	s_mov_b32 s15, 0x407ffff
	v_add3_u32 v3, v2, v3, s15
	v_lshrrev_b32_e32 v6, 20, v3
	v_and_b32_e32 v3, 0xff00000, v3
	s_mov_b32 s15, 0x7f00000
	v_mov_b32_e32 v7, 0x7e
	v_cmp_ne_u32_e32 vcc, s15, v3
	v_cndmask_b32_e32 v3, v7, v6, vcc
; %bb.742:
	s_andn2_saveexec_b64 s[34:35], s[34:35]
; %bb.743:
	s_mov_b32 s15, 0x46800000
	v_add_f32_e64 v3, |v2|, s15
; %bb.744:
	s_or_b64 exec, exec, s[34:35]
                                        ; implicit-def: $vgpr6
.LBB6_745:
	s_andn2_saveexec_b64 s[28:29], s[28:29]
; %bb.746:
	s_mov_b32 s15, 0x7f800000
	v_mov_b32_e32 v3, 0x7e
	v_mov_b32_e32 v7, 0x7f
	v_cmp_lt_u32_e32 vcc, s15, v6
	v_cndmask_b32_e32 v3, v3, v7, vcc
; %bb.747:
	s_or_b64 exec, exec, s[28:29]
	v_lshrrev_b32_e32 v2, 24, v2
	s_movk_i32 s15, 0x80
	v_and_or_b32 v2, v2, s15, v3
	global_store_byte v[4:5], v2, off
.LBB6_748:
	s_mov_b64 s[28:29], 0
.LBB6_749:
	s_andn2_b64 vcc, exec, s[28:29]
	s_cbranch_vccnz .LBB6_759
; %bb.750:
	v_cvt_f32_f64_e32 v2, v[0:1]
	v_and_b32_e32 v6, 0x7fffffff, v2
	s_mov_b32 s15, 0x47800000
	v_cmp_gt_u32_e32 vcc, s15, v6
                                        ; implicit-def: $vgpr3
	s_and_saveexec_b64 s[28:29], vcc
	s_xor_b64 s[28:29], exec, s[28:29]
	s_cbranch_execz .LBB6_756
; %bb.751:
	s_mov_b32 s15, 0x387fffff
	v_cmp_lt_u32_e32 vcc, s15, v6
                                        ; implicit-def: $vgpr3
	s_and_saveexec_b64 s[34:35], vcc
	s_xor_b64 s[34:35], exec, s[34:35]
; %bb.752:
	v_bfe_u32 v3, v2, 21, 1
	s_mov_b32 s15, 0x80fffff
	v_add3_u32 v3, v2, v3, s15
	v_lshrrev_b32_e32 v3, 21, v3
; %bb.753:
	s_andn2_saveexec_b64 s[34:35], s[34:35]
; %bb.754:
	s_mov_b32 s15, 0x43000000
	v_add_f32_e64 v3, |v2|, s15
; %bb.755:
	s_or_b64 exec, exec, s[34:35]
                                        ; implicit-def: $vgpr6
.LBB6_756:
	s_andn2_saveexec_b64 s[28:29], s[28:29]
; %bb.757:
	s_mov_b32 s15, 0x7f800000
	v_mov_b32_e32 v3, 0x7c
	v_mov_b32_e32 v7, 0x7f
	v_cmp_lt_u32_e32 vcc, s15, v6
	v_cndmask_b32_e32 v3, v3, v7, vcc
; %bb.758:
	s_or_b64 exec, exec, s[28:29]
	v_lshrrev_b32_e32 v2, 24, v2
	s_movk_i32 s15, 0x80
	v_and_or_b32 v2, v2, s15, v3
	global_store_byte v[4:5], v2, off
.LBB6_759:
	s_mov_b64 s[34:35], 0
	s_mov_b64 s[28:29], -1
.LBB6_760:
	s_andn2_b64 vcc, exec, s[34:35]
	s_cbranch_vccnz .LBB6_768
; %bb.761:
	v_mov_b32_e32 v2, 14
	v_cmp_gt_i16_sdwa s[36:37], v18, v2 src0_sel:BYTE_0 src1_sel:DWORD
	s_mov_b64 s[34:35], -1
	s_and_b64 vcc, exec, s[36:37]
	s_cbranch_vccz .LBB6_765
; %bb.762:
	v_mov_b32_e32 v2, 15
	v_cmp_eq_u16_sdwa s[34:35], v18, v2 src0_sel:BYTE_0 src1_sel:DWORD
	s_mov_b64 s[0:1], -1
	s_and_b64 vcc, exec, s[34:35]
	s_cbranch_vccz .LBB6_764
; %bb.763:
	v_cvt_f32_f64_e32 v2, v[0:1]
	v_bfe_u32 v3, v2, 16, 1
	s_movk_i32 s0, 0x7fff
	v_add3_u32 v3, v2, v3, s0
	v_lshrrev_b32_e32 v3, 16, v3
	v_mov_b32_e32 v6, 0x7fc0
	v_cmp_o_f32_e32 vcc, v2, v2
	v_cndmask_b32_e32 v2, v6, v3, vcc
	global_store_short v[4:5], v2, off
	s_mov_b64 s[28:29], -1
	s_mov_b64 s[0:1], 0
.LBB6_764:
	s_mov_b64 s[34:35], 0
.LBB6_765:
	s_and_b64 vcc, exec, s[34:35]
	s_cbranch_vccz .LBB6_768
; %bb.766:
	v_mov_b32_e32 v2, 11
	v_cmp_eq_u16_sdwa s[34:35], v18, v2 src0_sel:BYTE_0 src1_sel:DWORD
	s_mov_b64 s[0:1], -1
	s_and_b64 vcc, exec, s[34:35]
	s_cbranch_vccz .LBB6_768
; %bb.767:
	v_cmp_neq_f64_e32 vcc, 0, v[0:1]
	s_mov_b64 s[0:1], 0
	v_cndmask_b32_e64 v2, 0, 1, vcc
	s_mov_b64 s[28:29], -1
	global_store_byte v[4:5], v2, off
.LBB6_768:
.LBB6_769:
	s_andn2_b64 vcc, exec, s[28:29]
	s_cbranch_vccnz .LBB6_695
.LBB6_770:
	v_add_u32_e32 v19, 0x80, v19
	s_mov_b64 s[34:35], -1
.LBB6_771:
	s_andn2_b64 s[28:29], s[6:7], exec
	s_and_b64 s[0:1], s[0:1], exec
	s_or_b64 s[28:29], s[28:29], s[0:1]
	s_andn2_b64 s[0:1], s[18:19], exec
	s_and_b64 s[26:27], s[26:27], exec
	s_or_b64 s[26:27], s[0:1], s[26:27]
	;; [unrolled: 3-line block ×3, first 2 shown]
	s_orn2_b64 s[0:1], s[34:35], exec
.LBB6_772:
	s_or_b64 exec, exec, s[30:31]
	s_mov_b64 s[34:35], 0
	s_mov_b64 s[36:37], 0
	;; [unrolled: 1-line block ×3, first 2 shown]
                                        ; implicit-def: $vgpr4
                                        ; implicit-def: $vgpr0_vgpr1
                                        ; implicit-def: $vgpr2_vgpr3
	s_and_saveexec_b64 s[30:31], s[0:1]
	s_cbranch_execz .LBB6_1244
; %bb.773:
	v_cmp_gt_i32_e32 vcc, s33, v19
	s_mov_b64 s[46:47], -1
	s_mov_b64 s[0:1], s[24:25]
	s_mov_b64 s[38:39], s[26:27]
	;; [unrolled: 1-line block ×3, first 2 shown]
	s_and_saveexec_b64 s[34:35], vcc
	s_cbranch_execz .LBB6_1160
; %bb.774:
	s_waitcnt vmcnt(0)
	v_mul_lo_u32 v0, v19, s13
	v_ashrrev_i32_e32 v1, 31, v0
	v_mov_b32_e32 v3, s11
	v_add_co_u32_e32 v2, vcc, s10, v0
	v_mov_b32_e32 v0, 11
	v_addc_co_u32_e32 v3, vcc, v3, v1, vcc
	v_cmp_lt_i16_sdwa s[0:1], v16, v0 src0_sel:BYTE_0 src1_sel:DWORD
	s_and_b64 vcc, exec, s[0:1]
	s_cbranch_vccnz .LBB6_781
; %bb.775:
	v_mov_b32_e32 v0, 25
	v_cmp_gt_i16_sdwa s[0:1], v16, v0 src0_sel:BYTE_0 src1_sel:DWORD
	s_and_b64 vcc, exec, s[0:1]
	s_cbranch_vccz .LBB6_782
; %bb.776:
	v_mov_b32_e32 v0, 28
	v_cmp_gt_i16_sdwa s[0:1], v16, v0 src0_sel:BYTE_0 src1_sel:DWORD
	s_and_b64 vcc, exec, s[0:1]
	s_cbranch_vccz .LBB6_783
	;; [unrolled: 5-line block ×4, first 2 shown]
; %bb.779:
	v_mov_b32_e32 v0, 46
	v_cmp_eq_u16_sdwa s[0:1], v16, v0 src0_sel:BYTE_0 src1_sel:DWORD
	s_mov_b64 s[38:39], 0
	s_and_b64 vcc, exec, s[0:1]
	s_cbranch_vccz .LBB6_788
; %bb.780:
	global_load_dword v0, v[2:3], off
	s_mov_b64 s[0:1], -1
	s_waitcnt vmcnt(0)
	v_lshlrev_b32_e32 v0, 16, v0
	v_cvt_f64_f32_e32 v[0:1], v0
	s_branch .LBB6_789
.LBB6_781:
	s_mov_b64 s[38:39], -1
	s_mov_b64 s[0:1], 0
                                        ; implicit-def: $vgpr0_vgpr1
	s_mov_b64 s[36:37], s[24:25]
	s_branch .LBB6_854
.LBB6_782:
	s_mov_b64 s[38:39], -1
	s_mov_b64 s[0:1], 0
	s_mov_b64 s[36:37], s[24:25]
                                        ; implicit-def: $vgpr0_vgpr1
	s_branch .LBB6_818
.LBB6_783:
	s_mov_b64 s[38:39], -1
	s_mov_b64 s[0:1], 0
	s_mov_b64 s[36:37], s[24:25]
                                        ; implicit-def: $vgpr0_vgpr1
	s_branch .LBB6_799
.LBB6_784:
	s_mov_b64 s[38:39], -1
	s_mov_b64 s[0:1], 0
	s_mov_b64 s[36:37], s[24:25]
                                        ; implicit-def: $vgpr0_vgpr1
	s_branch .LBB6_794
.LBB6_785:
	s_mov_b64 s[38:39], -1
	s_mov_b64 s[0:1], 0
	s_mov_b64 s[36:37], s[24:25]
                                        ; implicit-def: $vgpr0_vgpr1
	s_branch .LBB6_789
.LBB6_786:
	s_or_saveexec_b64 s[36:37], s[36:37]
                                        ; implicit-def: $sgpr15
	s_xor_b64 exec, exec, s[36:37]
	s_cbranch_execz .LBB6_721
.LBB6_787:
	s_mov_b32 s15, 0x46000000
	v_add_f32_e64 v3, |v2|, s15
	v_and_b32_e32 v3, 0xff, v3
	v_cmp_ne_u32_e32 vcc, 0, v3
	s_andn2_b64 s[34:35], s[34:35], exec
	s_and_b64 s[38:39], vcc, exec
	s_mov_b32 s15, 0
	s_or_b64 s[34:35], s[34:35], s[38:39]
	s_or_b64 exec, exec, s[36:37]
	v_mov_b32_e32 v6, s15
	s_and_saveexec_b64 s[36:37], s[34:35]
	s_cbranch_execnz .LBB6_722
	s_branch .LBB6_723
.LBB6_788:
	s_mov_b64 s[36:37], -1
                                        ; implicit-def: $vgpr0_vgpr1
	s_mov_b64 s[0:1], 0
.LBB6_789:
	s_and_b64 vcc, exec, s[38:39]
	s_cbranch_vccz .LBB6_793
; %bb.790:
	v_mov_b32_e32 v0, 44
	v_cmp_eq_u16_sdwa s[36:37], v16, v0 src0_sel:BYTE_0 src1_sel:DWORD
	s_and_b64 vcc, exec, s[36:37]
	s_cbranch_vccz .LBB6_792
; %bb.791:
	global_load_ubyte v4, v[2:3], off
	s_movk_i32 s15, 0xff
	v_bfrev_b32_e32 v5, 4
	v_mov_b32_e32 v6, 0x7ff80000
	v_bfrev_b32_e32 v7, 28
	s_mov_b64 s[0:1], -1
	s_mov_b64 s[36:37], 0
	s_waitcnt vmcnt(0)
	v_lshlrev_b32_e32 v0, 23, v4
	v_cvt_f64_f32_e32 v[0:1], v0
	v_cmp_ne_u32_e32 vcc, s15, v4
	v_cndmask_b32_e32 v0, v5, v0, vcc
	v_cndmask_b32_e32 v1, v6, v1, vcc
	v_cmp_ne_u32_e32 vcc, 0, v4
	v_cndmask_b32_e32 v1, v7, v1, vcc
	v_cndmask_b32_e32 v0, 0, v0, vcc
	s_branch .LBB6_793
.LBB6_792:
	s_mov_b64 s[36:37], -1
                                        ; implicit-def: $vgpr0_vgpr1
.LBB6_793:
	s_mov_b64 s[38:39], 0
.LBB6_794:
	s_and_b64 vcc, exec, s[38:39]
	s_cbranch_vccz .LBB6_798
; %bb.795:
	v_mov_b32_e32 v0, 29
	v_cmp_eq_u16_sdwa s[36:37], v16, v0 src0_sel:BYTE_0 src1_sel:DWORD
	s_and_b64 vcc, exec, s[36:37]
	s_cbranch_vccz .LBB6_797
; %bb.796:
	global_load_dwordx2 v[0:1], v[2:3], off
	s_mov_b64 s[0:1], -1
	s_mov_b64 s[36:37], 0
	s_mov_b64 s[38:39], 0
	s_waitcnt vmcnt(0)
	v_cvt_f64_u32_e32 v[4:5], v1
	v_cvt_f64_u32_e32 v[0:1], v0
	v_ldexp_f64 v[4:5], v[4:5], 32
	v_add_f64 v[0:1], v[4:5], v[0:1]
	s_branch .LBB6_799
.LBB6_797:
	s_mov_b64 s[36:37], -1
                                        ; implicit-def: $vgpr0_vgpr1
.LBB6_798:
	s_mov_b64 s[38:39], 0
.LBB6_799:
	s_and_b64 vcc, exec, s[38:39]
	s_cbranch_vccz .LBB6_817
; %bb.800:
	v_mov_b32_e32 v0, 27
	v_cmp_lt_i16_sdwa s[0:1], v16, v0 src0_sel:BYTE_0 src1_sel:DWORD
	s_and_b64 vcc, exec, s[0:1]
	s_cbranch_vccnz .LBB6_803
; %bb.801:
	v_cmp_gt_i16_sdwa s[0:1], v16, v0 src0_sel:BYTE_0 src1_sel:DWORD
	s_and_b64 vcc, exec, s[0:1]
	s_cbranch_vccz .LBB6_804
; %bb.802:
	global_load_dword v0, v[2:3], off
	s_mov_b64 s[0:1], 0
	s_waitcnt vmcnt(0)
	v_cvt_f64_u32_e32 v[0:1], v0
	s_branch .LBB6_805
.LBB6_803:
	s_mov_b64 s[0:1], -1
                                        ; implicit-def: $vgpr0_vgpr1
	s_branch .LBB6_808
.LBB6_804:
	s_mov_b64 s[0:1], -1
                                        ; implicit-def: $vgpr0_vgpr1
.LBB6_805:
	s_andn2_b64 vcc, exec, s[0:1]
	s_cbranch_vccnz .LBB6_807
; %bb.806:
	global_load_ushort v0, v[2:3], off
	s_waitcnt vmcnt(0)
	v_cvt_f64_u32_e32 v[0:1], v0
.LBB6_807:
	s_mov_b64 s[0:1], 0
.LBB6_808:
	s_andn2_b64 vcc, exec, s[0:1]
	s_cbranch_vccnz .LBB6_816
; %bb.809:
	global_load_ubyte v4, v[2:3], off
	s_movk_i32 s0, 0x7f
                                        ; implicit-def: $sgpr38_sgpr39
	s_waitcnt vmcnt(0)
	v_cmp_lt_i16_e32 vcc, s0, v4
	s_mov_b64 s[0:1], 0
	s_and_saveexec_b64 s[40:41], vcc
	s_xor_b64 s[40:41], exec, s[40:41]
	s_cbranch_execz .LBB6_830
; %bb.810:
	s_movk_i32 s0, 0x80
	v_cmp_eq_u16_e32 vcc, s0, v4
	s_mov_b64 s[42:43], -1
                                        ; implicit-def: $sgpr38_sgpr39
	s_and_saveexec_b64 s[0:1], vcc
; %bb.811:
	s_mov_b32 s39, 0x7ff80000
	s_brev_b32 s38, 4
	s_xor_b64 s[42:43], exec, -1
; %bb.812:
	s_or_b64 exec, exec, s[0:1]
	s_and_b64 s[0:1], s[42:43], exec
	s_or_saveexec_b64 s[40:41], s[40:41]
	v_pk_mov_b32 v[0:1], s[38:39], s[38:39] op_sel:[0,1]
	s_xor_b64 exec, exec, s[40:41]
	s_cbranch_execnz .LBB6_831
.LBB6_813:
	s_or_b64 exec, exec, s[40:41]
	s_and_saveexec_b64 s[38:39], s[0:1]
	s_cbranch_execz .LBB6_815
.LBB6_814:
	v_and_b32_e32 v1, 0xffff, v4
	v_lshlrev_b32_e32 v0, 24, v4
	v_and_b32_e32 v4, 7, v1
	v_ffbh_u32_e32 v6, v4
	v_min_u32_e32 v6, 32, v6
	v_subrev_u32_e32 v7, 28, v6
	v_bfe_u32 v5, v1, 3, 4
	v_lshlrev_b32_e32 v1, v7, v1
	v_sub_u32_e32 v6, 29, v6
	v_and_b32_e32 v1, 7, v1
	v_cmp_eq_u32_e32 vcc, 0, v5
	v_cndmask_b32_e32 v5, v5, v6, vcc
	v_cndmask_b32_e32 v1, v4, v1, vcc
	v_mov_b32_e32 v4, 0x3b800000
	v_lshlrev_b32_e32 v1, 20, v1
	v_and_b32_e32 v0, 0x80000000, v0
	v_lshl_add_u32 v4, v5, 23, v4
	v_or3_b32 v0, v0, v4, v1
	v_cvt_f64_f32_e32 v[0:1], v0
.LBB6_815:
	s_or_b64 exec, exec, s[38:39]
.LBB6_816:
	s_mov_b64 s[0:1], -1
.LBB6_817:
	s_mov_b64 s[38:39], 0
.LBB6_818:
	s_and_b64 vcc, exec, s[38:39]
	s_cbranch_vccz .LBB6_853
; %bb.819:
	v_mov_b32_e32 v0, 22
	v_cmp_gt_i16_sdwa s[38:39], v16, v0 src0_sel:BYTE_0 src1_sel:DWORD
	s_and_b64 vcc, exec, s[38:39]
	s_cbranch_vccz .LBB6_829
; %bb.820:
	v_mov_b32_e32 v0, 24
	v_cmp_lt_i16_sdwa s[0:1], v16, v0 src0_sel:BYTE_0 src1_sel:DWORD
	s_and_b64 vcc, exec, s[0:1]
	s_cbranch_vccnz .LBB6_832
; %bb.821:
	v_cmp_gt_i16_sdwa s[0:1], v16, v0 src0_sel:BYTE_0 src1_sel:DWORD
	s_and_b64 vcc, exec, s[0:1]
	s_cbranch_vccz .LBB6_833
; %bb.822:
	global_load_ubyte v4, v[2:3], off
	s_movk_i32 s0, 0x7f
                                        ; implicit-def: $sgpr38_sgpr39
	s_waitcnt vmcnt(0)
	v_cmp_lt_i16_e32 vcc, s0, v4
	s_mov_b64 s[0:1], 0
	s_and_saveexec_b64 s[40:41], vcc
	s_xor_b64 s[40:41], exec, s[40:41]
	s_cbranch_execz .LBB6_845
; %bb.823:
	s_movk_i32 s0, 0x80
	v_cmp_eq_u16_e32 vcc, s0, v4
	s_mov_b64 s[42:43], -1
                                        ; implicit-def: $sgpr38_sgpr39
	s_and_saveexec_b64 s[0:1], vcc
; %bb.824:
	s_mov_b32 s39, 0x7ff80000
	s_brev_b32 s38, 4
	s_xor_b64 s[42:43], exec, -1
; %bb.825:
	s_or_b64 exec, exec, s[0:1]
	s_and_b64 s[0:1], s[42:43], exec
	s_or_saveexec_b64 s[40:41], s[40:41]
	v_pk_mov_b32 v[0:1], s[38:39], s[38:39] op_sel:[0,1]
	s_xor_b64 exec, exec, s[40:41]
	s_cbranch_execnz .LBB6_846
.LBB6_826:
	s_or_b64 exec, exec, s[40:41]
	s_and_saveexec_b64 s[38:39], s[0:1]
	s_cbranch_execz .LBB6_828
.LBB6_827:
	v_and_b32_e32 v1, 0xffff, v4
	v_lshlrev_b32_e32 v0, 24, v4
	v_and_b32_e32 v4, 3, v1
	v_ffbh_u32_e32 v6, v4
	v_min_u32_e32 v6, 32, v6
	v_subrev_u32_e32 v7, 29, v6
	v_bfe_u32 v5, v1, 2, 5
	v_lshlrev_b32_e32 v1, v7, v1
	v_sub_u32_e32 v6, 30, v6
	v_and_b32_e32 v1, 3, v1
	v_cmp_eq_u32_e32 vcc, 0, v5
	v_cndmask_b32_e32 v5, v5, v6, vcc
	v_cndmask_b32_e32 v1, v4, v1, vcc
	v_mov_b32_e32 v4, 0x37800000
	v_lshlrev_b32_e32 v1, 21, v1
	v_and_b32_e32 v0, 0x80000000, v0
	v_lshl_add_u32 v4, v5, 23, v4
	v_or3_b32 v0, v0, v4, v1
	v_cvt_f64_f32_e32 v[0:1], v0
.LBB6_828:
	s_or_b64 exec, exec, s[38:39]
	s_mov_b64 s[0:1], 0
	s_branch .LBB6_834
.LBB6_829:
	s_mov_b64 s[38:39], -1
                                        ; implicit-def: $vgpr0_vgpr1
	s_branch .LBB6_840
.LBB6_830:
	s_or_saveexec_b64 s[40:41], s[40:41]
	v_pk_mov_b32 v[0:1], s[38:39], s[38:39] op_sel:[0,1]
	s_xor_b64 exec, exec, s[40:41]
	s_cbranch_execz .LBB6_813
.LBB6_831:
	v_cmp_ne_u16_e32 vcc, 0, v4
	s_andn2_b64 s[0:1], s[0:1], exec
	s_and_b64 s[38:39], vcc, exec
	v_pk_mov_b32 v[0:1], 0, 0
	s_or_b64 s[0:1], s[0:1], s[38:39]
	s_or_b64 exec, exec, s[40:41]
	s_and_saveexec_b64 s[38:39], s[0:1]
	s_cbranch_execnz .LBB6_814
	s_branch .LBB6_815
.LBB6_832:
	s_mov_b64 s[0:1], -1
                                        ; implicit-def: $vgpr0_vgpr1
	s_branch .LBB6_837
.LBB6_833:
	s_mov_b64 s[0:1], -1
                                        ; implicit-def: $vgpr0_vgpr1
.LBB6_834:
	s_and_b64 vcc, exec, s[0:1]
	s_cbranch_vccz .LBB6_836
; %bb.835:
	global_load_ubyte v0, v[2:3], off
	s_mov_b32 s0, 0x7f800000
	s_waitcnt vmcnt(0)
	v_lshlrev_b32_e32 v0, 24, v0
	v_and_b32_e32 v1, 0x7f000000, v0
	v_ffbh_u32_e32 v4, v1
	v_min_u32_e32 v4, 32, v4
	v_sub_u32_e64 v4, v4, 4 clamp
	v_lshlrev_b32_e32 v6, v4, v1
	v_lshlrev_b32_e32 v4, 23, v4
	v_lshrrev_b32_e32 v6, 4, v6
	v_add_u32_e32 v5, 0x1000000, v1
	v_sub_u32_e32 v4, v6, v4
	v_ashrrev_i32_e32 v5, 8, v5
	v_add_u32_e32 v4, 0x3c000000, v4
	v_and_or_b32 v4, v5, s0, v4
	v_cmp_ne_u32_e32 vcc, 0, v1
	v_cndmask_b32_e32 v1, 0, v4, vcc
	s_brev_b32 s0, 1
	v_and_or_b32 v0, v0, s0, v1
	v_cvt_f64_f32_e32 v[0:1], v0
.LBB6_836:
	s_mov_b64 s[0:1], 0
.LBB6_837:
	s_andn2_b64 vcc, exec, s[0:1]
	s_cbranch_vccnz .LBB6_839
; %bb.838:
	global_load_ubyte v0, v[2:3], off
	s_movk_i32 s0, 0x7f00
	s_brev_b32 s1, 16
	s_waitcnt vmcnt(0)
	v_lshlrev_b16_e32 v1, 8, v0
	v_lshlrev_b32_e32 v0, 25, v0
	v_lshrrev_b32_e32 v4, 4, v0
	v_and_or_b32 v5, v1, s0, 0.5
	v_or_b32_e32 v4, 0x70000000, v4
	v_add_f32_e32 v5, -0.5, v5
	v_mul_f32_e32 v4, 0x7800000, v4
	v_cmp_gt_u32_e32 vcc, s1, v0
	v_bfe_i32 v1, v1, 0, 16
	v_cndmask_b32_e32 v0, v4, v5, vcc
	s_brev_b32 s0, 1
	v_and_or_b32 v0, v1, s0, v0
	v_cvt_f64_f32_e32 v[0:1], v0
.LBB6_839:
	s_mov_b64 s[38:39], 0
	s_mov_b64 s[0:1], -1
.LBB6_840:
	s_andn2_b64 vcc, exec, s[38:39]
	s_cbranch_vccnz .LBB6_853
; %bb.841:
	v_mov_b32_e32 v0, 14
	v_cmp_gt_i16_sdwa s[38:39], v16, v0 src0_sel:BYTE_0 src1_sel:DWORD
	s_and_b64 vcc, exec, s[38:39]
	s_cbranch_vccz .LBB6_844
; %bb.842:
	v_mov_b32_e32 v0, 15
	v_cmp_eq_u16_sdwa s[36:37], v16, v0 src0_sel:BYTE_0 src1_sel:DWORD
	s_and_b64 vcc, exec, s[36:37]
	s_cbranch_vccz .LBB6_847
; %bb.843:
	global_load_ushort v0, v[2:3], off
	s_mov_b64 s[0:1], -1
	s_mov_b64 s[36:37], 0
	s_waitcnt vmcnt(0)
	v_lshlrev_b32_e32 v0, 16, v0
	v_cvt_f64_f32_e32 v[0:1], v0
	s_branch .LBB6_848
.LBB6_844:
	s_mov_b64 s[38:39], -1
                                        ; implicit-def: $vgpr0_vgpr1
	s_branch .LBB6_849
.LBB6_845:
	s_or_saveexec_b64 s[40:41], s[40:41]
	v_pk_mov_b32 v[0:1], s[38:39], s[38:39] op_sel:[0,1]
	s_xor_b64 exec, exec, s[40:41]
	s_cbranch_execz .LBB6_826
.LBB6_846:
	v_cmp_ne_u16_e32 vcc, 0, v4
	s_andn2_b64 s[0:1], s[0:1], exec
	s_and_b64 s[38:39], vcc, exec
	v_pk_mov_b32 v[0:1], 0, 0
	s_or_b64 s[0:1], s[0:1], s[38:39]
	s_or_b64 exec, exec, s[40:41]
	s_and_saveexec_b64 s[38:39], s[0:1]
	s_cbranch_execnz .LBB6_827
	s_branch .LBB6_828
.LBB6_847:
	s_mov_b64 s[36:37], -1
                                        ; implicit-def: $vgpr0_vgpr1
.LBB6_848:
	s_mov_b64 s[38:39], 0
.LBB6_849:
	s_and_b64 vcc, exec, s[38:39]
	s_cbranch_vccz .LBB6_853
; %bb.850:
	v_mov_b32_e32 v0, 11
	v_cmp_eq_u16_sdwa s[36:37], v16, v0 src0_sel:BYTE_0 src1_sel:DWORD
	s_and_b64 vcc, exec, s[36:37]
	s_cbranch_vccz .LBB6_852
; %bb.851:
	global_load_ubyte v1, v[2:3], off
	v_mov_b32_e32 v4, 0x3ff00000
	v_mov_b32_e32 v0, 0
	s_mov_b64 s[0:1], -1
	s_mov_b64 s[36:37], 0
	s_waitcnt vmcnt(0)
	v_cmp_ne_u16_e32 vcc, 0, v1
	v_cndmask_b32_e32 v1, 0, v4, vcc
	s_branch .LBB6_853
.LBB6_852:
	s_mov_b64 s[36:37], -1
                                        ; implicit-def: $vgpr0_vgpr1
.LBB6_853:
	s_mov_b64 s[38:39], 0
.LBB6_854:
	s_and_b64 vcc, exec, s[38:39]
	s_cbranch_vccz .LBB6_903
; %bb.855:
	v_mov_b32_e32 v0, 5
	v_cmp_lt_i16_sdwa s[0:1], v16, v0 src0_sel:BYTE_0 src1_sel:DWORD
	s_and_b64 vcc, exec, s[0:1]
	s_cbranch_vccnz .LBB6_860
; %bb.856:
	v_mov_b32_e32 v0, 8
	v_cmp_lt_i16_sdwa s[0:1], v16, v0 src0_sel:BYTE_0 src1_sel:DWORD
	s_and_b64 vcc, exec, s[0:1]
	s_cbranch_vccnz .LBB6_861
; %bb.857:
	v_mov_b32_e32 v0, 9
	v_cmp_lt_i16_sdwa s[0:1], v16, v0 src0_sel:BYTE_0 src1_sel:DWORD
	s_and_b64 vcc, exec, s[0:1]
	s_cbranch_vccnz .LBB6_862
; %bb.858:
	v_cmp_gt_i16_sdwa s[0:1], v16, v0 src0_sel:BYTE_0 src1_sel:DWORD
	s_and_b64 vcc, exec, s[0:1]
	s_cbranch_vccz .LBB6_863
; %bb.859:
	global_load_dwordx2 v[0:1], v[2:3], off
	s_mov_b64 s[0:1], 0
	s_branch .LBB6_864
.LBB6_860:
	s_mov_b64 s[0:1], -1
                                        ; implicit-def: $vgpr0_vgpr1
	s_branch .LBB6_882
.LBB6_861:
	s_mov_b64 s[0:1], -1
                                        ; implicit-def: $vgpr0_vgpr1
	s_branch .LBB6_870
.LBB6_862:
	s_mov_b64 s[0:1], -1
                                        ; implicit-def: $vgpr0_vgpr1
	s_branch .LBB6_867
.LBB6_863:
	s_mov_b64 s[0:1], -1
                                        ; implicit-def: $vgpr0_vgpr1
.LBB6_864:
	s_andn2_b64 vcc, exec, s[0:1]
	s_cbranch_vccnz .LBB6_866
; %bb.865:
	global_load_dword v0, v[2:3], off
	s_waitcnt vmcnt(0)
	v_cvt_f64_f32_e32 v[0:1], v0
.LBB6_866:
	s_mov_b64 s[0:1], 0
.LBB6_867:
	s_andn2_b64 vcc, exec, s[0:1]
	s_cbranch_vccnz .LBB6_869
; %bb.868:
	global_load_dword v0, v[2:3], off
	s_waitcnt vmcnt(0)
	v_cvt_f32_f16_e32 v0, v0
	v_cvt_f64_f32_e32 v[0:1], v0
.LBB6_869:
	s_mov_b64 s[0:1], 0
.LBB6_870:
	s_andn2_b64 vcc, exec, s[0:1]
	s_cbranch_vccnz .LBB6_881
; %bb.871:
	s_waitcnt vmcnt(0)
	v_mov_b32_e32 v0, 6
	v_cmp_lt_i16_sdwa s[0:1], v16, v0 src0_sel:BYTE_0 src1_sel:DWORD
	s_and_b64 vcc, exec, s[0:1]
	s_cbranch_vccnz .LBB6_874
; %bb.872:
	v_cmp_gt_i16_sdwa s[0:1], v16, v0 src0_sel:BYTE_0 src1_sel:DWORD
	s_and_b64 vcc, exec, s[0:1]
	s_cbranch_vccz .LBB6_875
; %bb.873:
	global_load_dwordx2 v[0:1], v[2:3], off
	s_mov_b64 s[0:1], 0
	s_branch .LBB6_876
.LBB6_874:
	s_mov_b64 s[0:1], -1
                                        ; implicit-def: $vgpr0_vgpr1
	s_branch .LBB6_879
.LBB6_875:
	s_mov_b64 s[0:1], -1
                                        ; implicit-def: $vgpr0_vgpr1
.LBB6_876:
	s_andn2_b64 vcc, exec, s[0:1]
	s_cbranch_vccnz .LBB6_878
; %bb.877:
	global_load_dword v0, v[2:3], off
	s_waitcnt vmcnt(0)
	v_cvt_f64_f32_e32 v[0:1], v0
.LBB6_878:
	s_mov_b64 s[0:1], 0
.LBB6_879:
	s_andn2_b64 vcc, exec, s[0:1]
	s_cbranch_vccnz .LBB6_881
; %bb.880:
	global_load_ushort v0, v[2:3], off
	s_waitcnt vmcnt(0)
	v_cvt_f32_f16_e32 v0, v0
	v_cvt_f64_f32_e32 v[0:1], v0
.LBB6_881:
	s_mov_b64 s[0:1], 0
.LBB6_882:
	s_andn2_b64 vcc, exec, s[0:1]
	s_cbranch_vccnz .LBB6_902
; %bb.883:
	s_waitcnt vmcnt(0)
	v_mov_b32_e32 v0, 2
	v_cmp_lt_i16_sdwa s[0:1], v16, v0 src0_sel:BYTE_0 src1_sel:DWORD
	s_and_b64 vcc, exec, s[0:1]
	s_cbranch_vccnz .LBB6_887
; %bb.884:
	v_mov_b32_e32 v0, 3
	v_cmp_lt_i16_sdwa s[0:1], v16, v0 src0_sel:BYTE_0 src1_sel:DWORD
	s_and_b64 vcc, exec, s[0:1]
	s_cbranch_vccnz .LBB6_888
; %bb.885:
	v_cmp_gt_i16_sdwa s[0:1], v16, v0 src0_sel:BYTE_0 src1_sel:DWORD
	s_and_b64 vcc, exec, s[0:1]
	s_cbranch_vccz .LBB6_889
; %bb.886:
	global_load_dwordx2 v[0:1], v[2:3], off
	s_mov_b64 s[0:1], 0
	s_waitcnt vmcnt(0)
	v_cvt_f64_i32_e32 v[4:5], v1
	v_cvt_f64_u32_e32 v[0:1], v0
	v_ldexp_f64 v[4:5], v[4:5], 32
	v_add_f64 v[0:1], v[4:5], v[0:1]
	s_branch .LBB6_890
.LBB6_887:
	s_mov_b64 s[0:1], -1
                                        ; implicit-def: $vgpr0_vgpr1
	s_branch .LBB6_896
.LBB6_888:
	s_mov_b64 s[0:1], -1
                                        ; implicit-def: $vgpr0_vgpr1
	s_branch .LBB6_893
.LBB6_889:
	s_mov_b64 s[0:1], -1
                                        ; implicit-def: $vgpr0_vgpr1
.LBB6_890:
	s_andn2_b64 vcc, exec, s[0:1]
	s_cbranch_vccnz .LBB6_892
; %bb.891:
	global_load_dword v0, v[2:3], off
	s_waitcnt vmcnt(0)
	v_cvt_f64_i32_e32 v[0:1], v0
.LBB6_892:
	s_mov_b64 s[0:1], 0
.LBB6_893:
	s_andn2_b64 vcc, exec, s[0:1]
	s_cbranch_vccnz .LBB6_895
; %bb.894:
	global_load_sshort v0, v[2:3], off
	s_waitcnt vmcnt(0)
	v_cvt_f64_i32_e32 v[0:1], v0
.LBB6_895:
	s_mov_b64 s[0:1], 0
.LBB6_896:
	s_andn2_b64 vcc, exec, s[0:1]
	s_cbranch_vccnz .LBB6_902
; %bb.897:
	v_mov_b32_e32 v0, 0
	v_cmp_gt_i16_sdwa s[0:1], v16, v0 src0_sel:BYTE_0 src1_sel:DWORD
	s_and_b64 vcc, exec, s[0:1]
	s_cbranch_vccz .LBB6_899
; %bb.898:
	global_load_sbyte v0, v[2:3], off
	s_mov_b64 s[0:1], 0
	s_waitcnt vmcnt(0)
	v_cvt_f64_i32_e32 v[0:1], v0
	s_branch .LBB6_900
.LBB6_899:
	s_mov_b64 s[0:1], -1
                                        ; implicit-def: $vgpr0_vgpr1
.LBB6_900:
	s_andn2_b64 vcc, exec, s[0:1]
	s_cbranch_vccnz .LBB6_902
; %bb.901:
	global_load_ubyte v0, v[2:3], off
	s_waitcnt vmcnt(0)
	v_cvt_f64_u32_e32 v[0:1], v0
.LBB6_902:
	s_mov_b64 s[0:1], -1
.LBB6_903:
	s_andn2_b64 vcc, exec, s[0:1]
	s_cbranch_vccnz .LBB6_911
; %bb.904:
	v_mul_lo_u32 v2, v19, s14
	v_ashrrev_i32_e32 v3, 31, v2
	v_mov_b32_e32 v4, s3
	v_add_co_u32_e32 v2, vcc, s2, v2
	v_addc_co_u32_e32 v3, vcc, v4, v3, vcc
	v_mov_b32_e32 v4, 11
	v_cmp_lt_i16_sdwa s[0:1], v20, v4 src0_sel:BYTE_0 src1_sel:DWORD
	s_and_b64 vcc, exec, s[0:1]
	s_cbranch_vccnz .LBB6_913
; %bb.905:
	v_mov_b32_e32 v4, 25
	v_cmp_gt_i16_sdwa s[0:1], v20, v4 src0_sel:BYTE_0 src1_sel:DWORD
	s_and_b64 vcc, exec, s[0:1]
	s_cbranch_vccz .LBB6_914
; %bb.906:
	v_mov_b32_e32 v4, 28
	v_cmp_gt_i16_sdwa s[0:1], v20, v4 src0_sel:BYTE_0 src1_sel:DWORD
	s_and_b64 vcc, exec, s[0:1]
	s_cbranch_vccz .LBB6_915
	;; [unrolled: 5-line block ×4, first 2 shown]
; %bb.909:
	v_mov_b32_e32 v4, 46
	v_cmp_eq_u16_sdwa s[0:1], v20, v4 src0_sel:BYTE_0 src1_sel:DWORD
	s_mov_b64 s[40:41], 0
	s_and_b64 vcc, exec, s[0:1]
	s_cbranch_vccz .LBB6_920
; %bb.910:
	global_load_dword v4, v[2:3], off
	s_mov_b64 s[0:1], -1
	s_mov_b64 s[38:39], 0
	s_waitcnt vmcnt(0)
	v_lshlrev_b32_e32 v4, 16, v4
	v_cvt_f64_f32_e32 v[4:5], v4
	s_branch .LBB6_921
.LBB6_911:
	s_mov_b64 s[42:43], 0
	s_mov_b64 s[0:1], s[28:29]
	;; [unrolled: 1-line block ×3, first 2 shown]
.LBB6_912:
                                        ; implicit-def: $vgpr19
	s_branch .LBB6_1159
.LBB6_913:
	s_mov_b64 s[40:41], -1
	s_mov_b64 s[0:1], 0
                                        ; implicit-def: $vgpr4_vgpr5
	s_mov_b64 s[38:39], s[26:27]
	s_branch .LBB6_986
.LBB6_914:
	s_mov_b64 s[40:41], -1
	s_mov_b64 s[0:1], 0
	s_mov_b64 s[38:39], s[26:27]
                                        ; implicit-def: $vgpr4_vgpr5
	s_branch .LBB6_950
.LBB6_915:
	s_mov_b64 s[40:41], -1
	s_mov_b64 s[0:1], 0
	s_mov_b64 s[38:39], s[26:27]
                                        ; implicit-def: $vgpr4_vgpr5
	s_branch .LBB6_931
.LBB6_916:
	s_mov_b64 s[40:41], -1
	s_mov_b64 s[0:1], 0
	s_mov_b64 s[38:39], s[26:27]
                                        ; implicit-def: $vgpr4_vgpr5
	s_branch .LBB6_926
.LBB6_917:
	s_mov_b64 s[40:41], -1
	s_mov_b64 s[0:1], 0
	s_mov_b64 s[38:39], s[26:27]
                                        ; implicit-def: $vgpr4_vgpr5
	s_branch .LBB6_921
.LBB6_918:
	s_or_saveexec_b64 s[36:37], s[36:37]
                                        ; implicit-def: $sgpr15
	s_xor_b64 exec, exec, s[36:37]
	s_cbranch_execz .LBB6_734
.LBB6_919:
	s_mov_b32 s15, 0x42800000
	v_add_f32_e64 v3, |v2|, s15
	v_and_b32_e32 v3, 0xff, v3
	v_cmp_ne_u32_e32 vcc, 0, v3
	s_andn2_b64 s[34:35], s[34:35], exec
	s_and_b64 s[38:39], vcc, exec
	s_mov_b32 s15, 0
	s_or_b64 s[34:35], s[34:35], s[38:39]
	s_or_b64 exec, exec, s[36:37]
	v_mov_b32_e32 v6, s15
	s_and_saveexec_b64 s[36:37], s[34:35]
	s_cbranch_execnz .LBB6_735
	s_branch .LBB6_736
.LBB6_920:
	s_mov_b64 s[38:39], -1
                                        ; implicit-def: $vgpr4_vgpr5
	s_mov_b64 s[0:1], 0
.LBB6_921:
	s_and_b64 vcc, exec, s[40:41]
	s_cbranch_vccz .LBB6_925
; %bb.922:
	v_mov_b32_e32 v4, 44
	v_cmp_eq_u16_sdwa s[38:39], v20, v4 src0_sel:BYTE_0 src1_sel:DWORD
	s_and_b64 vcc, exec, s[38:39]
	s_cbranch_vccz .LBB6_924
; %bb.923:
	global_load_ubyte v6, v[2:3], off
	s_movk_i32 s15, 0xff
	v_bfrev_b32_e32 v7, 4
	v_mov_b32_e32 v8, 0x7ff80000
	v_bfrev_b32_e32 v9, 28
	s_mov_b64 s[0:1], -1
	s_mov_b64 s[38:39], 0
	s_waitcnt vmcnt(0)
	v_lshlrev_b32_e32 v4, 23, v6
	v_cvt_f64_f32_e32 v[4:5], v4
	v_cmp_ne_u32_e32 vcc, s15, v6
	v_cndmask_b32_e32 v4, v7, v4, vcc
	v_cndmask_b32_e32 v5, v8, v5, vcc
	v_cmp_ne_u32_e32 vcc, 0, v6
	v_cndmask_b32_e32 v5, v9, v5, vcc
	v_cndmask_b32_e32 v4, 0, v4, vcc
	s_branch .LBB6_925
.LBB6_924:
	s_mov_b64 s[38:39], -1
                                        ; implicit-def: $vgpr4_vgpr5
.LBB6_925:
	s_mov_b64 s[40:41], 0
.LBB6_926:
	s_and_b64 vcc, exec, s[40:41]
	s_cbranch_vccz .LBB6_930
; %bb.927:
	v_mov_b32_e32 v4, 29
	v_cmp_eq_u16_sdwa s[38:39], v20, v4 src0_sel:BYTE_0 src1_sel:DWORD
	s_and_b64 vcc, exec, s[38:39]
	s_cbranch_vccz .LBB6_929
; %bb.928:
	global_load_dwordx2 v[4:5], v[2:3], off
	s_mov_b64 s[0:1], -1
	s_mov_b64 s[38:39], 0
	s_mov_b64 s[40:41], 0
	s_waitcnt vmcnt(0)
	v_cvt_f64_u32_e32 v[6:7], v5
	v_cvt_f64_u32_e32 v[4:5], v4
	v_ldexp_f64 v[6:7], v[6:7], 32
	v_add_f64 v[4:5], v[6:7], v[4:5]
	s_branch .LBB6_931
.LBB6_929:
	s_mov_b64 s[38:39], -1
                                        ; implicit-def: $vgpr4_vgpr5
.LBB6_930:
	s_mov_b64 s[40:41], 0
.LBB6_931:
	s_and_b64 vcc, exec, s[40:41]
	s_cbranch_vccz .LBB6_949
; %bb.932:
	v_mov_b32_e32 v4, 27
	v_cmp_lt_i16_sdwa s[0:1], v20, v4 src0_sel:BYTE_0 src1_sel:DWORD
	s_and_b64 vcc, exec, s[0:1]
	s_cbranch_vccnz .LBB6_935
; %bb.933:
	v_cmp_gt_i16_sdwa s[0:1], v20, v4 src0_sel:BYTE_0 src1_sel:DWORD
	s_and_b64 vcc, exec, s[0:1]
	s_cbranch_vccz .LBB6_936
; %bb.934:
	global_load_dword v4, v[2:3], off
	s_mov_b64 s[0:1], 0
	s_waitcnt vmcnt(0)
	v_cvt_f64_u32_e32 v[4:5], v4
	s_branch .LBB6_937
.LBB6_935:
	s_mov_b64 s[0:1], -1
                                        ; implicit-def: $vgpr4_vgpr5
	s_branch .LBB6_940
.LBB6_936:
	s_mov_b64 s[0:1], -1
                                        ; implicit-def: $vgpr4_vgpr5
.LBB6_937:
	s_andn2_b64 vcc, exec, s[0:1]
	s_cbranch_vccnz .LBB6_939
; %bb.938:
	global_load_ushort v4, v[2:3], off
	s_waitcnt vmcnt(0)
	v_cvt_f64_u32_e32 v[4:5], v4
.LBB6_939:
	s_mov_b64 s[0:1], 0
.LBB6_940:
	s_andn2_b64 vcc, exec, s[0:1]
	s_cbranch_vccnz .LBB6_948
; %bb.941:
	global_load_ubyte v6, v[2:3], off
	s_movk_i32 s0, 0x7f
                                        ; implicit-def: $sgpr40_sgpr41
	s_waitcnt vmcnt(0)
	v_cmp_lt_i16_e32 vcc, s0, v6
	s_mov_b64 s[0:1], 0
	s_and_saveexec_b64 s[42:43], vcc
	s_xor_b64 s[42:43], exec, s[42:43]
	s_cbranch_execz .LBB6_962
; %bb.942:
	s_movk_i32 s0, 0x80
	v_cmp_eq_u16_e32 vcc, s0, v6
	s_mov_b64 s[44:45], -1
                                        ; implicit-def: $sgpr40_sgpr41
	s_and_saveexec_b64 s[0:1], vcc
; %bb.943:
	s_mov_b32 s41, 0x7ff80000
	s_brev_b32 s40, 4
	s_xor_b64 s[44:45], exec, -1
; %bb.944:
	s_or_b64 exec, exec, s[0:1]
	s_and_b64 s[0:1], s[44:45], exec
	s_or_saveexec_b64 s[42:43], s[42:43]
	v_pk_mov_b32 v[4:5], s[40:41], s[40:41] op_sel:[0,1]
	s_xor_b64 exec, exec, s[42:43]
	s_cbranch_execnz .LBB6_963
.LBB6_945:
	s_or_b64 exec, exec, s[42:43]
	s_and_saveexec_b64 s[40:41], s[0:1]
	s_cbranch_execz .LBB6_947
.LBB6_946:
	v_and_b32_e32 v5, 0xffff, v6
	v_lshlrev_b32_e32 v4, 24, v6
	v_and_b32_e32 v6, 7, v5
	v_ffbh_u32_e32 v8, v6
	v_min_u32_e32 v8, 32, v8
	v_subrev_u32_e32 v9, 28, v8
	v_bfe_u32 v7, v5, 3, 4
	v_lshlrev_b32_e32 v5, v9, v5
	v_sub_u32_e32 v8, 29, v8
	v_and_b32_e32 v5, 7, v5
	v_cmp_eq_u32_e32 vcc, 0, v7
	v_cndmask_b32_e32 v7, v7, v8, vcc
	v_cndmask_b32_e32 v5, v6, v5, vcc
	v_mov_b32_e32 v6, 0x3b800000
	v_lshlrev_b32_e32 v5, 20, v5
	v_and_b32_e32 v4, 0x80000000, v4
	v_lshl_add_u32 v6, v7, 23, v6
	v_or3_b32 v4, v4, v6, v5
	v_cvt_f64_f32_e32 v[4:5], v4
.LBB6_947:
	s_or_b64 exec, exec, s[40:41]
.LBB6_948:
	s_mov_b64 s[0:1], -1
.LBB6_949:
	s_mov_b64 s[40:41], 0
.LBB6_950:
	s_and_b64 vcc, exec, s[40:41]
	s_cbranch_vccz .LBB6_985
; %bb.951:
	v_mov_b32_e32 v4, 22
	v_cmp_gt_i16_sdwa s[40:41], v20, v4 src0_sel:BYTE_0 src1_sel:DWORD
	s_and_b64 vcc, exec, s[40:41]
	s_cbranch_vccz .LBB6_961
; %bb.952:
	v_mov_b32_e32 v4, 24
	v_cmp_lt_i16_sdwa s[0:1], v20, v4 src0_sel:BYTE_0 src1_sel:DWORD
	s_and_b64 vcc, exec, s[0:1]
	s_cbranch_vccnz .LBB6_964
; %bb.953:
	v_cmp_gt_i16_sdwa s[0:1], v20, v4 src0_sel:BYTE_0 src1_sel:DWORD
	s_and_b64 vcc, exec, s[0:1]
	s_cbranch_vccz .LBB6_965
; %bb.954:
	global_load_ubyte v6, v[2:3], off
	s_movk_i32 s0, 0x7f
                                        ; implicit-def: $sgpr40_sgpr41
	s_waitcnt vmcnt(0)
	v_cmp_lt_i16_e32 vcc, s0, v6
	s_mov_b64 s[0:1], 0
	s_and_saveexec_b64 s[42:43], vcc
	s_xor_b64 s[42:43], exec, s[42:43]
	s_cbranch_execz .LBB6_977
; %bb.955:
	s_movk_i32 s0, 0x80
	v_cmp_eq_u16_e32 vcc, s0, v6
	s_mov_b64 s[44:45], -1
                                        ; implicit-def: $sgpr40_sgpr41
	s_and_saveexec_b64 s[0:1], vcc
; %bb.956:
	s_mov_b32 s41, 0x7ff80000
	s_brev_b32 s40, 4
	s_xor_b64 s[44:45], exec, -1
; %bb.957:
	s_or_b64 exec, exec, s[0:1]
	s_and_b64 s[0:1], s[44:45], exec
	s_or_saveexec_b64 s[42:43], s[42:43]
	v_pk_mov_b32 v[4:5], s[40:41], s[40:41] op_sel:[0,1]
	s_xor_b64 exec, exec, s[42:43]
	s_cbranch_execnz .LBB6_978
.LBB6_958:
	s_or_b64 exec, exec, s[42:43]
	s_and_saveexec_b64 s[40:41], s[0:1]
	s_cbranch_execz .LBB6_960
.LBB6_959:
	v_and_b32_e32 v5, 0xffff, v6
	v_lshlrev_b32_e32 v4, 24, v6
	v_and_b32_e32 v6, 3, v5
	v_ffbh_u32_e32 v8, v6
	v_min_u32_e32 v8, 32, v8
	v_subrev_u32_e32 v9, 29, v8
	v_bfe_u32 v7, v5, 2, 5
	v_lshlrev_b32_e32 v5, v9, v5
	v_sub_u32_e32 v8, 30, v8
	v_and_b32_e32 v5, 3, v5
	v_cmp_eq_u32_e32 vcc, 0, v7
	v_cndmask_b32_e32 v7, v7, v8, vcc
	v_cndmask_b32_e32 v5, v6, v5, vcc
	v_mov_b32_e32 v6, 0x37800000
	v_lshlrev_b32_e32 v5, 21, v5
	v_and_b32_e32 v4, 0x80000000, v4
	v_lshl_add_u32 v6, v7, 23, v6
	v_or3_b32 v4, v4, v6, v5
	v_cvt_f64_f32_e32 v[4:5], v4
.LBB6_960:
	s_or_b64 exec, exec, s[40:41]
	s_mov_b64 s[0:1], 0
	s_branch .LBB6_966
.LBB6_961:
	s_mov_b64 s[40:41], -1
                                        ; implicit-def: $vgpr4_vgpr5
	s_branch .LBB6_972
.LBB6_962:
	s_or_saveexec_b64 s[42:43], s[42:43]
	v_pk_mov_b32 v[4:5], s[40:41], s[40:41] op_sel:[0,1]
	s_xor_b64 exec, exec, s[42:43]
	s_cbranch_execz .LBB6_945
.LBB6_963:
	v_cmp_ne_u16_e32 vcc, 0, v6
	s_andn2_b64 s[0:1], s[0:1], exec
	s_and_b64 s[40:41], vcc, exec
	v_pk_mov_b32 v[4:5], 0, 0
	s_or_b64 s[0:1], s[0:1], s[40:41]
	s_or_b64 exec, exec, s[42:43]
	s_and_saveexec_b64 s[40:41], s[0:1]
	s_cbranch_execnz .LBB6_946
	s_branch .LBB6_947
.LBB6_964:
	s_mov_b64 s[0:1], -1
                                        ; implicit-def: $vgpr4_vgpr5
	s_branch .LBB6_969
.LBB6_965:
	s_mov_b64 s[0:1], -1
                                        ; implicit-def: $vgpr4_vgpr5
.LBB6_966:
	s_and_b64 vcc, exec, s[0:1]
	s_cbranch_vccz .LBB6_968
; %bb.967:
	global_load_ubyte v4, v[2:3], off
	s_mov_b32 s0, 0x7f800000
	s_waitcnt vmcnt(0)
	v_lshlrev_b32_e32 v4, 24, v4
	v_and_b32_e32 v5, 0x7f000000, v4
	v_ffbh_u32_e32 v6, v5
	v_min_u32_e32 v6, 32, v6
	v_sub_u32_e64 v6, v6, 4 clamp
	v_lshlrev_b32_e32 v8, v6, v5
	v_lshlrev_b32_e32 v6, 23, v6
	v_lshrrev_b32_e32 v8, 4, v8
	v_add_u32_e32 v7, 0x1000000, v5
	v_sub_u32_e32 v6, v8, v6
	v_ashrrev_i32_e32 v7, 8, v7
	v_add_u32_e32 v6, 0x3c000000, v6
	v_and_or_b32 v6, v7, s0, v6
	v_cmp_ne_u32_e32 vcc, 0, v5
	v_cndmask_b32_e32 v5, 0, v6, vcc
	s_brev_b32 s0, 1
	v_and_or_b32 v4, v4, s0, v5
	v_cvt_f64_f32_e32 v[4:5], v4
.LBB6_968:
	s_mov_b64 s[0:1], 0
.LBB6_969:
	s_andn2_b64 vcc, exec, s[0:1]
	s_cbranch_vccnz .LBB6_971
; %bb.970:
	global_load_ubyte v4, v[2:3], off
	s_movk_i32 s0, 0x7f00
	s_brev_b32 s1, 16
	s_waitcnt vmcnt(0)
	v_lshlrev_b16_e32 v5, 8, v4
	v_lshlrev_b32_e32 v4, 25, v4
	v_lshrrev_b32_e32 v6, 4, v4
	v_and_or_b32 v7, v5, s0, 0.5
	v_or_b32_e32 v6, 0x70000000, v6
	v_add_f32_e32 v7, -0.5, v7
	v_mul_f32_e32 v6, 0x7800000, v6
	v_cmp_gt_u32_e32 vcc, s1, v4
	v_bfe_i32 v5, v5, 0, 16
	v_cndmask_b32_e32 v4, v6, v7, vcc
	s_brev_b32 s0, 1
	v_and_or_b32 v4, v5, s0, v4
	v_cvt_f64_f32_e32 v[4:5], v4
.LBB6_971:
	s_mov_b64 s[40:41], 0
	s_mov_b64 s[0:1], -1
.LBB6_972:
	s_andn2_b64 vcc, exec, s[40:41]
	s_cbranch_vccnz .LBB6_985
; %bb.973:
	v_mov_b32_e32 v4, 14
	v_cmp_gt_i16_sdwa s[40:41], v20, v4 src0_sel:BYTE_0 src1_sel:DWORD
	s_and_b64 vcc, exec, s[40:41]
	s_cbranch_vccz .LBB6_976
; %bb.974:
	v_mov_b32_e32 v4, 15
	v_cmp_eq_u16_sdwa s[38:39], v20, v4 src0_sel:BYTE_0 src1_sel:DWORD
	s_and_b64 vcc, exec, s[38:39]
	s_cbranch_vccz .LBB6_979
; %bb.975:
	global_load_ushort v4, v[2:3], off
	s_mov_b64 s[0:1], -1
	s_mov_b64 s[38:39], 0
	s_waitcnt vmcnt(0)
	v_lshlrev_b32_e32 v4, 16, v4
	v_cvt_f64_f32_e32 v[4:5], v4
	s_branch .LBB6_980
.LBB6_976:
	s_mov_b64 s[40:41], -1
                                        ; implicit-def: $vgpr4_vgpr5
	s_branch .LBB6_981
.LBB6_977:
	s_or_saveexec_b64 s[42:43], s[42:43]
	v_pk_mov_b32 v[4:5], s[40:41], s[40:41] op_sel:[0,1]
	s_xor_b64 exec, exec, s[42:43]
	s_cbranch_execz .LBB6_958
.LBB6_978:
	v_cmp_ne_u16_e32 vcc, 0, v6
	s_andn2_b64 s[0:1], s[0:1], exec
	s_and_b64 s[40:41], vcc, exec
	v_pk_mov_b32 v[4:5], 0, 0
	s_or_b64 s[0:1], s[0:1], s[40:41]
	s_or_b64 exec, exec, s[42:43]
	s_and_saveexec_b64 s[40:41], s[0:1]
	s_cbranch_execnz .LBB6_959
	s_branch .LBB6_960
.LBB6_979:
	s_mov_b64 s[38:39], -1
                                        ; implicit-def: $vgpr4_vgpr5
.LBB6_980:
	s_mov_b64 s[40:41], 0
.LBB6_981:
	s_and_b64 vcc, exec, s[40:41]
	s_cbranch_vccz .LBB6_985
; %bb.982:
	v_mov_b32_e32 v4, 11
	v_cmp_eq_u16_sdwa s[38:39], v20, v4 src0_sel:BYTE_0 src1_sel:DWORD
	s_and_b64 vcc, exec, s[38:39]
	s_cbranch_vccz .LBB6_984
; %bb.983:
	global_load_ubyte v5, v[2:3], off
	v_mov_b32_e32 v6, 0x3ff00000
	v_mov_b32_e32 v4, 0
	s_mov_b64 s[0:1], -1
	s_mov_b64 s[38:39], 0
	s_waitcnt vmcnt(0)
	v_cmp_ne_u16_e32 vcc, 0, v5
	v_cndmask_b32_e32 v5, 0, v6, vcc
	s_branch .LBB6_985
.LBB6_984:
	s_mov_b64 s[38:39], -1
                                        ; implicit-def: $vgpr4_vgpr5
.LBB6_985:
	s_mov_b64 s[40:41], 0
.LBB6_986:
	s_and_b64 vcc, exec, s[40:41]
	s_cbranch_vccz .LBB6_1035
; %bb.987:
	v_mov_b32_e32 v4, 5
	v_cmp_lt_i16_sdwa s[0:1], v20, v4 src0_sel:BYTE_0 src1_sel:DWORD
	s_and_b64 vcc, exec, s[0:1]
	s_cbranch_vccnz .LBB6_992
; %bb.988:
	v_mov_b32_e32 v4, 8
	v_cmp_lt_i16_sdwa s[0:1], v20, v4 src0_sel:BYTE_0 src1_sel:DWORD
	s_and_b64 vcc, exec, s[0:1]
	s_cbranch_vccnz .LBB6_993
	;; [unrolled: 5-line block ×3, first 2 shown]
; %bb.990:
	v_cmp_gt_i16_sdwa s[0:1], v20, v4 src0_sel:BYTE_0 src1_sel:DWORD
	s_and_b64 vcc, exec, s[0:1]
	s_cbranch_vccz .LBB6_995
; %bb.991:
	global_load_dwordx2 v[4:5], v[2:3], off
	s_mov_b64 s[0:1], 0
	s_branch .LBB6_996
.LBB6_992:
	s_mov_b64 s[0:1], -1
                                        ; implicit-def: $vgpr4_vgpr5
	s_branch .LBB6_1014
.LBB6_993:
	s_mov_b64 s[0:1], -1
                                        ; implicit-def: $vgpr4_vgpr5
	s_branch .LBB6_1002
.LBB6_994:
	s_mov_b64 s[0:1], -1
                                        ; implicit-def: $vgpr4_vgpr5
	s_branch .LBB6_999
.LBB6_995:
	s_mov_b64 s[0:1], -1
                                        ; implicit-def: $vgpr4_vgpr5
.LBB6_996:
	s_andn2_b64 vcc, exec, s[0:1]
	s_cbranch_vccnz .LBB6_998
; %bb.997:
	global_load_dword v4, v[2:3], off
	s_waitcnt vmcnt(0)
	v_cvt_f64_f32_e32 v[4:5], v4
.LBB6_998:
	s_mov_b64 s[0:1], 0
.LBB6_999:
	s_andn2_b64 vcc, exec, s[0:1]
	s_cbranch_vccnz .LBB6_1001
; %bb.1000:
	global_load_dword v4, v[2:3], off
	s_waitcnt vmcnt(0)
	v_cvt_f32_f16_e32 v4, v4
	v_cvt_f64_f32_e32 v[4:5], v4
.LBB6_1001:
	s_mov_b64 s[0:1], 0
.LBB6_1002:
	s_andn2_b64 vcc, exec, s[0:1]
	s_cbranch_vccnz .LBB6_1013
; %bb.1003:
	s_waitcnt vmcnt(0)
	v_mov_b32_e32 v4, 6
	v_cmp_lt_i16_sdwa s[0:1], v20, v4 src0_sel:BYTE_0 src1_sel:DWORD
	s_and_b64 vcc, exec, s[0:1]
	s_cbranch_vccnz .LBB6_1006
; %bb.1004:
	v_cmp_gt_i16_sdwa s[0:1], v20, v4 src0_sel:BYTE_0 src1_sel:DWORD
	s_and_b64 vcc, exec, s[0:1]
	s_cbranch_vccz .LBB6_1007
; %bb.1005:
	global_load_dwordx2 v[4:5], v[2:3], off
	s_mov_b64 s[0:1], 0
	s_branch .LBB6_1008
.LBB6_1006:
	s_mov_b64 s[0:1], -1
                                        ; implicit-def: $vgpr4_vgpr5
	s_branch .LBB6_1011
.LBB6_1007:
	s_mov_b64 s[0:1], -1
                                        ; implicit-def: $vgpr4_vgpr5
.LBB6_1008:
	s_andn2_b64 vcc, exec, s[0:1]
	s_cbranch_vccnz .LBB6_1010
; %bb.1009:
	global_load_dword v4, v[2:3], off
	s_waitcnt vmcnt(0)
	v_cvt_f64_f32_e32 v[4:5], v4
.LBB6_1010:
	s_mov_b64 s[0:1], 0
.LBB6_1011:
	s_andn2_b64 vcc, exec, s[0:1]
	s_cbranch_vccnz .LBB6_1013
; %bb.1012:
	global_load_ushort v4, v[2:3], off
	s_waitcnt vmcnt(0)
	v_cvt_f32_f16_e32 v4, v4
	v_cvt_f64_f32_e32 v[4:5], v4
.LBB6_1013:
	s_mov_b64 s[0:1], 0
.LBB6_1014:
	s_andn2_b64 vcc, exec, s[0:1]
	s_cbranch_vccnz .LBB6_1034
; %bb.1015:
	s_waitcnt vmcnt(0)
	v_mov_b32_e32 v4, 2
	v_cmp_lt_i16_sdwa s[0:1], v20, v4 src0_sel:BYTE_0 src1_sel:DWORD
	s_and_b64 vcc, exec, s[0:1]
	s_cbranch_vccnz .LBB6_1019
; %bb.1016:
	v_mov_b32_e32 v4, 3
	v_cmp_lt_i16_sdwa s[0:1], v20, v4 src0_sel:BYTE_0 src1_sel:DWORD
	s_and_b64 vcc, exec, s[0:1]
	s_cbranch_vccnz .LBB6_1020
; %bb.1017:
	v_cmp_gt_i16_sdwa s[0:1], v20, v4 src0_sel:BYTE_0 src1_sel:DWORD
	s_and_b64 vcc, exec, s[0:1]
	s_cbranch_vccz .LBB6_1021
; %bb.1018:
	global_load_dwordx2 v[4:5], v[2:3], off
	s_mov_b64 s[0:1], 0
	s_waitcnt vmcnt(0)
	v_cvt_f64_i32_e32 v[6:7], v5
	v_cvt_f64_u32_e32 v[4:5], v4
	v_ldexp_f64 v[6:7], v[6:7], 32
	v_add_f64 v[4:5], v[6:7], v[4:5]
	s_branch .LBB6_1022
.LBB6_1019:
	s_mov_b64 s[0:1], -1
                                        ; implicit-def: $vgpr4_vgpr5
	s_branch .LBB6_1028
.LBB6_1020:
	s_mov_b64 s[0:1], -1
                                        ; implicit-def: $vgpr4_vgpr5
	s_branch .LBB6_1025
.LBB6_1021:
	s_mov_b64 s[0:1], -1
                                        ; implicit-def: $vgpr4_vgpr5
.LBB6_1022:
	s_andn2_b64 vcc, exec, s[0:1]
	s_cbranch_vccnz .LBB6_1024
; %bb.1023:
	global_load_dword v4, v[2:3], off
	s_waitcnt vmcnt(0)
	v_cvt_f64_i32_e32 v[4:5], v4
.LBB6_1024:
	s_mov_b64 s[0:1], 0
.LBB6_1025:
	s_andn2_b64 vcc, exec, s[0:1]
	s_cbranch_vccnz .LBB6_1027
; %bb.1026:
	global_load_sshort v4, v[2:3], off
	s_waitcnt vmcnt(0)
	v_cvt_f64_i32_e32 v[4:5], v4
.LBB6_1027:
	s_mov_b64 s[0:1], 0
.LBB6_1028:
	s_andn2_b64 vcc, exec, s[0:1]
	s_cbranch_vccnz .LBB6_1034
; %bb.1029:
	v_mov_b32_e32 v4, 0
	v_cmp_gt_i16_sdwa s[0:1], v20, v4 src0_sel:BYTE_0 src1_sel:DWORD
	s_and_b64 vcc, exec, s[0:1]
	s_cbranch_vccz .LBB6_1031
; %bb.1030:
	global_load_sbyte v4, v[2:3], off
	s_mov_b64 s[0:1], 0
	s_waitcnt vmcnt(0)
	v_cvt_f64_i32_e32 v[4:5], v4
	s_branch .LBB6_1032
.LBB6_1031:
	s_mov_b64 s[0:1], -1
                                        ; implicit-def: $vgpr4_vgpr5
.LBB6_1032:
	s_andn2_b64 vcc, exec, s[0:1]
	s_cbranch_vccnz .LBB6_1034
; %bb.1033:
	global_load_ubyte v2, v[2:3], off
	s_waitcnt vmcnt(0)
	v_cvt_f64_u32_e32 v[4:5], v2
.LBB6_1034:
	s_mov_b64 s[0:1], -1
.LBB6_1035:
	s_andn2_b64 vcc, exec, s[0:1]
	s_cbranch_vccnz .LBB6_1043
; %bb.1036:
	s_waitcnt vmcnt(0)
	v_mul_f64 v[2:3], v[0:1], v[4:5]
	v_cmp_lt_f64_e32 vcc, 0, v[0:1]
	v_cndmask_b32_e32 v0, v2, v0, vcc
	v_mul_lo_u32 v2, v19, s12
	v_cndmask_b32_e32 v1, v3, v1, vcc
	v_ashrrev_i32_e32 v3, 31, v2
	v_mov_b32_e32 v5, s9
	v_add_co_u32_e32 v4, vcc, s8, v2
	v_mov_b32_e32 v2, 11
	v_addc_co_u32_e32 v5, vcc, v5, v3, vcc
	v_cmp_lt_i16_sdwa s[0:1], v18, v2 src0_sel:BYTE_0 src1_sel:DWORD
	s_mov_b64 s[40:41], 0
	s_mov_b64 s[42:43], -1
	s_and_b64 vcc, exec, s[0:1]
	s_mov_b64 s[0:1], s[28:29]
	s_cbranch_vccnz .LBB6_1044
; %bb.1037:
	v_mov_b32_e32 v2, 25
	v_cmp_gt_i16_sdwa s[0:1], v18, v2 src0_sel:BYTE_0 src1_sel:DWORD
	s_and_b64 vcc, exec, s[0:1]
	s_cbranch_vccz .LBB6_1084
; %bb.1038:
	v_mov_b32_e32 v2, 28
	v_cmp_gt_i16_sdwa s[0:1], v18, v2 src0_sel:BYTE_0 src1_sel:DWORD
	s_and_b64 vcc, exec, s[0:1]
	s_cbranch_vccz .LBB6_1085
	;; [unrolled: 5-line block ×4, first 2 shown]
; %bb.1041:
	v_mov_b32_e32 v2, 46
	v_cmp_eq_u16_sdwa s[40:41], v18, v2 src0_sel:BYTE_0 src1_sel:DWORD
	s_mov_b64 s[42:43], 0
	s_mov_b64 s[0:1], -1
	s_and_b64 vcc, exec, s[40:41]
	s_mov_b64 s[40:41], 0
	s_cbranch_vccz .LBB6_1088
; %bb.1042:
	v_cvt_f32_f64_e32 v2, v[0:1]
	v_bfe_u32 v3, v2, 16, 1
	s_movk_i32 s0, 0x7fff
	v_add3_u32 v3, v2, v3, s0
	v_lshrrev_b32_e32 v3, 16, v3
	v_mov_b32_e32 v6, 0x7fc0
	v_cmp_o_f32_e32 vcc, v2, v2
	v_cndmask_b32_e32 v2, v6, v3, vcc
	global_store_dword v[4:5], v2, off
	s_mov_b64 s[40:41], -1
	s_mov_b64 s[0:1], 0
	s_branch .LBB6_1088
.LBB6_1043:
	s_mov_b64 s[42:43], 0
                                        ; implicit-def: $vgpr19
	s_mov_b64 s[0:1], s[28:29]
	s_branch .LBB6_1159
.LBB6_1044:
	s_and_b64 vcc, exec, s[42:43]
	s_cbranch_vccz .LBB6_1157
; %bb.1045:
	v_mov_b32_e32 v2, 5
	v_cmp_lt_i16_sdwa s[42:43], v18, v2 src0_sel:BYTE_0 src1_sel:DWORD
	s_mov_b64 s[40:41], -1
	s_and_b64 vcc, exec, s[42:43]
	s_cbranch_vccnz .LBB6_1066
; %bb.1046:
	v_mov_b32_e32 v2, 8
	v_cmp_lt_i16_sdwa s[42:43], v18, v2 src0_sel:BYTE_0 src1_sel:DWORD
	s_and_b64 vcc, exec, s[42:43]
	s_cbranch_vccnz .LBB6_1056
; %bb.1047:
	v_mov_b32_e32 v2, 9
	v_cmp_lt_i16_sdwa s[42:43], v18, v2 src0_sel:BYTE_0 src1_sel:DWORD
	s_and_b64 vcc, exec, s[42:43]
	s_cbranch_vccnz .LBB6_1053
; %bb.1048:
	v_cmp_gt_i16_sdwa s[42:43], v18, v2 src0_sel:BYTE_0 src1_sel:DWORD
	s_and_b64 vcc, exec, s[42:43]
	s_cbranch_vccz .LBB6_1050
; %bb.1049:
	v_mov_b32_e32 v2, 0
	v_mov_b32_e32 v3, v2
	s_mov_b64 s[40:41], 0
	global_store_dwordx4 v[4:5], v[0:3], off
.LBB6_1050:
	s_andn2_b64 vcc, exec, s[40:41]
	s_cbranch_vccnz .LBB6_1052
; %bb.1051:
	v_cvt_f32_f64_e32 v2, v[0:1]
	v_mov_b32_e32 v3, 0
	global_store_dwordx2 v[4:5], v[2:3], off
.LBB6_1052:
	s_mov_b64 s[40:41], 0
.LBB6_1053:
	s_andn2_b64 vcc, exec, s[40:41]
	s_cbranch_vccnz .LBB6_1055
; %bb.1054:
	v_cvt_f32_f64_e32 v2, v[0:1]
	v_cvt_f16_f32_e32 v2, v2
	global_store_dword v[4:5], v2, off
.LBB6_1055:
	s_mov_b64 s[40:41], 0
.LBB6_1056:
	s_andn2_b64 vcc, exec, s[40:41]
	s_cbranch_vccnz .LBB6_1065
; %bb.1057:
	v_mov_b32_e32 v2, 6
	v_cmp_lt_i16_sdwa s[42:43], v18, v2 src0_sel:BYTE_0 src1_sel:DWORD
	s_mov_b64 s[40:41], -1
	s_and_b64 vcc, exec, s[42:43]
	s_cbranch_vccnz .LBB6_1063
; %bb.1058:
	v_cmp_gt_i16_sdwa s[42:43], v18, v2 src0_sel:BYTE_0 src1_sel:DWORD
	s_and_b64 vcc, exec, s[42:43]
	s_cbranch_vccz .LBB6_1060
; %bb.1059:
	s_mov_b64 s[40:41], 0
	global_store_dwordx2 v[4:5], v[0:1], off
.LBB6_1060:
	s_andn2_b64 vcc, exec, s[40:41]
	s_cbranch_vccnz .LBB6_1062
; %bb.1061:
	v_cvt_f32_f64_e32 v2, v[0:1]
	global_store_dword v[4:5], v2, off
.LBB6_1062:
	s_mov_b64 s[40:41], 0
.LBB6_1063:
	s_andn2_b64 vcc, exec, s[40:41]
	s_cbranch_vccnz .LBB6_1065
; %bb.1064:
	v_cvt_f32_f64_e32 v2, v[0:1]
	v_cvt_f16_f32_e32 v2, v2
	global_store_short v[4:5], v2, off
.LBB6_1065:
	s_mov_b64 s[40:41], 0
.LBB6_1066:
	s_andn2_b64 vcc, exec, s[40:41]
	s_cbranch_vccnz .LBB6_1082
; %bb.1067:
	v_mov_b32_e32 v2, 2
	v_cmp_lt_i16_sdwa s[42:43], v18, v2 src0_sel:BYTE_0 src1_sel:DWORD
	s_mov_b64 s[40:41], -1
	s_and_b64 vcc, exec, s[42:43]
	s_cbranch_vccnz .LBB6_1077
; %bb.1068:
	v_mov_b32_e32 v2, 3
	v_cmp_lt_i16_sdwa s[42:43], v18, v2 src0_sel:BYTE_0 src1_sel:DWORD
	s_and_b64 vcc, exec, s[42:43]
	s_cbranch_vccnz .LBB6_1074
; %bb.1069:
	v_cmp_gt_i16_sdwa s[42:43], v18, v2 src0_sel:BYTE_0 src1_sel:DWORD
	s_and_b64 vcc, exec, s[42:43]
	s_cbranch_vccz .LBB6_1071
; %bb.1070:
	v_trunc_f64_e32 v[2:3], v[0:1]
	s_movk_i32 s15, 0xffe0
	v_ldexp_f64 v[6:7], v[2:3], s15
	v_floor_f64_e32 v[6:7], v[6:7]
	v_fmac_f64_e32 v[2:3], 0xc1f00000, v[6:7]
	v_cvt_i32_f64_e32 v9, v[6:7]
	v_cvt_u32_f64_e32 v8, v[2:3]
	s_mov_b64 s[40:41], 0
	global_store_dwordx2 v[4:5], v[8:9], off
.LBB6_1071:
	s_andn2_b64 vcc, exec, s[40:41]
	s_cbranch_vccnz .LBB6_1073
; %bb.1072:
	v_cvt_i32_f64_e32 v2, v[0:1]
	global_store_dword v[4:5], v2, off
.LBB6_1073:
	s_mov_b64 s[40:41], 0
.LBB6_1074:
	s_andn2_b64 vcc, exec, s[40:41]
	s_cbranch_vccnz .LBB6_1076
; %bb.1075:
	v_cvt_i32_f64_e32 v2, v[0:1]
	global_store_short v[4:5], v2, off
.LBB6_1076:
	s_mov_b64 s[40:41], 0
.LBB6_1077:
	s_andn2_b64 vcc, exec, s[40:41]
	s_cbranch_vccnz .LBB6_1082
; %bb.1078:
	v_mov_b32_e32 v2, 0
	v_cmp_gt_i16_sdwa s[42:43], v18, v2 src0_sel:BYTE_0 src1_sel:DWORD
	s_mov_b64 s[40:41], -1
	s_and_b64 vcc, exec, s[42:43]
	s_cbranch_vccz .LBB6_1080
; %bb.1079:
	v_cvt_i32_f64_e32 v2, v[0:1]
	s_mov_b64 s[40:41], 0
	global_store_byte v[4:5], v2, off
.LBB6_1080:
	s_andn2_b64 vcc, exec, s[40:41]
	s_cbranch_vccnz .LBB6_1082
; %bb.1081:
	v_trunc_f64_e32 v[0:1], v[0:1]
	s_movk_i32 s15, 0xffe0
	v_ldexp_f64 v[2:3], v[0:1], s15
	v_floor_f64_e32 v[2:3], v[2:3]
	v_fmac_f64_e32 v[0:1], 0xc1f00000, v[2:3]
	v_cvt_u32_f64_e32 v0, v[0:1]
	global_store_byte v[4:5], v0, off
.LBB6_1082:
	s_branch .LBB6_1158
.LBB6_1083:
	s_mov_b64 s[42:43], 0
	s_branch .LBB6_912
.LBB6_1084:
	s_mov_b64 s[0:1], s[28:29]
	s_branch .LBB6_1115
.LBB6_1085:
	s_mov_b64 s[0:1], s[28:29]
	s_branch .LBB6_1098
.LBB6_1086:
	s_mov_b64 s[0:1], s[28:29]
	s_branch .LBB6_1094
.LBB6_1087:
	s_mov_b64 s[0:1], s[28:29]
.LBB6_1088:
	s_and_b64 vcc, exec, s[42:43]
	s_cbranch_vccz .LBB6_1093
; %bb.1089:
	v_mov_b32_e32 v2, 44
	v_cmp_eq_u16_sdwa s[42:43], v18, v2 src0_sel:BYTE_0 src1_sel:DWORD
	s_mov_b64 s[0:1], -1
	s_and_b64 vcc, exec, s[42:43]
	s_cbranch_vccz .LBB6_1093
; %bb.1090:
	v_cvt_f32_f64_e32 v2, v[0:1]
	v_bfe_u32 v3, v2, 23, 8
	s_movk_i32 s0, 0xff
	v_cmp_ne_u32_e32 vcc, s0, v3
	v_mov_b32_e32 v6, 0xff
	s_and_saveexec_b64 s[40:41], vcc
; %bb.1091:
	s_mov_b32 s0, 0x3fffff
	v_lshrrev_b32_e32 v6, 23, v2
	v_and_b32_e32 v7, 0x400000, v2
	v_and_or_b32 v2, v2, s0, v3
	v_cmp_ne_u32_e32 vcc, 0, v7
	v_cmp_ne_u32_e64 s[0:1], 0, v2
	s_and_b64 s[0:1], vcc, s[0:1]
	v_cndmask_b32_e64 v2, 0, 1, s[0:1]
	v_add_u32_e32 v6, v6, v2
; %bb.1092:
	s_or_b64 exec, exec, s[40:41]
	s_mov_b64 s[40:41], -1
	s_mov_b64 s[0:1], 0
	global_store_byte v[4:5], v6, off
.LBB6_1093:
	s_mov_b64 s[42:43], 0
.LBB6_1094:
	s_and_b64 vcc, exec, s[42:43]
	s_cbranch_vccz .LBB6_1097
; %bb.1095:
	v_mov_b32_e32 v2, 29
	v_cmp_eq_u16_sdwa s[42:43], v18, v2 src0_sel:BYTE_0 src1_sel:DWORD
	s_mov_b64 s[0:1], -1
	s_and_b64 vcc, exec, s[42:43]
	s_cbranch_vccz .LBB6_1097
; %bb.1096:
	v_trunc_f64_e32 v[2:3], v[0:1]
	s_movk_i32 s0, 0xffe0
	v_ldexp_f64 v[6:7], v[2:3], s0
	v_floor_f64_e32 v[6:7], v[6:7]
	v_fmac_f64_e32 v[2:3], 0xc1f00000, v[6:7]
	v_cvt_u32_f64_e32 v9, v[6:7]
	v_cvt_u32_f64_e32 v8, v[2:3]
	global_store_dwordx2 v[4:5], v[8:9], off
	s_mov_b64 s[40:41], -1
	s_mov_b64 s[0:1], 0
.LBB6_1097:
	s_mov_b64 s[42:43], 0
.LBB6_1098:
	s_and_b64 vcc, exec, s[42:43]
	s_cbranch_vccz .LBB6_1114
; %bb.1099:
	v_mov_b32_e32 v2, 27
	v_cmp_lt_i16_sdwa s[42:43], v18, v2 src0_sel:BYTE_0 src1_sel:DWORD
	s_mov_b64 s[40:41], -1
	s_and_b64 vcc, exec, s[42:43]
	s_cbranch_vccnz .LBB6_1105
; %bb.1100:
	v_cmp_gt_i16_sdwa s[42:43], v18, v2 src0_sel:BYTE_0 src1_sel:DWORD
	s_and_b64 vcc, exec, s[42:43]
	v_cvt_u32_f64_e32 v2, v[0:1]
	s_cbranch_vccz .LBB6_1102
; %bb.1101:
	s_mov_b64 s[40:41], 0
	global_store_dword v[4:5], v2, off
.LBB6_1102:
	s_andn2_b64 vcc, exec, s[40:41]
	s_cbranch_vccnz .LBB6_1104
; %bb.1103:
	global_store_short v[4:5], v2, off
.LBB6_1104:
	s_mov_b64 s[40:41], 0
.LBB6_1105:
	s_andn2_b64 vcc, exec, s[40:41]
	s_cbranch_vccnz .LBB6_1113
; %bb.1106:
	v_cvt_f32_f64_e32 v2, v[0:1]
	v_and_b32_e32 v3, 0x7fffffff, v2
	s_mov_b32 s15, 0x43800000
	v_cmp_gt_u32_e32 vcc, s15, v3
	v_mov_b32_e32 v6, 0x80
	s_and_saveexec_b64 s[40:41], vcc
	s_cbranch_execz .LBB6_1112
; %bb.1107:
	s_mov_b32 s15, 0x3bffffff
	v_cmp_lt_u32_e32 vcc, s15, v3
	s_mov_b64 s[42:43], 0
                                        ; implicit-def: $vgpr3
	s_and_saveexec_b64 s[44:45], vcc
	s_xor_b64 s[44:45], exec, s[44:45]
	s_cbranch_execz .LBB6_1174
; %bb.1108:
	v_bfe_u32 v3, v2, 20, 1
	s_mov_b32 s15, 0x487ffff
	v_add3_u32 v3, v2, v3, s15
	s_mov_b64 s[42:43], exec
	v_lshrrev_b32_e32 v3, 20, v3
	s_or_saveexec_b64 s[44:45], s[44:45]
                                        ; implicit-def: $sgpr15
	s_xor_b64 exec, exec, s[44:45]
	s_cbranch_execnz .LBB6_1175
.LBB6_1109:
	s_or_b64 exec, exec, s[44:45]
	v_mov_b32_e32 v6, s15
	s_and_saveexec_b64 s[44:45], s[42:43]
.LBB6_1110:
	v_lshrrev_b32_e32 v2, 24, v2
	s_movk_i32 s15, 0x80
	v_and_or_b32 v6, v2, s15, v3
.LBB6_1111:
	s_or_b64 exec, exec, s[44:45]
.LBB6_1112:
	s_or_b64 exec, exec, s[40:41]
	global_store_byte v[4:5], v6, off
.LBB6_1113:
	s_mov_b64 s[40:41], -1
.LBB6_1114:
	s_mov_b64 s[42:43], 0
.LBB6_1115:
	s_and_b64 vcc, exec, s[42:43]
	s_cbranch_vccz .LBB6_1156
; %bb.1116:
	v_mov_b32_e32 v2, 22
	v_cmp_gt_i16_sdwa s[44:45], v18, v2 src0_sel:BYTE_0 src1_sel:DWORD
	s_mov_b64 s[42:43], -1
	s_and_b64 vcc, exec, s[44:45]
	s_cbranch_vccz .LBB6_1148
; %bb.1117:
	v_mov_b32_e32 v2, 24
	v_cmp_lt_i16_sdwa s[42:43], v18, v2 src0_sel:BYTE_0 src1_sel:DWORD
	s_mov_b64 s[40:41], -1
	s_and_b64 vcc, exec, s[42:43]
	s_cbranch_vccnz .LBB6_1137
; %bb.1118:
	v_cmp_gt_i16_sdwa s[42:43], v18, v2 src0_sel:BYTE_0 src1_sel:DWORD
	s_and_b64 vcc, exec, s[42:43]
	s_cbranch_vccz .LBB6_1126
; %bb.1119:
	v_cvt_f32_f64_e32 v2, v[0:1]
	v_and_b32_e32 v3, 0x7fffffff, v2
	s_mov_b32 s15, 0x47800000
	v_cmp_gt_u32_e32 vcc, s15, v3
	v_mov_b32_e32 v6, 0x80
	s_and_saveexec_b64 s[40:41], vcc
	s_cbranch_execz .LBB6_1125
; %bb.1120:
	s_mov_b32 s15, 0x37ffffff
	v_cmp_lt_u32_e32 vcc, s15, v3
	s_mov_b64 s[42:43], 0
                                        ; implicit-def: $vgpr3
	s_and_saveexec_b64 s[44:45], vcc
	s_xor_b64 s[44:45], exec, s[44:45]
	s_cbranch_execz .LBB6_2196
; %bb.1121:
	v_bfe_u32 v3, v2, 21, 1
	s_mov_b32 s15, 0x88fffff
	v_add3_u32 v3, v2, v3, s15
	s_mov_b64 s[42:43], exec
	v_lshrrev_b32_e32 v3, 21, v3
	s_or_saveexec_b64 s[44:45], s[44:45]
                                        ; implicit-def: $sgpr15
	s_xor_b64 exec, exec, s[44:45]
	s_cbranch_execnz .LBB6_2197
.LBB6_1122:
	s_or_b64 exec, exec, s[44:45]
	v_mov_b32_e32 v6, s15
	s_and_saveexec_b64 s[44:45], s[42:43]
.LBB6_1123:
	v_lshrrev_b32_e32 v2, 24, v2
	s_movk_i32 s15, 0x80
	v_and_or_b32 v6, v2, s15, v3
.LBB6_1124:
	s_or_b64 exec, exec, s[44:45]
.LBB6_1125:
	s_or_b64 exec, exec, s[40:41]
	s_mov_b64 s[40:41], 0
	global_store_byte v[4:5], v6, off
.LBB6_1126:
	s_and_b64 vcc, exec, s[40:41]
	s_cbranch_vccz .LBB6_1136
; %bb.1127:
	v_cvt_f32_f64_e32 v2, v[0:1]
	v_and_b32_e32 v6, 0x7fffffff, v2
	s_mov_b32 s15, 0x43f00000
	v_cmp_gt_u32_e32 vcc, s15, v6
                                        ; implicit-def: $vgpr3
	s_and_saveexec_b64 s[40:41], vcc
	s_xor_b64 s[40:41], exec, s[40:41]
	s_cbranch_execz .LBB6_1133
; %bb.1128:
	s_mov_b32 s15, 0x3c7fffff
	v_cmp_lt_u32_e32 vcc, s15, v6
                                        ; implicit-def: $vgpr3
	s_and_saveexec_b64 s[42:43], vcc
	s_xor_b64 s[42:43], exec, s[42:43]
; %bb.1129:
	v_bfe_u32 v3, v2, 20, 1
	s_mov_b32 s15, 0x407ffff
	v_add3_u32 v3, v2, v3, s15
	v_lshrrev_b32_e32 v6, 20, v3
	v_and_b32_e32 v3, 0xff00000, v3
	s_mov_b32 s15, 0x7f00000
	v_mov_b32_e32 v7, 0x7e
	v_cmp_ne_u32_e32 vcc, s15, v3
	v_cndmask_b32_e32 v3, v7, v6, vcc
; %bb.1130:
	s_andn2_saveexec_b64 s[42:43], s[42:43]
; %bb.1131:
	s_mov_b32 s15, 0x46800000
	v_add_f32_e64 v3, |v2|, s15
; %bb.1132:
	s_or_b64 exec, exec, s[42:43]
                                        ; implicit-def: $vgpr6
.LBB6_1133:
	s_andn2_saveexec_b64 s[40:41], s[40:41]
; %bb.1134:
	s_mov_b32 s15, 0x7f800000
	v_mov_b32_e32 v3, 0x7e
	v_mov_b32_e32 v7, 0x7f
	v_cmp_lt_u32_e32 vcc, s15, v6
	v_cndmask_b32_e32 v3, v3, v7, vcc
; %bb.1135:
	s_or_b64 exec, exec, s[40:41]
	v_lshrrev_b32_e32 v2, 24, v2
	s_movk_i32 s15, 0x80
	v_and_or_b32 v2, v2, s15, v3
	global_store_byte v[4:5], v2, off
.LBB6_1136:
	s_mov_b64 s[40:41], 0
.LBB6_1137:
	s_andn2_b64 vcc, exec, s[40:41]
	s_cbranch_vccnz .LBB6_1147
; %bb.1138:
	v_cvt_f32_f64_e32 v2, v[0:1]
	v_and_b32_e32 v6, 0x7fffffff, v2
	s_mov_b32 s15, 0x47800000
	v_cmp_gt_u32_e32 vcc, s15, v6
                                        ; implicit-def: $vgpr3
	s_and_saveexec_b64 s[40:41], vcc
	s_xor_b64 s[40:41], exec, s[40:41]
	s_cbranch_execz .LBB6_1144
; %bb.1139:
	s_mov_b32 s15, 0x387fffff
	v_cmp_lt_u32_e32 vcc, s15, v6
                                        ; implicit-def: $vgpr3
	s_and_saveexec_b64 s[42:43], vcc
	s_xor_b64 s[42:43], exec, s[42:43]
; %bb.1140:
	v_bfe_u32 v3, v2, 21, 1
	s_mov_b32 s15, 0x80fffff
	v_add3_u32 v3, v2, v3, s15
	v_lshrrev_b32_e32 v3, 21, v3
; %bb.1141:
	s_andn2_saveexec_b64 s[42:43], s[42:43]
; %bb.1142:
	s_mov_b32 s15, 0x43000000
	v_add_f32_e64 v3, |v2|, s15
; %bb.1143:
	s_or_b64 exec, exec, s[42:43]
                                        ; implicit-def: $vgpr6
.LBB6_1144:
	s_andn2_saveexec_b64 s[40:41], s[40:41]
; %bb.1145:
	s_mov_b32 s15, 0x7f800000
	v_mov_b32_e32 v3, 0x7c
	v_mov_b32_e32 v7, 0x7f
	v_cmp_lt_u32_e32 vcc, s15, v6
	v_cndmask_b32_e32 v3, v3, v7, vcc
; %bb.1146:
	s_or_b64 exec, exec, s[40:41]
	v_lshrrev_b32_e32 v2, 24, v2
	s_movk_i32 s15, 0x80
	v_and_or_b32 v2, v2, s15, v3
	global_store_byte v[4:5], v2, off
.LBB6_1147:
	s_mov_b64 s[42:43], 0
	s_mov_b64 s[40:41], -1
.LBB6_1148:
	s_andn2_b64 vcc, exec, s[42:43]
	s_cbranch_vccnz .LBB6_1156
; %bb.1149:
	v_mov_b32_e32 v2, 14
	v_cmp_gt_i16_sdwa s[44:45], v18, v2 src0_sel:BYTE_0 src1_sel:DWORD
	s_mov_b64 s[42:43], -1
	s_and_b64 vcc, exec, s[44:45]
	s_cbranch_vccz .LBB6_1153
; %bb.1150:
	v_mov_b32_e32 v2, 15
	v_cmp_eq_u16_sdwa s[42:43], v18, v2 src0_sel:BYTE_0 src1_sel:DWORD
	s_mov_b64 s[0:1], -1
	s_and_b64 vcc, exec, s[42:43]
	s_cbranch_vccz .LBB6_1152
; %bb.1151:
	v_cvt_f32_f64_e32 v2, v[0:1]
	v_bfe_u32 v3, v2, 16, 1
	s_movk_i32 s0, 0x7fff
	v_add3_u32 v3, v2, v3, s0
	v_lshrrev_b32_e32 v3, 16, v3
	v_mov_b32_e32 v6, 0x7fc0
	v_cmp_o_f32_e32 vcc, v2, v2
	v_cndmask_b32_e32 v2, v6, v3, vcc
	global_store_short v[4:5], v2, off
	s_mov_b64 s[40:41], -1
	s_mov_b64 s[0:1], 0
.LBB6_1152:
	s_mov_b64 s[42:43], 0
.LBB6_1153:
	s_and_b64 vcc, exec, s[42:43]
	s_cbranch_vccz .LBB6_1156
; %bb.1154:
	v_mov_b32_e32 v2, 11
	v_cmp_eq_u16_sdwa s[42:43], v18, v2 src0_sel:BYTE_0 src1_sel:DWORD
	s_mov_b64 s[0:1], -1
	s_and_b64 vcc, exec, s[42:43]
	s_cbranch_vccz .LBB6_1156
; %bb.1155:
	v_cmp_neq_f64_e32 vcc, 0, v[0:1]
	s_mov_b64 s[0:1], 0
	v_cndmask_b32_e64 v2, 0, 1, vcc
	s_mov_b64 s[40:41], -1
	global_store_byte v[4:5], v2, off
.LBB6_1156:
.LBB6_1157:
	s_andn2_b64 vcc, exec, s[40:41]
	s_cbranch_vccnz .LBB6_1083
.LBB6_1158:
	v_add_u32_e32 v19, 0x80, v19
	s_mov_b64 s[42:43], -1
.LBB6_1159:
	s_andn2_b64 s[40:41], s[28:29], exec
	s_and_b64 s[0:1], s[0:1], exec
	s_or_b64 s[40:41], s[40:41], s[0:1]
	s_andn2_b64 s[0:1], s[26:27], exec
	s_and_b64 s[38:39], s[38:39], exec
	s_or_b64 s[38:39], s[0:1], s[38:39]
	;; [unrolled: 3-line block ×3, first 2 shown]
	s_orn2_b64 s[46:47], s[42:43], exec
.LBB6_1160:
	s_or_b64 exec, exec, s[34:35]
	s_mov_b64 s[42:43], 0
	s_mov_b64 s[36:37], 0
	;; [unrolled: 1-line block ×3, first 2 shown]
                                        ; implicit-def: $vgpr4
                                        ; implicit-def: $vgpr0_vgpr1
                                        ; implicit-def: $vgpr2_vgpr3
	s_and_saveexec_b64 s[34:35], s[46:47]
	s_cbranch_execz .LBB6_1243
; %bb.1161:
	v_cmp_gt_i32_e32 vcc, s33, v19
	s_mov_b64 s[46:47], 0
	s_mov_b64 s[48:49], s[0:1]
	;; [unrolled: 1-line block ×4, first 2 shown]
                                        ; implicit-def: $vgpr4
                                        ; implicit-def: $vgpr0_vgpr1
                                        ; implicit-def: $vgpr2_vgpr3
	s_and_saveexec_b64 s[36:37], vcc
	s_cbranch_execz .LBB6_1242
; %bb.1162:
	s_waitcnt vmcnt(0)
	v_mul_lo_u32 v0, v19, s13
	v_ashrrev_i32_e32 v1, 31, v0
	v_mov_b32_e32 v2, s11
	v_add_co_u32_e32 v0, vcc, s10, v0
	v_addc_co_u32_e32 v1, vcc, v2, v1, vcc
	v_and_b32_e32 v4, 0xff, v16
	v_cmp_gt_i16_e32 vcc, 11, v4
	s_cbranch_vccnz .LBB6_1169
; %bb.1163:
	v_cmp_lt_i16_e32 vcc, 25, v4
	s_cbranch_vccz .LBB6_1170
; %bb.1164:
	v_cmp_lt_i16_e32 vcc, 28, v4
	s_cbranch_vccz .LBB6_1171
	;; [unrolled: 3-line block ×4, first 2 shown]
; %bb.1167:
	v_cmp_eq_u16_e32 vcc, 46, v4
	s_mov_b64 s[48:49], 0
	s_cbranch_vccz .LBB6_1176
; %bb.1168:
	global_load_dword v2, v[0:1], off
	s_mov_b64 s[46:47], -1
	s_waitcnt vmcnt(0)
	v_lshlrev_b32_e32 v2, 16, v2
	v_cvt_f64_f32_e32 v[2:3], v2
	s_branch .LBB6_1178
.LBB6_1169:
	s_mov_b64 s[48:49], -1
                                        ; implicit-def: $vgpr2_vgpr3
	s_mov_b64 s[42:43], s[0:1]
	s_branch .LBB6_1241
.LBB6_1170:
	s_mov_b64 s[48:49], -1
	s_mov_b64 s[42:43], s[0:1]
                                        ; implicit-def: $vgpr2_vgpr3
	s_branch .LBB6_1207
.LBB6_1171:
	s_mov_b64 s[48:49], -1
	s_mov_b64 s[42:43], s[0:1]
                                        ; implicit-def: $vgpr2_vgpr3
	s_branch .LBB6_1188
.LBB6_1172:
	s_mov_b64 s[48:49], -1
	s_mov_b64 s[42:43], s[0:1]
                                        ; implicit-def: $vgpr2_vgpr3
	s_branch .LBB6_1183
.LBB6_1173:
	s_mov_b64 s[48:49], -1
	s_mov_b64 s[42:43], s[0:1]
	s_branch .LBB6_1177
.LBB6_1174:
	s_or_saveexec_b64 s[44:45], s[44:45]
                                        ; implicit-def: $sgpr15
	s_xor_b64 exec, exec, s[44:45]
	s_cbranch_execz .LBB6_1109
.LBB6_1175:
	s_mov_b32 s15, 0x46000000
	v_add_f32_e64 v3, |v2|, s15
	v_and_b32_e32 v3, 0xff, v3
	v_cmp_ne_u32_e32 vcc, 0, v3
	s_andn2_b64 s[42:43], s[42:43], exec
	s_and_b64 s[46:47], vcc, exec
	s_mov_b32 s15, 0
	s_or_b64 s[42:43], s[42:43], s[46:47]
	s_or_b64 exec, exec, s[44:45]
	v_mov_b32_e32 v6, s15
	s_and_saveexec_b64 s[44:45], s[42:43]
	s_cbranch_execnz .LBB6_1110
	s_branch .LBB6_1111
.LBB6_1176:
	s_mov_b64 s[42:43], -1
.LBB6_1177:
                                        ; implicit-def: $vgpr2_vgpr3
.LBB6_1178:
	s_and_b64 vcc, exec, s[48:49]
	s_cbranch_vccz .LBB6_1182
; %bb.1179:
	v_cmp_eq_u16_e32 vcc, 44, v4
	s_cbranch_vccz .LBB6_1181
; %bb.1180:
	global_load_ubyte v5, v[0:1], off
	s_movk_i32 s15, 0xff
	v_bfrev_b32_e32 v6, 4
	v_mov_b32_e32 v7, 0x7ff80000
	v_bfrev_b32_e32 v8, 28
	s_mov_b64 s[42:43], 0
	s_mov_b64 s[46:47], -1
	s_waitcnt vmcnt(0)
	v_lshlrev_b32_e32 v2, 23, v5
	v_cvt_f64_f32_e32 v[2:3], v2
	v_cmp_ne_u32_e32 vcc, s15, v5
	v_cndmask_b32_e32 v2, v6, v2, vcc
	v_cndmask_b32_e32 v3, v7, v3, vcc
	v_cmp_ne_u32_e32 vcc, 0, v5
	v_cndmask_b32_e32 v3, v8, v3, vcc
	v_cndmask_b32_e32 v2, 0, v2, vcc
	s_branch .LBB6_1182
.LBB6_1181:
	s_mov_b64 s[42:43], -1
                                        ; implicit-def: $vgpr2_vgpr3
.LBB6_1182:
	s_mov_b64 s[48:49], 0
.LBB6_1183:
	s_and_b64 vcc, exec, s[48:49]
	s_cbranch_vccz .LBB6_1187
; %bb.1184:
	v_cmp_eq_u16_e32 vcc, 29, v4
	s_cbranch_vccz .LBB6_1186
; %bb.1185:
	global_load_dwordx2 v[2:3], v[0:1], off
	s_mov_b64 s[42:43], 0
	s_mov_b64 s[46:47], -1
	s_mov_b64 s[48:49], 0
	s_waitcnt vmcnt(0)
	v_cvt_f64_u32_e32 v[6:7], v3
	v_cvt_f64_u32_e32 v[2:3], v2
	v_ldexp_f64 v[6:7], v[6:7], 32
	v_add_f64 v[2:3], v[6:7], v[2:3]
	s_branch .LBB6_1188
.LBB6_1186:
	s_mov_b64 s[42:43], -1
                                        ; implicit-def: $vgpr2_vgpr3
.LBB6_1187:
	s_mov_b64 s[48:49], 0
.LBB6_1188:
	s_and_b64 vcc, exec, s[48:49]
	s_cbranch_vccz .LBB6_1206
; %bb.1189:
	v_cmp_gt_i16_e32 vcc, 27, v4
	s_cbranch_vccnz .LBB6_1192
; %bb.1190:
	v_cmp_lt_i16_e32 vcc, 27, v4
	s_cbranch_vccz .LBB6_1193
; %bb.1191:
	global_load_dword v2, v[0:1], off
	s_mov_b64 s[46:47], 0
	s_waitcnt vmcnt(0)
	v_cvt_f64_u32_e32 v[2:3], v2
	s_branch .LBB6_1194
.LBB6_1192:
	s_mov_b64 s[46:47], -1
                                        ; implicit-def: $vgpr2_vgpr3
	s_branch .LBB6_1197
.LBB6_1193:
	s_mov_b64 s[46:47], -1
                                        ; implicit-def: $vgpr2_vgpr3
.LBB6_1194:
	s_andn2_b64 vcc, exec, s[46:47]
	s_cbranch_vccnz .LBB6_1196
; %bb.1195:
	global_load_ushort v2, v[0:1], off
	s_waitcnt vmcnt(0)
	v_cvt_f64_u32_e32 v[2:3], v2
.LBB6_1196:
	s_mov_b64 s[46:47], 0
.LBB6_1197:
	s_andn2_b64 vcc, exec, s[46:47]
	s_cbranch_vccnz .LBB6_1205
; %bb.1198:
	global_load_ubyte v5, v[0:1], off
	s_movk_i32 s15, 0x7f
	s_mov_b64 s[46:47], 0
                                        ; implicit-def: $sgpr48_sgpr49
	s_waitcnt vmcnt(0)
	v_cmp_lt_i16_e32 vcc, s15, v5
	s_and_saveexec_b64 s[50:51], vcc
	s_xor_b64 s[50:51], exec, s[50:51]
	s_cbranch_execz .LBB6_1219
; %bb.1199:
	s_movk_i32 s15, 0x80
	v_cmp_eq_u16_e32 vcc, s15, v5
	s_mov_b64 s[52:53], -1
                                        ; implicit-def: $sgpr48_sgpr49
	s_and_saveexec_b64 s[46:47], vcc
; %bb.1200:
	s_mov_b32 s49, 0x7ff80000
	s_brev_b32 s48, 4
	s_xor_b64 s[52:53], exec, -1
; %bb.1201:
	s_or_b64 exec, exec, s[46:47]
	s_and_b64 s[46:47], s[52:53], exec
	s_or_saveexec_b64 s[50:51], s[50:51]
	v_pk_mov_b32 v[2:3], s[48:49], s[48:49] op_sel:[0,1]
	s_xor_b64 exec, exec, s[50:51]
	s_cbranch_execnz .LBB6_1220
.LBB6_1202:
	s_or_b64 exec, exec, s[50:51]
	s_and_saveexec_b64 s[48:49], s[46:47]
	s_cbranch_execz .LBB6_1204
.LBB6_1203:
	v_and_b32_e32 v3, 0xffff, v5
	v_lshlrev_b32_e32 v2, 24, v5
	v_and_b32_e32 v5, 7, v3
	v_ffbh_u32_e32 v7, v5
	v_min_u32_e32 v7, 32, v7
	v_subrev_u32_e32 v8, 28, v7
	v_bfe_u32 v6, v3, 3, 4
	v_lshlrev_b32_e32 v3, v8, v3
	v_sub_u32_e32 v7, 29, v7
	v_and_b32_e32 v3, 7, v3
	v_cmp_eq_u32_e32 vcc, 0, v6
	v_cndmask_b32_e32 v6, v6, v7, vcc
	v_cndmask_b32_e32 v3, v5, v3, vcc
	v_mov_b32_e32 v5, 0x3b800000
	v_lshlrev_b32_e32 v3, 20, v3
	v_and_b32_e32 v2, 0x80000000, v2
	v_lshl_add_u32 v5, v6, 23, v5
	v_or3_b32 v2, v2, v5, v3
	v_cvt_f64_f32_e32 v[2:3], v2
.LBB6_1204:
	s_or_b64 exec, exec, s[48:49]
.LBB6_1205:
	s_mov_b64 s[46:47], -1
.LBB6_1206:
	s_mov_b64 s[48:49], 0
.LBB6_1207:
	s_and_b64 vcc, exec, s[48:49]
	s_cbranch_vccz .LBB6_1240
; %bb.1208:
	v_cmp_lt_i16_e32 vcc, 22, v4
	s_cbranch_vccz .LBB6_1218
; %bb.1209:
	v_cmp_gt_i16_e32 vcc, 24, v4
	s_cbranch_vccnz .LBB6_1221
; %bb.1210:
	v_cmp_lt_i16_e32 vcc, 24, v4
	s_cbranch_vccz .LBB6_1222
; %bb.1211:
	global_load_ubyte v5, v[0:1], off
	s_movk_i32 s15, 0x7f
                                        ; implicit-def: $sgpr46_sgpr47
	s_waitcnt vmcnt(0)
	v_cmp_lt_i16_e32 vcc, s15, v5
	s_and_saveexec_b64 s[48:49], vcc
	s_xor_b64 s[48:49], exec, s[48:49]
	s_cbranch_execz .LBB6_1234
; %bb.1212:
	s_movk_i32 s15, 0x80
	v_cmp_eq_u16_e32 vcc, s15, v5
	s_mov_b64 s[50:51], -1
                                        ; implicit-def: $sgpr46_sgpr47
	s_and_saveexec_b64 s[44:45], vcc
; %bb.1213:
	s_mov_b32 s47, 0x7ff80000
	s_brev_b32 s46, 4
	s_xor_b64 s[50:51], exec, -1
; %bb.1214:
	s_or_b64 exec, exec, s[44:45]
	s_and_b64 s[44:45], s[50:51], exec
	s_or_saveexec_b64 s[48:49], s[48:49]
	v_pk_mov_b32 v[2:3], s[46:47], s[46:47] op_sel:[0,1]
	s_xor_b64 exec, exec, s[48:49]
	s_cbranch_execnz .LBB6_1235
.LBB6_1215:
	s_or_b64 exec, exec, s[48:49]
	s_and_saveexec_b64 s[46:47], s[44:45]
	s_cbranch_execz .LBB6_1217
.LBB6_1216:
	v_and_b32_e32 v3, 0xffff, v5
	v_lshlrev_b32_e32 v2, 24, v5
	v_and_b32_e32 v5, 3, v3
	v_ffbh_u32_e32 v7, v5
	v_min_u32_e32 v7, 32, v7
	v_subrev_u32_e32 v8, 29, v7
	v_bfe_u32 v6, v3, 2, 5
	v_lshlrev_b32_e32 v3, v8, v3
	v_sub_u32_e32 v7, 30, v7
	v_and_b32_e32 v3, 3, v3
	v_cmp_eq_u32_e32 vcc, 0, v6
	v_cndmask_b32_e32 v6, v6, v7, vcc
	v_cndmask_b32_e32 v3, v5, v3, vcc
	v_mov_b32_e32 v5, 0x37800000
	v_lshlrev_b32_e32 v3, 21, v3
	v_and_b32_e32 v2, 0x80000000, v2
	v_lshl_add_u32 v5, v6, 23, v5
	v_or3_b32 v2, v2, v5, v3
	v_cvt_f64_f32_e32 v[2:3], v2
.LBB6_1217:
	s_or_b64 exec, exec, s[46:47]
	s_mov_b64 s[44:45], 0
	s_branch .LBB6_1223
.LBB6_1218:
	s_mov_b64 s[44:45], -1
                                        ; implicit-def: $vgpr2_vgpr3
	s_branch .LBB6_1229
.LBB6_1219:
	s_or_saveexec_b64 s[50:51], s[50:51]
	v_pk_mov_b32 v[2:3], s[48:49], s[48:49] op_sel:[0,1]
	s_xor_b64 exec, exec, s[50:51]
	s_cbranch_execz .LBB6_1202
.LBB6_1220:
	v_cmp_ne_u16_e32 vcc, 0, v5
	s_andn2_b64 s[46:47], s[46:47], exec
	s_and_b64 s[48:49], vcc, exec
	v_pk_mov_b32 v[2:3], 0, 0
	s_or_b64 s[46:47], s[46:47], s[48:49]
	s_or_b64 exec, exec, s[50:51]
	s_and_saveexec_b64 s[48:49], s[46:47]
	s_cbranch_execnz .LBB6_1203
	s_branch .LBB6_1204
.LBB6_1221:
	s_mov_b64 s[44:45], -1
                                        ; implicit-def: $vgpr2_vgpr3
	s_branch .LBB6_1226
.LBB6_1222:
	s_mov_b64 s[44:45], -1
                                        ; implicit-def: $vgpr2_vgpr3
.LBB6_1223:
	s_and_b64 vcc, exec, s[44:45]
	s_cbranch_vccz .LBB6_1225
; %bb.1224:
	global_load_ubyte v2, v[0:1], off
	s_mov_b32 s15, 0x7f800000
	s_waitcnt vmcnt(0)
	v_lshlrev_b32_e32 v2, 24, v2
	v_and_b32_e32 v3, 0x7f000000, v2
	v_ffbh_u32_e32 v5, v3
	v_min_u32_e32 v5, 32, v5
	v_sub_u32_e64 v5, v5, 4 clamp
	v_lshlrev_b32_e32 v7, v5, v3
	v_lshlrev_b32_e32 v5, 23, v5
	v_lshrrev_b32_e32 v7, 4, v7
	v_add_u32_e32 v6, 0x1000000, v3
	v_sub_u32_e32 v5, v7, v5
	v_ashrrev_i32_e32 v6, 8, v6
	v_add_u32_e32 v5, 0x3c000000, v5
	v_and_or_b32 v5, v6, s15, v5
	v_cmp_ne_u32_e32 vcc, 0, v3
	v_cndmask_b32_e32 v3, 0, v5, vcc
	s_brev_b32 s15, 1
	v_and_or_b32 v2, v2, s15, v3
	v_cvt_f64_f32_e32 v[2:3], v2
.LBB6_1225:
	s_mov_b64 s[44:45], 0
.LBB6_1226:
	s_andn2_b64 vcc, exec, s[44:45]
	s_cbranch_vccnz .LBB6_1228
; %bb.1227:
	global_load_ubyte v2, v[0:1], off
	s_movk_i32 s15, 0x7f00
	s_brev_b32 s33, 16
	s_waitcnt vmcnt(0)
	v_lshlrev_b16_e32 v3, 8, v2
	v_lshlrev_b32_e32 v2, 25, v2
	v_lshrrev_b32_e32 v5, 4, v2
	v_and_or_b32 v6, v3, s15, 0.5
	v_or_b32_e32 v5, 0x70000000, v5
	v_add_f32_e32 v6, -0.5, v6
	v_mul_f32_e32 v5, 0x7800000, v5
	v_cmp_gt_u32_e32 vcc, s33, v2
	v_bfe_i32 v3, v3, 0, 16
	v_cndmask_b32_e32 v2, v5, v6, vcc
	s_brev_b32 s15, 1
	v_and_or_b32 v2, v3, s15, v2
	v_cvt_f64_f32_e32 v[2:3], v2
.LBB6_1228:
	s_mov_b64 s[44:45], 0
	s_mov_b64 s[46:47], -1
.LBB6_1229:
	s_andn2_b64 vcc, exec, s[44:45]
	s_mov_b64 s[44:45], 0
	s_cbranch_vccnz .LBB6_1240
; %bb.1230:
	v_cmp_lt_i16_e32 vcc, 14, v4
	s_cbranch_vccz .LBB6_1233
; %bb.1231:
	v_cmp_eq_u16_e32 vcc, 15, v4
	s_cbranch_vccz .LBB6_1236
; %bb.1232:
	global_load_ushort v2, v[0:1], off
	s_mov_b64 s[42:43], 0
	s_mov_b64 s[46:47], -1
	s_waitcnt vmcnt(0)
	v_lshlrev_b32_e32 v2, 16, v2
	v_cvt_f64_f32_e32 v[2:3], v2
	s_branch .LBB6_1237
.LBB6_1233:
	s_mov_b64 s[48:49], -1
                                        ; implicit-def: $vgpr2_vgpr3
	s_branch .LBB6_1238
.LBB6_1234:
	s_or_saveexec_b64 s[48:49], s[48:49]
	v_pk_mov_b32 v[2:3], s[46:47], s[46:47] op_sel:[0,1]
	s_xor_b64 exec, exec, s[48:49]
	s_cbranch_execz .LBB6_1215
.LBB6_1235:
	v_cmp_ne_u16_e32 vcc, 0, v5
	s_andn2_b64 s[44:45], s[44:45], exec
	s_and_b64 s[46:47], vcc, exec
	v_pk_mov_b32 v[2:3], 0, 0
	s_or_b64 s[44:45], s[44:45], s[46:47]
	s_or_b64 exec, exec, s[48:49]
	s_and_saveexec_b64 s[46:47], s[44:45]
	s_cbranch_execnz .LBB6_1216
	s_branch .LBB6_1217
.LBB6_1236:
	s_mov_b64 s[42:43], -1
                                        ; implicit-def: $vgpr2_vgpr3
.LBB6_1237:
	s_mov_b64 s[48:49], 0
.LBB6_1238:
	s_and_b64 vcc, exec, s[48:49]
	s_cbranch_vccz .LBB6_1240
; %bb.1239:
	v_cmp_ne_u16_e32 vcc, 11, v4
	s_andn2_b64 s[42:43], s[42:43], exec
	s_and_b64 s[48:49], vcc, exec
	s_mov_b64 s[44:45], -1
	s_or_b64 s[42:43], s[42:43], s[48:49]
                                        ; implicit-def: $vgpr2_vgpr3
.LBB6_1240:
	s_mov_b64 s[48:49], 0
.LBB6_1241:
	s_and_b64 s[52:53], s[46:47], exec
	s_and_b64 s[46:47], s[44:45], exec
	s_andn2_b64 s[44:45], s[0:1], exec
	s_and_b64 s[42:43], s[42:43], exec
	s_and_b64 s[50:51], s[48:49], exec
	s_or_b64 s[48:49], s[44:45], s[42:43]
.LBB6_1242:
	s_or_b64 exec, exec, s[36:37]
	s_and_b64 s[42:43], s[46:47], exec
	s_andn2_b64 s[0:1], s[0:1], exec
	s_and_b64 s[46:47], s[48:49], exec
	s_and_b64 s[44:45], s[52:53], exec
	;; [unrolled: 1-line block ×3, first 2 shown]
	s_or_b64 s[0:1], s[0:1], s[46:47]
.LBB6_1243:
	s_or_b64 exec, exec, s[34:35]
	s_andn2_b64 s[28:29], s[28:29], exec
	s_and_b64 s[34:35], s[40:41], exec
	s_or_b64 s[28:29], s[28:29], s[34:35]
	s_andn2_b64 s[26:27], s[26:27], exec
	s_and_b64 s[34:35], s[38:39], exec
	s_andn2_b64 s[24:25], s[24:25], exec
	s_and_b64 s[0:1], s[0:1], exec
	s_or_b64 s[26:27], s[26:27], s[34:35]
	s_and_b64 s[38:39], s[44:45], exec
	s_and_b64 s[36:37], s[36:37], exec
	;; [unrolled: 1-line block ×3, first 2 shown]
	s_or_b64 s[24:25], s[24:25], s[0:1]
.LBB6_1244:
	s_or_b64 exec, exec, s[30:31]
	s_andn2_b64 s[0:1], s[6:7], exec
	s_and_b64 s[6:7], s[28:29], exec
	s_or_b64 s[6:7], s[0:1], s[6:7]
	s_andn2_b64 s[0:1], s[18:19], exec
	s_and_b64 s[18:19], s[26:27], exec
	s_or_b64 s[18:19], s[0:1], s[18:19]
	s_andn2_b64 s[0:1], s[20:21], exec
	s_and_b64 s[20:21], s[24:25], exec
	s_and_b64 s[28:29], s[38:39], exec
	;; [unrolled: 1-line block ×4, first 2 shown]
	s_or_b64 s[20:21], s[0:1], s[20:21]
	s_or_b64 exec, exec, s[22:23]
	s_mov_b64 s[22:23], 0
	s_and_saveexec_b64 s[0:1], s[20:21]
	s_cbranch_execz .LBB6_394
.LBB6_1245:
	s_mov_b64 s[22:23], exec
	s_andn2_b64 s[26:27], s[26:27], exec
	s_trap 2
                                        ; implicit-def: $vgpr2_vgpr3
	s_or_b64 exec, exec, s[0:1]
	s_and_saveexec_b64 s[0:1], s[26:27]
	s_xor_b64 s[0:1], exec, s[0:1]
	s_cbranch_execnz .LBB6_395
.LBB6_1246:
	s_or_b64 exec, exec, s[0:1]
	s_and_saveexec_b64 s[0:1], s[30:31]
	s_cbranch_execz .LBB6_1292
.LBB6_1247:
	s_waitcnt vmcnt(0)
	v_cmp_gt_i16_e32 vcc, 5, v4
	s_cbranch_vccnz .LBB6_1252
; %bb.1248:
	v_cmp_gt_i16_e32 vcc, 8, v4
	s_cbranch_vccnz .LBB6_1253
; %bb.1249:
	;; [unrolled: 3-line block ×3, first 2 shown]
	v_cmp_lt_i16_e32 vcc, 9, v4
	s_cbranch_vccz .LBB6_1255
; %bb.1251:
	global_load_dwordx2 v[2:3], v[0:1], off
	s_mov_b64 s[20:21], 0
	s_branch .LBB6_1256
.LBB6_1252:
                                        ; implicit-def: $vgpr2_vgpr3
	s_branch .LBB6_1273
.LBB6_1253:
                                        ; implicit-def: $vgpr2_vgpr3
	s_branch .LBB6_1262
.LBB6_1254:
	s_mov_b64 s[20:21], -1
                                        ; implicit-def: $vgpr2_vgpr3
	s_branch .LBB6_1259
.LBB6_1255:
	s_mov_b64 s[20:21], -1
                                        ; implicit-def: $vgpr2_vgpr3
.LBB6_1256:
	s_andn2_b64 vcc, exec, s[20:21]
	s_cbranch_vccnz .LBB6_1258
; %bb.1257:
	global_load_dword v2, v[0:1], off
	s_waitcnt vmcnt(0)
	v_cvt_f64_f32_e32 v[2:3], v2
.LBB6_1258:
	s_mov_b64 s[20:21], 0
.LBB6_1259:
	s_andn2_b64 vcc, exec, s[20:21]
	s_cbranch_vccnz .LBB6_1261
; %bb.1260:
	global_load_dword v2, v[0:1], off
	s_waitcnt vmcnt(0)
	v_cvt_f32_f16_e32 v2, v2
	v_cvt_f64_f32_e32 v[2:3], v2
.LBB6_1261:
	s_cbranch_execnz .LBB6_1272
.LBB6_1262:
	v_cmp_gt_i16_e32 vcc, 6, v4
	s_cbranch_vccnz .LBB6_1265
; %bb.1263:
	v_cmp_lt_i16_e32 vcc, 6, v4
	s_cbranch_vccz .LBB6_1266
; %bb.1264:
	global_load_dwordx2 v[2:3], v[0:1], off
	s_mov_b64 s[20:21], 0
	s_branch .LBB6_1267
.LBB6_1265:
	s_mov_b64 s[20:21], -1
                                        ; implicit-def: $vgpr2_vgpr3
	s_branch .LBB6_1270
.LBB6_1266:
	s_mov_b64 s[20:21], -1
                                        ; implicit-def: $vgpr2_vgpr3
.LBB6_1267:
	s_andn2_b64 vcc, exec, s[20:21]
	s_cbranch_vccnz .LBB6_1269
; %bb.1268:
	global_load_dword v2, v[0:1], off
	s_waitcnt vmcnt(0)
	v_cvt_f64_f32_e32 v[2:3], v2
.LBB6_1269:
	s_mov_b64 s[20:21], 0
.LBB6_1270:
	s_andn2_b64 vcc, exec, s[20:21]
	s_cbranch_vccnz .LBB6_1272
; %bb.1271:
	global_load_ushort v2, v[0:1], off
	s_waitcnt vmcnt(0)
	v_cvt_f32_f16_e32 v2, v2
	v_cvt_f64_f32_e32 v[2:3], v2
.LBB6_1272:
	s_cbranch_execnz .LBB6_1291
.LBB6_1273:
	v_cmp_gt_i16_e32 vcc, 2, v4
	s_cbranch_vccnz .LBB6_1277
; %bb.1274:
	v_cmp_gt_i16_e32 vcc, 3, v4
	s_cbranch_vccnz .LBB6_1278
; %bb.1275:
	v_cmp_lt_i16_e32 vcc, 3, v4
	s_cbranch_vccz .LBB6_1279
; %bb.1276:
	global_load_dwordx2 v[2:3], v[0:1], off
	s_mov_b64 s[20:21], 0
	s_waitcnt vmcnt(0)
	v_cvt_f64_i32_e32 v[6:7], v3
	v_cvt_f64_u32_e32 v[2:3], v2
	v_ldexp_f64 v[6:7], v[6:7], 32
	v_add_f64 v[2:3], v[6:7], v[2:3]
	s_branch .LBB6_1280
.LBB6_1277:
                                        ; implicit-def: $vgpr2_vgpr3
	s_branch .LBB6_1286
.LBB6_1278:
	s_mov_b64 s[20:21], -1
                                        ; implicit-def: $vgpr2_vgpr3
	s_branch .LBB6_1283
.LBB6_1279:
	s_mov_b64 s[20:21], -1
                                        ; implicit-def: $vgpr2_vgpr3
.LBB6_1280:
	s_andn2_b64 vcc, exec, s[20:21]
	s_cbranch_vccnz .LBB6_1282
; %bb.1281:
	global_load_dword v2, v[0:1], off
	s_waitcnt vmcnt(0)
	v_cvt_f64_i32_e32 v[2:3], v2
.LBB6_1282:
	s_mov_b64 s[20:21], 0
.LBB6_1283:
	s_andn2_b64 vcc, exec, s[20:21]
	s_cbranch_vccnz .LBB6_1285
; %bb.1284:
	global_load_sshort v2, v[0:1], off
	s_waitcnt vmcnt(0)
	v_cvt_f64_i32_e32 v[2:3], v2
.LBB6_1285:
	s_cbranch_execnz .LBB6_1291
.LBB6_1286:
	v_cmp_lt_i16_e32 vcc, 0, v4
	s_cbranch_vccz .LBB6_1288
; %bb.1287:
	global_load_sbyte v2, v[0:1], off
	s_mov_b64 s[20:21], 0
	s_waitcnt vmcnt(0)
	v_cvt_f64_i32_e32 v[2:3], v2
	s_branch .LBB6_1289
.LBB6_1288:
	s_mov_b64 s[20:21], -1
                                        ; implicit-def: $vgpr2_vgpr3
.LBB6_1289:
	s_andn2_b64 vcc, exec, s[20:21]
	s_cbranch_vccnz .LBB6_1291
; %bb.1290:
	global_load_ubyte v0, v[0:1], off
	s_waitcnt vmcnt(0)
	v_cvt_f64_u32_e32 v[2:3], v0
.LBB6_1291:
	s_or_b64 s[28:29], s[28:29], exec
.LBB6_1292:
	s_or_b64 exec, exec, s[0:1]
	s_mov_b64 s[24:25], 0
	s_mov_b64 s[30:31], 0
	s_mov_b64 s[26:27], 0
                                        ; implicit-def: $vgpr4
                                        ; implicit-def: $vgpr0_vgpr1
                                        ; implicit-def: $vgpr6_vgpr7
	s_and_saveexec_b64 s[0:1], s[28:29]
	s_cbranch_execz .LBB6_1300
; %bb.1293:
	s_waitcnt vmcnt(0)
	v_mul_lo_u32 v0, v19, s14
	v_ashrrev_i32_e32 v1, 31, v0
	v_mov_b32_e32 v4, s3
	v_add_co_u32_e32 v0, vcc, s2, v0
	v_addc_co_u32_e32 v1, vcc, v4, v1, vcc
	v_and_b32_e32 v4, 0xff, v20
	v_cmp_gt_i16_e32 vcc, 11, v4
	s_cbranch_vccnz .LBB6_1303
; %bb.1294:
	v_cmp_lt_i16_e32 vcc, 25, v4
	s_cbranch_vccz .LBB6_1304
; %bb.1295:
	v_cmp_lt_i16_e32 vcc, 28, v4
	s_cbranch_vccz .LBB6_1305
	;; [unrolled: 3-line block ×4, first 2 shown]
; %bb.1298:
	v_cmp_eq_u16_e32 vcc, 46, v4
	s_mov_b64 s[28:29], 0
	s_cbranch_vccz .LBB6_1308
; %bb.1299:
	global_load_dword v5, v[0:1], off
	s_mov_b64 s[20:21], 0
	s_mov_b64 s[26:27], -1
	s_waitcnt vmcnt(0)
	v_lshlrev_b32_e32 v5, 16, v5
	v_cvt_f64_f32_e32 v[6:7], v5
	s_branch .LBB6_1310
.LBB6_1300:
	s_or_b64 exec, exec, s[0:1]
	s_and_saveexec_b64 s[0:1], s[18:19]
	s_cbranch_execnz .LBB6_1373
.LBB6_1301:
	s_or_b64 exec, exec, s[0:1]
	s_and_saveexec_b64 s[0:1], s[24:25]
	s_xor_b64 s[0:1], exec, s[0:1]
	s_cbranch_execz .LBB6_1374
.LBB6_1302:
	s_waitcnt vmcnt(0)
	global_load_ubyte v5, v[0:1], off
	v_mov_b32_e32 v7, 0x3ff00000
	v_mov_b32_e32 v6, 0
	s_or_b64 s[26:27], s[26:27], exec
	s_waitcnt vmcnt(0)
	v_cmp_ne_u16_e32 vcc, 0, v5
	v_cndmask_b32_e32 v7, 0, v7, vcc
	s_or_b64 exec, exec, s[0:1]
	s_and_saveexec_b64 s[0:1], s[30:31]
	s_cbranch_execz .LBB6_1420
	s_branch .LBB6_1375
.LBB6_1303:
	s_mov_b64 s[28:29], -1
                                        ; implicit-def: $vgpr6_vgpr7
	s_mov_b64 s[20:21], s[18:19]
	s_branch .LBB6_1372
.LBB6_1304:
	s_mov_b64 s[20:21], s[18:19]
                                        ; implicit-def: $vgpr6_vgpr7
	s_cbranch_execnz .LBB6_1339
	s_branch .LBB6_1371
.LBB6_1305:
	s_mov_b64 s[28:29], -1
	s_mov_b64 s[20:21], s[18:19]
                                        ; implicit-def: $vgpr6_vgpr7
	s_branch .LBB6_1320
.LBB6_1306:
	s_mov_b64 s[28:29], -1
	s_mov_b64 s[20:21], s[18:19]
                                        ; implicit-def: $vgpr6_vgpr7
	s_branch .LBB6_1315
.LBB6_1307:
	s_mov_b64 s[28:29], -1
	s_mov_b64 s[20:21], s[18:19]
	s_branch .LBB6_1309
.LBB6_1308:
	s_mov_b64 s[20:21], -1
.LBB6_1309:
                                        ; implicit-def: $vgpr6_vgpr7
.LBB6_1310:
	s_and_b64 vcc, exec, s[28:29]
	s_cbranch_vccz .LBB6_1314
; %bb.1311:
	v_cmp_eq_u16_e32 vcc, 44, v4
	s_cbranch_vccz .LBB6_1313
; %bb.1312:
	global_load_ubyte v5, v[0:1], off
	s_movk_i32 s15, 0xff
	v_bfrev_b32_e32 v8, 4
	v_mov_b32_e32 v9, 0x7ff80000
	v_bfrev_b32_e32 v10, 28
	s_mov_b64 s[20:21], 0
	s_mov_b64 s[26:27], -1
	s_waitcnt vmcnt(0)
	v_lshlrev_b32_e32 v6, 23, v5
	v_cvt_f64_f32_e32 v[6:7], v6
	v_cmp_ne_u32_e32 vcc, s15, v5
	v_cndmask_b32_e32 v6, v8, v6, vcc
	v_cndmask_b32_e32 v7, v9, v7, vcc
	v_cmp_ne_u32_e32 vcc, 0, v5
	v_cndmask_b32_e32 v7, v10, v7, vcc
	v_cndmask_b32_e32 v6, 0, v6, vcc
	s_branch .LBB6_1314
.LBB6_1313:
	s_mov_b64 s[20:21], -1
                                        ; implicit-def: $vgpr6_vgpr7
.LBB6_1314:
	s_mov_b64 s[28:29], 0
.LBB6_1315:
	s_and_b64 vcc, exec, s[28:29]
	s_cbranch_vccz .LBB6_1319
; %bb.1316:
	v_cmp_eq_u16_e32 vcc, 29, v4
	s_cbranch_vccz .LBB6_1318
; %bb.1317:
	global_load_dwordx2 v[6:7], v[0:1], off
	s_mov_b64 s[20:21], 0
	s_mov_b64 s[26:27], -1
	s_mov_b64 s[28:29], 0
	s_waitcnt vmcnt(0)
	v_cvt_f64_u32_e32 v[8:9], v7
	v_cvt_f64_u32_e32 v[6:7], v6
	v_ldexp_f64 v[8:9], v[8:9], 32
	v_add_f64 v[6:7], v[8:9], v[6:7]
	s_branch .LBB6_1320
.LBB6_1318:
	s_mov_b64 s[20:21], -1
                                        ; implicit-def: $vgpr6_vgpr7
.LBB6_1319:
	s_mov_b64 s[28:29], 0
.LBB6_1320:
	s_and_b64 vcc, exec, s[28:29]
	s_cbranch_vccz .LBB6_1338
; %bb.1321:
	v_cmp_gt_i16_e32 vcc, 27, v4
	s_cbranch_vccnz .LBB6_1324
; %bb.1322:
	v_cmp_lt_i16_e32 vcc, 27, v4
	s_cbranch_vccz .LBB6_1325
; %bb.1323:
	global_load_dword v5, v[0:1], off
	s_mov_b64 s[26:27], 0
	s_waitcnt vmcnt(0)
	v_cvt_f64_u32_e32 v[6:7], v5
	s_branch .LBB6_1326
.LBB6_1324:
	s_mov_b64 s[26:27], -1
                                        ; implicit-def: $vgpr6_vgpr7
	s_branch .LBB6_1329
.LBB6_1325:
	s_mov_b64 s[26:27], -1
                                        ; implicit-def: $vgpr6_vgpr7
.LBB6_1326:
	s_andn2_b64 vcc, exec, s[26:27]
	s_cbranch_vccnz .LBB6_1328
; %bb.1327:
	global_load_ushort v5, v[0:1], off
	s_waitcnt vmcnt(0)
	v_cvt_f64_u32_e32 v[6:7], v5
.LBB6_1328:
	s_mov_b64 s[26:27], 0
.LBB6_1329:
	s_andn2_b64 vcc, exec, s[26:27]
	s_cbranch_vccnz .LBB6_1337
; %bb.1330:
	global_load_ubyte v5, v[0:1], off
	s_movk_i32 s15, 0x7f
	s_mov_b64 s[26:27], 0
                                        ; implicit-def: $sgpr28_sgpr29
	s_waitcnt vmcnt(0)
	v_cmp_lt_i16_e32 vcc, s15, v5
	s_and_saveexec_b64 s[30:31], vcc
	s_xor_b64 s[30:31], exec, s[30:31]
	s_cbranch_execz .LBB6_1350
; %bb.1331:
	s_movk_i32 s15, 0x80
	v_cmp_eq_u16_e32 vcc, s15, v5
	s_mov_b64 s[34:35], -1
                                        ; implicit-def: $sgpr28_sgpr29
	s_and_saveexec_b64 s[26:27], vcc
; %bb.1332:
	s_mov_b32 s29, 0x7ff80000
	s_brev_b32 s28, 4
	s_xor_b64 s[34:35], exec, -1
; %bb.1333:
	s_or_b64 exec, exec, s[26:27]
	s_and_b64 s[26:27], s[34:35], exec
	s_or_saveexec_b64 s[30:31], s[30:31]
	v_pk_mov_b32 v[6:7], s[28:29], s[28:29] op_sel:[0,1]
	s_xor_b64 exec, exec, s[30:31]
	s_cbranch_execnz .LBB6_1351
.LBB6_1334:
	s_or_b64 exec, exec, s[30:31]
	s_and_saveexec_b64 s[28:29], s[26:27]
	s_cbranch_execz .LBB6_1336
.LBB6_1335:
	v_lshlrev_b32_e32 v6, 24, v5
	v_and_b32_e32 v5, 0xffff, v5
	v_and_b32_e32 v7, 7, v5
	v_ffbh_u32_e32 v9, v7
	v_min_u32_e32 v9, 32, v9
	v_subrev_u32_e32 v10, 28, v9
	v_bfe_u32 v8, v5, 3, 4
	v_lshlrev_b32_e32 v5, v10, v5
	v_sub_u32_e32 v9, 29, v9
	v_and_b32_e32 v5, 7, v5
	v_cmp_eq_u32_e32 vcc, 0, v8
	v_cndmask_b32_e32 v8, v8, v9, vcc
	v_cndmask_b32_e32 v5, v7, v5, vcc
	v_mov_b32_e32 v7, 0x3b800000
	v_lshlrev_b32_e32 v5, 20, v5
	v_and_b32_e32 v6, 0x80000000, v6
	v_lshl_add_u32 v7, v8, 23, v7
	v_or3_b32 v5, v6, v7, v5
	v_cvt_f64_f32_e32 v[6:7], v5
.LBB6_1336:
	s_or_b64 exec, exec, s[28:29]
.LBB6_1337:
	s_mov_b64 s[26:27], -1
.LBB6_1338:
	s_branch .LBB6_1371
.LBB6_1339:
	v_cmp_lt_i16_e32 vcc, 22, v4
	s_cbranch_vccz .LBB6_1349
; %bb.1340:
	v_cmp_gt_i16_e32 vcc, 24, v4
	s_cbranch_vccnz .LBB6_1352
; %bb.1341:
	v_cmp_lt_i16_e32 vcc, 24, v4
	s_cbranch_vccz .LBB6_1353
; %bb.1342:
	global_load_ubyte v5, v[0:1], off
	s_movk_i32 s15, 0x7f
                                        ; implicit-def: $sgpr26_sgpr27
	s_waitcnt vmcnt(0)
	v_cmp_lt_i16_e32 vcc, s15, v5
	s_and_saveexec_b64 s[28:29], vcc
	s_xor_b64 s[28:29], exec, s[28:29]
	s_cbranch_execz .LBB6_1365
; %bb.1343:
	s_movk_i32 s15, 0x80
	v_cmp_eq_u16_e32 vcc, s15, v5
	s_mov_b64 s[30:31], -1
                                        ; implicit-def: $sgpr26_sgpr27
	s_and_saveexec_b64 s[24:25], vcc
; %bb.1344:
	s_mov_b32 s27, 0x7ff80000
	s_brev_b32 s26, 4
	s_xor_b64 s[30:31], exec, -1
; %bb.1345:
	s_or_b64 exec, exec, s[24:25]
	s_and_b64 s[24:25], s[30:31], exec
	s_or_saveexec_b64 s[28:29], s[28:29]
	v_pk_mov_b32 v[6:7], s[26:27], s[26:27] op_sel:[0,1]
	s_xor_b64 exec, exec, s[28:29]
	s_cbranch_execnz .LBB6_1366
.LBB6_1346:
	s_or_b64 exec, exec, s[28:29]
	s_and_saveexec_b64 s[26:27], s[24:25]
	s_cbranch_execz .LBB6_1348
.LBB6_1347:
	v_lshlrev_b32_e32 v6, 24, v5
	v_and_b32_e32 v5, 0xffff, v5
	v_and_b32_e32 v7, 3, v5
	v_ffbh_u32_e32 v9, v7
	v_min_u32_e32 v9, 32, v9
	v_subrev_u32_e32 v10, 29, v9
	v_bfe_u32 v8, v5, 2, 5
	v_lshlrev_b32_e32 v5, v10, v5
	v_sub_u32_e32 v9, 30, v9
	v_and_b32_e32 v5, 3, v5
	v_cmp_eq_u32_e32 vcc, 0, v8
	v_cndmask_b32_e32 v8, v8, v9, vcc
	v_cndmask_b32_e32 v5, v7, v5, vcc
	v_mov_b32_e32 v7, 0x37800000
	v_lshlrev_b32_e32 v5, 21, v5
	v_and_b32_e32 v6, 0x80000000, v6
	v_lshl_add_u32 v7, v8, 23, v7
	v_or3_b32 v5, v6, v7, v5
	v_cvt_f64_f32_e32 v[6:7], v5
.LBB6_1348:
	s_or_b64 exec, exec, s[26:27]
	s_mov_b64 s[24:25], 0
	s_branch .LBB6_1354
.LBB6_1349:
	s_mov_b64 s[24:25], -1
                                        ; implicit-def: $vgpr6_vgpr7
	s_branch .LBB6_1360
.LBB6_1350:
	s_or_saveexec_b64 s[30:31], s[30:31]
	v_pk_mov_b32 v[6:7], s[28:29], s[28:29] op_sel:[0,1]
	s_xor_b64 exec, exec, s[30:31]
	s_cbranch_execz .LBB6_1334
.LBB6_1351:
	v_cmp_ne_u16_e32 vcc, 0, v5
	s_andn2_b64 s[26:27], s[26:27], exec
	s_and_b64 s[28:29], vcc, exec
	v_pk_mov_b32 v[6:7], 0, 0
	s_or_b64 s[26:27], s[26:27], s[28:29]
	s_or_b64 exec, exec, s[30:31]
	s_and_saveexec_b64 s[28:29], s[26:27]
	s_cbranch_execnz .LBB6_1335
	s_branch .LBB6_1336
.LBB6_1352:
	s_mov_b64 s[24:25], -1
                                        ; implicit-def: $vgpr6_vgpr7
	s_branch .LBB6_1357
.LBB6_1353:
	s_mov_b64 s[24:25], -1
                                        ; implicit-def: $vgpr6_vgpr7
.LBB6_1354:
	s_and_b64 vcc, exec, s[24:25]
	s_cbranch_vccz .LBB6_1356
; %bb.1355:
	global_load_ubyte v5, v[0:1], off
	s_mov_b32 s15, 0x7f800000
	s_waitcnt vmcnt(0)
	v_lshlrev_b32_e32 v5, 24, v5
	v_and_b32_e32 v6, 0x7f000000, v5
	v_ffbh_u32_e32 v7, v6
	v_min_u32_e32 v7, 32, v7
	v_sub_u32_e64 v7, v7, 4 clamp
	v_lshlrev_b32_e32 v9, v7, v6
	v_lshlrev_b32_e32 v7, 23, v7
	v_lshrrev_b32_e32 v9, 4, v9
	v_add_u32_e32 v8, 0x1000000, v6
	v_sub_u32_e32 v7, v9, v7
	v_ashrrev_i32_e32 v8, 8, v8
	v_add_u32_e32 v7, 0x3c000000, v7
	v_and_or_b32 v7, v8, s15, v7
	v_cmp_ne_u32_e32 vcc, 0, v6
	v_cndmask_b32_e32 v6, 0, v7, vcc
	s_brev_b32 s15, 1
	v_and_or_b32 v5, v5, s15, v6
	v_cvt_f64_f32_e32 v[6:7], v5
.LBB6_1356:
	s_mov_b64 s[24:25], 0
.LBB6_1357:
	s_andn2_b64 vcc, exec, s[24:25]
	s_cbranch_vccnz .LBB6_1359
; %bb.1358:
	global_load_ubyte v5, v[0:1], off
	s_movk_i32 s15, 0x7f00
	s_brev_b32 s24, 16
	s_waitcnt vmcnt(0)
	v_lshlrev_b16_e32 v6, 8, v5
	v_lshlrev_b32_e32 v5, 25, v5
	v_lshrrev_b32_e32 v7, 4, v5
	v_and_or_b32 v8, v6, s15, 0.5
	v_or_b32_e32 v7, 0x70000000, v7
	v_add_f32_e32 v8, -0.5, v8
	v_mul_f32_e32 v7, 0x7800000, v7
	v_cmp_gt_u32_e32 vcc, s24, v5
	v_bfe_i32 v6, v6, 0, 16
	v_cndmask_b32_e32 v5, v7, v8, vcc
	s_brev_b32 s15, 1
	v_and_or_b32 v5, v6, s15, v5
	v_cvt_f64_f32_e32 v[6:7], v5
.LBB6_1359:
	s_mov_b64 s[24:25], 0
	s_mov_b64 s[26:27], -1
.LBB6_1360:
	s_andn2_b64 vcc, exec, s[24:25]
	s_mov_b64 s[24:25], 0
	s_cbranch_vccnz .LBB6_1371
; %bb.1361:
	v_cmp_lt_i16_e32 vcc, 14, v4
	s_cbranch_vccz .LBB6_1364
; %bb.1362:
	v_cmp_eq_u16_e32 vcc, 15, v4
	s_cbranch_vccz .LBB6_1367
; %bb.1363:
	global_load_ushort v5, v[0:1], off
	s_mov_b64 s[20:21], 0
	s_mov_b64 s[26:27], -1
	s_waitcnt vmcnt(0)
	v_lshlrev_b32_e32 v5, 16, v5
	v_cvt_f64_f32_e32 v[6:7], v5
	s_branch .LBB6_1368
.LBB6_1364:
	s_mov_b64 s[28:29], -1
                                        ; implicit-def: $vgpr6_vgpr7
	s_branch .LBB6_1369
.LBB6_1365:
	s_or_saveexec_b64 s[28:29], s[28:29]
	v_pk_mov_b32 v[6:7], s[26:27], s[26:27] op_sel:[0,1]
	s_xor_b64 exec, exec, s[28:29]
	s_cbranch_execz .LBB6_1346
.LBB6_1366:
	v_cmp_ne_u16_e32 vcc, 0, v5
	s_andn2_b64 s[24:25], s[24:25], exec
	s_and_b64 s[26:27], vcc, exec
	v_pk_mov_b32 v[6:7], 0, 0
	s_or_b64 s[24:25], s[24:25], s[26:27]
	s_or_b64 exec, exec, s[28:29]
	s_and_saveexec_b64 s[26:27], s[24:25]
	s_cbranch_execnz .LBB6_1347
	s_branch .LBB6_1348
.LBB6_1367:
	s_mov_b64 s[20:21], -1
                                        ; implicit-def: $vgpr6_vgpr7
.LBB6_1368:
	s_mov_b64 s[28:29], 0
.LBB6_1369:
	s_and_b64 vcc, exec, s[28:29]
	s_cbranch_vccz .LBB6_1371
; %bb.1370:
	v_cmp_ne_u16_e32 vcc, 11, v4
	s_andn2_b64 s[20:21], s[20:21], exec
	s_and_b64 s[28:29], vcc, exec
	s_mov_b64 s[24:25], -1
	s_or_b64 s[20:21], s[20:21], s[28:29]
                                        ; implicit-def: $vgpr6_vgpr7
.LBB6_1371:
	s_mov_b64 s[28:29], 0
.LBB6_1372:
	s_andn2_b64 s[18:19], s[18:19], exec
	s_and_b64 s[20:21], s[20:21], exec
	s_and_b64 s[26:27], s[26:27], exec
	;; [unrolled: 1-line block ×4, first 2 shown]
	s_or_b64 s[18:19], s[18:19], s[20:21]
	s_or_b64 exec, exec, s[0:1]
	s_and_saveexec_b64 s[0:1], s[18:19]
	s_cbranch_execz .LBB6_1301
.LBB6_1373:
	s_or_b64 s[22:23], s[22:23], exec
	s_andn2_b64 s[24:25], s[24:25], exec
	s_trap 2
                                        ; implicit-def: $vgpr6_vgpr7
	s_or_b64 exec, exec, s[0:1]
	s_and_saveexec_b64 s[0:1], s[24:25]
	s_xor_b64 s[0:1], exec, s[0:1]
	s_cbranch_execnz .LBB6_1302
.LBB6_1374:
	s_or_b64 exec, exec, s[0:1]
	s_and_saveexec_b64 s[0:1], s[30:31]
	s_cbranch_execz .LBB6_1420
.LBB6_1375:
	s_waitcnt vmcnt(0)
	v_cmp_gt_i16_e32 vcc, 5, v4
	s_cbranch_vccnz .LBB6_1380
; %bb.1376:
	v_cmp_gt_i16_e32 vcc, 8, v4
	s_cbranch_vccnz .LBB6_1381
; %bb.1377:
	;; [unrolled: 3-line block ×3, first 2 shown]
	v_cmp_lt_i16_e32 vcc, 9, v4
	s_cbranch_vccz .LBB6_1383
; %bb.1379:
	global_load_dwordx2 v[6:7], v[0:1], off
	s_mov_b64 s[18:19], 0
	s_branch .LBB6_1384
.LBB6_1380:
                                        ; implicit-def: $vgpr6_vgpr7
	s_branch .LBB6_1401
.LBB6_1381:
                                        ; implicit-def: $vgpr6_vgpr7
	s_branch .LBB6_1390
.LBB6_1382:
	s_mov_b64 s[18:19], -1
                                        ; implicit-def: $vgpr6_vgpr7
	s_branch .LBB6_1387
.LBB6_1383:
	s_mov_b64 s[18:19], -1
                                        ; implicit-def: $vgpr6_vgpr7
.LBB6_1384:
	s_andn2_b64 vcc, exec, s[18:19]
	s_cbranch_vccnz .LBB6_1386
; %bb.1385:
	global_load_dword v5, v[0:1], off
	s_waitcnt vmcnt(0)
	v_cvt_f64_f32_e32 v[6:7], v5
.LBB6_1386:
	s_mov_b64 s[18:19], 0
.LBB6_1387:
	s_andn2_b64 vcc, exec, s[18:19]
	s_cbranch_vccnz .LBB6_1389
; %bb.1388:
	global_load_dword v5, v[0:1], off
	s_waitcnt vmcnt(0)
	v_cvt_f32_f16_e32 v5, v5
	v_cvt_f64_f32_e32 v[6:7], v5
.LBB6_1389:
	s_cbranch_execnz .LBB6_1400
.LBB6_1390:
	v_cmp_gt_i16_e32 vcc, 6, v4
	s_cbranch_vccnz .LBB6_1393
; %bb.1391:
	v_cmp_lt_i16_e32 vcc, 6, v4
	s_cbranch_vccz .LBB6_1394
; %bb.1392:
	global_load_dwordx2 v[6:7], v[0:1], off
	s_mov_b64 s[18:19], 0
	s_branch .LBB6_1395
.LBB6_1393:
	s_mov_b64 s[18:19], -1
                                        ; implicit-def: $vgpr6_vgpr7
	s_branch .LBB6_1398
.LBB6_1394:
	s_mov_b64 s[18:19], -1
                                        ; implicit-def: $vgpr6_vgpr7
.LBB6_1395:
	s_andn2_b64 vcc, exec, s[18:19]
	s_cbranch_vccnz .LBB6_1397
; %bb.1396:
	global_load_dword v5, v[0:1], off
	s_waitcnt vmcnt(0)
	v_cvt_f64_f32_e32 v[6:7], v5
.LBB6_1397:
	s_mov_b64 s[18:19], 0
.LBB6_1398:
	s_andn2_b64 vcc, exec, s[18:19]
	s_cbranch_vccnz .LBB6_1400
; %bb.1399:
	global_load_ushort v5, v[0:1], off
	s_waitcnt vmcnt(0)
	v_cvt_f32_f16_e32 v5, v5
	v_cvt_f64_f32_e32 v[6:7], v5
.LBB6_1400:
	s_cbranch_execnz .LBB6_1419
.LBB6_1401:
	v_cmp_gt_i16_e32 vcc, 2, v4
	s_cbranch_vccnz .LBB6_1405
; %bb.1402:
	v_cmp_gt_i16_e32 vcc, 3, v4
	s_cbranch_vccnz .LBB6_1406
; %bb.1403:
	v_cmp_lt_i16_e32 vcc, 3, v4
	s_cbranch_vccz .LBB6_1407
; %bb.1404:
	global_load_dwordx2 v[6:7], v[0:1], off
	s_mov_b64 s[18:19], 0
	s_waitcnt vmcnt(0)
	v_cvt_f64_i32_e32 v[8:9], v7
	v_cvt_f64_u32_e32 v[6:7], v6
	v_ldexp_f64 v[8:9], v[8:9], 32
	v_add_f64 v[6:7], v[8:9], v[6:7]
	s_branch .LBB6_1408
.LBB6_1405:
                                        ; implicit-def: $vgpr6_vgpr7
	s_branch .LBB6_1414
.LBB6_1406:
	s_mov_b64 s[18:19], -1
                                        ; implicit-def: $vgpr6_vgpr7
	s_branch .LBB6_1411
.LBB6_1407:
	s_mov_b64 s[18:19], -1
                                        ; implicit-def: $vgpr6_vgpr7
.LBB6_1408:
	s_andn2_b64 vcc, exec, s[18:19]
	s_cbranch_vccnz .LBB6_1410
; %bb.1409:
	global_load_dword v5, v[0:1], off
	s_waitcnt vmcnt(0)
	v_cvt_f64_i32_e32 v[6:7], v5
.LBB6_1410:
	s_mov_b64 s[18:19], 0
.LBB6_1411:
	s_andn2_b64 vcc, exec, s[18:19]
	s_cbranch_vccnz .LBB6_1413
; %bb.1412:
	global_load_sshort v5, v[0:1], off
	s_waitcnt vmcnt(0)
	v_cvt_f64_i32_e32 v[6:7], v5
.LBB6_1413:
	s_cbranch_execnz .LBB6_1419
.LBB6_1414:
	v_cmp_lt_i16_e32 vcc, 0, v4
	s_cbranch_vccz .LBB6_1416
; %bb.1415:
	global_load_sbyte v4, v[0:1], off
	s_mov_b64 s[18:19], 0
	s_waitcnt vmcnt(0)
	v_cvt_f64_i32_e32 v[6:7], v4
	s_branch .LBB6_1417
.LBB6_1416:
	s_mov_b64 s[18:19], -1
                                        ; implicit-def: $vgpr6_vgpr7
.LBB6_1417:
	s_andn2_b64 vcc, exec, s[18:19]
	s_cbranch_vccnz .LBB6_1419
; %bb.1418:
	global_load_ubyte v0, v[0:1], off
	s_waitcnt vmcnt(0)
	v_cvt_f64_u32_e32 v[6:7], v0
.LBB6_1419:
	s_or_b64 s[26:27], s[26:27], exec
.LBB6_1420:
	s_or_b64 exec, exec, s[0:1]
	s_mov_b64 s[24:25], 0
	s_mov_b64 s[20:21], 0
                                        ; implicit-def: $vgpr8
                                        ; implicit-def: $vgpr4_vgpr5
                                        ; implicit-def: $vgpr0_vgpr1
	s_and_saveexec_b64 s[18:19], s[26:27]
	s_cbranch_execz .LBB6_1495
; %bb.1421:
	s_waitcnt vmcnt(0)
	v_mul_f64 v[0:1], v[2:3], v[6:7]
	v_cmp_lt_f64_e32 vcc, 0, v[2:3]
	v_cndmask_b32_e32 v0, v0, v2, vcc
	v_mul_lo_u32 v2, v19, s12
	v_cndmask_b32_e32 v1, v1, v3, vcc
	v_ashrrev_i32_e32 v3, 31, v2
	v_mov_b32_e32 v5, s9
	v_add_co_u32_e32 v4, vcc, s8, v2
	v_addc_co_u32_e32 v5, vcc, v5, v3, vcc
	v_and_b32_e32 v8, 0xff, v18
	v_cmp_gt_i16_e32 vcc, 11, v8
	s_mov_b64 s[20:21], -1
	s_mov_b64 s[0:1], s[6:7]
	s_cbranch_vccnz .LBB6_1499
; %bb.1422:
	v_cmp_lt_i16_e32 vcc, 25, v8
	s_mov_b64 s[24:25], -1
	s_mov_b64 s[0:1], s[6:7]
	s_cbranch_vccz .LBB6_1455
; %bb.1423:
	v_cmp_lt_i16_e32 vcc, 28, v8
	s_mov_b64 s[0:1], s[6:7]
	s_cbranch_vccz .LBB6_1439
; %bb.1424:
	v_cmp_lt_i16_e32 vcc, 43, v8
	;; [unrolled: 4-line block ×3, first 2 shown]
	s_mov_b64 s[0:1], s[6:7]
	s_cbranch_vccz .LBB6_1429
; %bb.1426:
	v_cmp_eq_u16_e32 vcc, 46, v8
	s_mov_b64 s[0:1], -1
	s_cbranch_vccz .LBB6_1428
; %bb.1427:
	v_cvt_f32_f64_e32 v2, v[0:1]
	v_bfe_u32 v3, v2, 16, 1
	s_movk_i32 s0, 0x7fff
	v_add3_u32 v3, v2, v3, s0
	v_lshrrev_b32_e32 v3, 16, v3
	v_mov_b32_e32 v6, 0x7fc0
	v_cmp_o_f32_e32 vcc, v2, v2
	v_cndmask_b32_e32 v2, v6, v3, vcc
	global_store_dword v[4:5], v2, off
	s_mov_b64 s[0:1], 0
.LBB6_1428:
	s_mov_b64 s[20:21], 0
.LBB6_1429:
	s_and_b64 vcc, exec, s[20:21]
	s_cbranch_vccz .LBB6_1434
; %bb.1430:
	v_cmp_eq_u16_e32 vcc, 44, v8
	s_mov_b64 s[0:1], -1
	s_cbranch_vccz .LBB6_1434
; %bb.1431:
	v_cvt_f32_f64_e32 v2, v[0:1]
	v_bfe_u32 v3, v2, 23, 8
	s_movk_i32 s0, 0xff
	v_cmp_ne_u32_e32 vcc, s0, v3
	v_mov_b32_e32 v6, 0xff
	s_and_saveexec_b64 s[20:21], vcc
; %bb.1432:
	s_mov_b32 s0, 0x3fffff
	v_lshrrev_b32_e32 v6, 23, v2
	v_and_b32_e32 v7, 0x400000, v2
	v_and_or_b32 v2, v2, s0, v3
	v_cmp_ne_u32_e32 vcc, 0, v7
	v_cmp_ne_u32_e64 s[0:1], 0, v2
	s_and_b64 s[0:1], vcc, s[0:1]
	v_cndmask_b32_e64 v2, 0, 1, s[0:1]
	v_add_u32_e32 v6, v6, v2
; %bb.1433:
	s_or_b64 exec, exec, s[20:21]
	global_store_byte v[4:5], v6, off
	s_mov_b64 s[0:1], 0
.LBB6_1434:
	s_mov_b64 s[20:21], 0
.LBB6_1435:
	s_and_b64 vcc, exec, s[20:21]
	s_cbranch_vccz .LBB6_1438
; %bb.1436:
	v_cmp_eq_u16_e32 vcc, 29, v8
	s_mov_b64 s[0:1], -1
	s_cbranch_vccz .LBB6_1438
; %bb.1437:
	v_trunc_f64_e32 v[2:3], v[0:1]
	s_movk_i32 s0, 0xffe0
	v_ldexp_f64 v[6:7], v[2:3], s0
	v_floor_f64_e32 v[6:7], v[6:7]
	v_fmac_f64_e32 v[2:3], 0xc1f00000, v[6:7]
	v_cvt_u32_f64_e32 v11, v[6:7]
	v_cvt_u32_f64_e32 v10, v[2:3]
	global_store_dwordx2 v[4:5], v[10:11], off
	s_mov_b64 s[0:1], 0
.LBB6_1438:
	s_mov_b64 s[20:21], 0
.LBB6_1439:
	s_and_b64 vcc, exec, s[20:21]
	s_cbranch_vccz .LBB6_1454
; %bb.1440:
	v_cmp_gt_i16_e32 vcc, 27, v8
	s_mov_b64 s[20:21], -1
	s_cbranch_vccnz .LBB6_1446
; %bb.1441:
	v_cmp_lt_i16_e32 vcc, 27, v8
	v_cvt_u32_f64_e32 v2, v[0:1]
	s_cbranch_vccz .LBB6_1443
; %bb.1442:
	s_mov_b64 s[20:21], 0
	global_store_dword v[4:5], v2, off
.LBB6_1443:
	s_andn2_b64 vcc, exec, s[20:21]
	s_cbranch_vccnz .LBB6_1445
; %bb.1444:
	global_store_short v[4:5], v2, off
.LBB6_1445:
	s_mov_b64 s[20:21], 0
.LBB6_1446:
	s_andn2_b64 vcc, exec, s[20:21]
	s_cbranch_vccnz .LBB6_1454
; %bb.1447:
	v_cvt_f32_f64_e32 v2, v[0:1]
	v_and_b32_e32 v3, 0x7fffffff, v2
	s_mov_b32 s15, 0x43800000
	v_cmp_gt_u32_e32 vcc, s15, v3
	v_mov_b32_e32 v6, 0x80
	s_and_saveexec_b64 s[20:21], vcc
	s_cbranch_execz .LBB6_1453
; %bb.1448:
	s_mov_b32 s15, 0x3bffffff
	v_cmp_lt_u32_e32 vcc, s15, v3
	s_mov_b64 s[24:25], 0
                                        ; implicit-def: $vgpr3
	s_and_saveexec_b64 s[26:27], vcc
	s_xor_b64 s[26:27], exec, s[26:27]
	s_cbranch_execz .LBB6_1554
; %bb.1449:
	v_bfe_u32 v3, v2, 20, 1
	s_mov_b32 s15, 0x487ffff
	v_add3_u32 v3, v2, v3, s15
	s_mov_b64 s[24:25], exec
	v_lshrrev_b32_e32 v3, 20, v3
	s_or_saveexec_b64 s[26:27], s[26:27]
                                        ; implicit-def: $sgpr15
	s_xor_b64 exec, exec, s[26:27]
	s_cbranch_execnz .LBB6_1555
.LBB6_1450:
	s_or_b64 exec, exec, s[26:27]
	v_mov_b32_e32 v6, s15
	s_and_saveexec_b64 s[26:27], s[24:25]
.LBB6_1451:
	v_lshrrev_b32_e32 v2, 24, v2
	s_movk_i32 s15, 0x80
	v_and_or_b32 v6, v2, s15, v3
.LBB6_1452:
	s_or_b64 exec, exec, s[26:27]
.LBB6_1453:
	s_or_b64 exec, exec, s[20:21]
	global_store_byte v[4:5], v6, off
.LBB6_1454:
	s_mov_b64 s[24:25], 0
.LBB6_1455:
	s_mov_b64 s[20:21], 0
	s_and_b64 vcc, exec, s[24:25]
	s_cbranch_vccz .LBB6_1498
; %bb.1456:
	v_cmp_lt_i16_e32 vcc, 22, v8
	s_mov_b64 s[24:25], -1
	s_cbranch_vccz .LBB6_1488
; %bb.1457:
	v_cmp_gt_i16_e32 vcc, 24, v8
	s_cbranch_vccnz .LBB6_1477
; %bb.1458:
	v_cmp_lt_i16_e32 vcc, 24, v8
	s_cbranch_vccz .LBB6_1466
; %bb.1459:
	v_cvt_f32_f64_e32 v2, v[0:1]
	v_and_b32_e32 v3, 0x7fffffff, v2
	s_mov_b32 s15, 0x47800000
	v_cmp_gt_u32_e32 vcc, s15, v3
	v_mov_b32_e32 v6, 0x80
	s_and_saveexec_b64 s[24:25], vcc
	s_cbranch_execz .LBB6_1465
; %bb.1460:
	s_mov_b32 s15, 0x37ffffff
	v_cmp_lt_u32_e32 vcc, s15, v3
	s_mov_b64 s[26:27], 0
                                        ; implicit-def: $vgpr3
	s_and_saveexec_b64 s[28:29], vcc
	s_xor_b64 s[28:29], exec, s[28:29]
	s_cbranch_execz .LBB6_1679
; %bb.1461:
	v_bfe_u32 v3, v2, 21, 1
	s_mov_b32 s15, 0x88fffff
	v_add3_u32 v3, v2, v3, s15
	s_mov_b64 s[26:27], exec
	v_lshrrev_b32_e32 v3, 21, v3
	s_or_saveexec_b64 s[28:29], s[28:29]
                                        ; implicit-def: $sgpr15
	s_xor_b64 exec, exec, s[28:29]
	s_cbranch_execnz .LBB6_1680
.LBB6_1462:
	s_or_b64 exec, exec, s[28:29]
	v_mov_b32_e32 v6, s15
	s_and_saveexec_b64 s[28:29], s[26:27]
.LBB6_1463:
	v_lshrrev_b32_e32 v2, 24, v2
	s_movk_i32 s15, 0x80
	v_and_or_b32 v6, v2, s15, v3
.LBB6_1464:
	s_or_b64 exec, exec, s[28:29]
.LBB6_1465:
	s_or_b64 exec, exec, s[24:25]
	s_mov_b64 s[24:25], 0
	global_store_byte v[4:5], v6, off
.LBB6_1466:
	s_and_b64 vcc, exec, s[24:25]
	s_cbranch_vccz .LBB6_1476
; %bb.1467:
	v_cvt_f32_f64_e32 v2, v[0:1]
	v_and_b32_e32 v6, 0x7fffffff, v2
	s_mov_b32 s15, 0x43f00000
	v_cmp_gt_u32_e32 vcc, s15, v6
                                        ; implicit-def: $vgpr3
	s_and_saveexec_b64 s[24:25], vcc
	s_xor_b64 s[24:25], exec, s[24:25]
	s_cbranch_execz .LBB6_1473
; %bb.1468:
	s_mov_b32 s15, 0x3c7fffff
	v_cmp_lt_u32_e32 vcc, s15, v6
                                        ; implicit-def: $vgpr3
	s_and_saveexec_b64 s[26:27], vcc
	s_xor_b64 s[26:27], exec, s[26:27]
; %bb.1469:
	v_bfe_u32 v3, v2, 20, 1
	s_mov_b32 s15, 0x407ffff
	v_add3_u32 v3, v2, v3, s15
	v_lshrrev_b32_e32 v6, 20, v3
	v_and_b32_e32 v3, 0xff00000, v3
	s_mov_b32 s15, 0x7f00000
	v_mov_b32_e32 v7, 0x7e
	v_cmp_ne_u32_e32 vcc, s15, v3
	v_cndmask_b32_e32 v3, v7, v6, vcc
; %bb.1470:
	s_andn2_saveexec_b64 s[26:27], s[26:27]
; %bb.1471:
	s_mov_b32 s15, 0x46800000
	v_add_f32_e64 v3, |v2|, s15
; %bb.1472:
	s_or_b64 exec, exec, s[26:27]
                                        ; implicit-def: $vgpr6
.LBB6_1473:
	s_andn2_saveexec_b64 s[24:25], s[24:25]
; %bb.1474:
	s_mov_b32 s15, 0x7f800000
	v_mov_b32_e32 v3, 0x7e
	v_mov_b32_e32 v7, 0x7f
	v_cmp_lt_u32_e32 vcc, s15, v6
	v_cndmask_b32_e32 v3, v3, v7, vcc
; %bb.1475:
	s_or_b64 exec, exec, s[24:25]
	v_lshrrev_b32_e32 v2, 24, v2
	s_movk_i32 s15, 0x80
	v_and_or_b32 v2, v2, s15, v3
	global_store_byte v[4:5], v2, off
.LBB6_1476:
	s_mov_b64 s[24:25], 0
.LBB6_1477:
	s_andn2_b64 vcc, exec, s[24:25]
	s_cbranch_vccnz .LBB6_1487
; %bb.1478:
	v_cvt_f32_f64_e32 v2, v[0:1]
	v_and_b32_e32 v6, 0x7fffffff, v2
	s_mov_b32 s15, 0x47800000
	v_cmp_gt_u32_e32 vcc, s15, v6
                                        ; implicit-def: $vgpr3
	s_and_saveexec_b64 s[24:25], vcc
	s_xor_b64 s[24:25], exec, s[24:25]
	s_cbranch_execz .LBB6_1484
; %bb.1479:
	s_mov_b32 s15, 0x387fffff
	v_cmp_lt_u32_e32 vcc, s15, v6
                                        ; implicit-def: $vgpr3
	s_and_saveexec_b64 s[26:27], vcc
	s_xor_b64 s[26:27], exec, s[26:27]
; %bb.1480:
	v_bfe_u32 v3, v2, 21, 1
	s_mov_b32 s15, 0x80fffff
	v_add3_u32 v3, v2, v3, s15
	v_lshrrev_b32_e32 v3, 21, v3
; %bb.1481:
	s_andn2_saveexec_b64 s[26:27], s[26:27]
; %bb.1482:
	s_mov_b32 s15, 0x43000000
	v_add_f32_e64 v3, |v2|, s15
; %bb.1483:
	s_or_b64 exec, exec, s[26:27]
                                        ; implicit-def: $vgpr6
.LBB6_1484:
	s_andn2_saveexec_b64 s[24:25], s[24:25]
; %bb.1485:
	s_mov_b32 s15, 0x7f800000
	v_mov_b32_e32 v3, 0x7c
	v_mov_b32_e32 v7, 0x7f
	v_cmp_lt_u32_e32 vcc, s15, v6
	v_cndmask_b32_e32 v3, v3, v7, vcc
; %bb.1486:
	s_or_b64 exec, exec, s[24:25]
	v_lshrrev_b32_e32 v2, 24, v2
	s_movk_i32 s15, 0x80
	v_and_or_b32 v2, v2, s15, v3
	global_store_byte v[4:5], v2, off
.LBB6_1487:
	s_mov_b64 s[24:25], 0
.LBB6_1488:
	s_andn2_b64 vcc, exec, s[24:25]
	s_mov_b64 s[24:25], 0
	s_cbranch_vccnz .LBB6_1499
; %bb.1489:
	v_cmp_lt_i16_e32 vcc, 14, v8
	s_mov_b64 s[26:27], -1
	s_cbranch_vccz .LBB6_1493
; %bb.1490:
	v_cmp_eq_u16_e32 vcc, 15, v8
	s_mov_b64 s[0:1], -1
	s_cbranch_vccz .LBB6_1492
; %bb.1491:
	v_cvt_f32_f64_e32 v2, v[0:1]
	v_bfe_u32 v3, v2, 16, 1
	s_movk_i32 s0, 0x7fff
	v_add3_u32 v3, v2, v3, s0
	v_lshrrev_b32_e32 v3, 16, v3
	v_mov_b32_e32 v6, 0x7fc0
	v_cmp_o_f32_e32 vcc, v2, v2
	v_cndmask_b32_e32 v2, v6, v3, vcc
	global_store_short v[4:5], v2, off
	s_mov_b64 s[0:1], 0
.LBB6_1492:
	s_mov_b64 s[26:27], 0
.LBB6_1493:
	s_and_b64 vcc, exec, s[26:27]
	s_cbranch_vccz .LBB6_1499
; %bb.1494:
	v_cmp_ne_u16_e32 vcc, 11, v8
	s_andn2_b64 s[0:1], s[0:1], exec
	s_and_b64 s[26:27], vcc, exec
	s_mov_b64 s[24:25], -1
	s_or_b64 s[0:1], s[0:1], s[26:27]
	s_branch .LBB6_1499
.LBB6_1495:
	s_or_b64 exec, exec, s[18:19]
	s_and_saveexec_b64 s[0:1], s[6:7]
	s_cbranch_execnz .LBB6_1500
.LBB6_1496:
	s_or_b64 exec, exec, s[0:1]
	s_and_saveexec_b64 s[0:1], s[24:25]
	s_xor_b64 s[0:1], exec, s[0:1]
	s_cbranch_execz .LBB6_1501
.LBB6_1497:
	s_waitcnt vmcnt(0)
	v_cmp_neq_f64_e32 vcc, 0, v[0:1]
	v_cndmask_b32_e64 v2, 0, 1, vcc
	global_store_byte v[4:5], v2, off
	s_or_b64 exec, exec, s[0:1]
	s_and_saveexec_b64 s[0:1], s[20:21]
	s_xor_b64 s[0:1], exec, s[0:1]
	s_cbranch_execz .LBB6_1539
	s_branch .LBB6_1502
.LBB6_1498:
	s_mov_b64 s[24:25], 0
.LBB6_1499:
	s_andn2_b64 s[6:7], s[6:7], exec
	s_and_b64 s[0:1], s[0:1], exec
	s_and_b64 s[20:21], s[20:21], exec
	s_and_b64 s[24:25], s[24:25], exec
	s_or_b64 s[6:7], s[6:7], s[0:1]
	s_or_b64 exec, exec, s[18:19]
	s_and_saveexec_b64 s[0:1], s[6:7]
	s_cbranch_execz .LBB6_1496
.LBB6_1500:
	s_or_b64 s[22:23], s[22:23], exec
	s_andn2_b64 s[24:25], s[24:25], exec
	s_trap 2
	s_or_b64 exec, exec, s[0:1]
	s_and_saveexec_b64 s[0:1], s[24:25]
	s_xor_b64 s[0:1], exec, s[0:1]
	s_cbranch_execnz .LBB6_1497
.LBB6_1501:
	s_or_b64 exec, exec, s[0:1]
	s_and_saveexec_b64 s[0:1], s[20:21]
	s_xor_b64 s[0:1], exec, s[0:1]
	s_cbranch_execz .LBB6_1539
.LBB6_1502:
	v_cmp_gt_i16_e32 vcc, 5, v8
	s_mov_b64 s[6:7], -1
	s_cbranch_vccnz .LBB6_1523
; %bb.1503:
	v_cmp_gt_i16_e32 vcc, 8, v8
	s_cbranch_vccnz .LBB6_1513
; %bb.1504:
	v_cmp_gt_i16_e32 vcc, 9, v8
	s_cbranch_vccnz .LBB6_1510
; %bb.1505:
	v_cmp_lt_i16_e32 vcc, 9, v8
	s_cbranch_vccz .LBB6_1507
; %bb.1506:
	s_waitcnt vmcnt(0)
	v_mov_b32_e32 v2, 0
	v_mov_b32_e32 v3, v2
	s_mov_b64 s[6:7], 0
	global_store_dwordx4 v[4:5], v[0:3], off
.LBB6_1507:
	s_andn2_b64 vcc, exec, s[6:7]
	s_cbranch_vccnz .LBB6_1509
; %bb.1508:
	s_waitcnt vmcnt(0)
	v_cvt_f32_f64_e32 v2, v[0:1]
	v_mov_b32_e32 v3, 0
	global_store_dwordx2 v[4:5], v[2:3], off
.LBB6_1509:
	s_mov_b64 s[6:7], 0
.LBB6_1510:
	s_andn2_b64 vcc, exec, s[6:7]
	s_cbranch_vccnz .LBB6_1512
; %bb.1511:
	s_waitcnt vmcnt(0)
	v_cvt_f32_f64_e32 v2, v[0:1]
	v_cvt_f16_f32_e32 v2, v2
	global_store_dword v[4:5], v2, off
.LBB6_1512:
	s_mov_b64 s[6:7], 0
.LBB6_1513:
	s_andn2_b64 vcc, exec, s[6:7]
	s_cbranch_vccnz .LBB6_1522
; %bb.1514:
	v_cmp_gt_i16_e32 vcc, 6, v8
	s_mov_b64 s[6:7], -1
	s_cbranch_vccnz .LBB6_1520
; %bb.1515:
	v_cmp_lt_i16_e32 vcc, 6, v8
	s_cbranch_vccz .LBB6_1517
; %bb.1516:
	s_mov_b64 s[6:7], 0
	s_waitcnt vmcnt(0)
	global_store_dwordx2 v[4:5], v[0:1], off
.LBB6_1517:
	s_andn2_b64 vcc, exec, s[6:7]
	s_cbranch_vccnz .LBB6_1519
; %bb.1518:
	s_waitcnt vmcnt(0)
	v_cvt_f32_f64_e32 v2, v[0:1]
	global_store_dword v[4:5], v2, off
.LBB6_1519:
	s_mov_b64 s[6:7], 0
.LBB6_1520:
	s_andn2_b64 vcc, exec, s[6:7]
	s_cbranch_vccnz .LBB6_1522
; %bb.1521:
	s_waitcnt vmcnt(0)
	v_cvt_f32_f64_e32 v2, v[0:1]
	v_cvt_f16_f32_e32 v2, v2
	global_store_short v[4:5], v2, off
.LBB6_1522:
	s_mov_b64 s[6:7], 0
.LBB6_1523:
	s_andn2_b64 vcc, exec, s[6:7]
	s_cbranch_vccnz .LBB6_1539
; %bb.1524:
	v_cmp_gt_i16_e32 vcc, 2, v8
	s_mov_b64 s[6:7], -1
	s_cbranch_vccnz .LBB6_1534
; %bb.1525:
	v_cmp_gt_i16_e32 vcc, 3, v8
	s_cbranch_vccnz .LBB6_1531
; %bb.1526:
	v_cmp_lt_i16_e32 vcc, 3, v8
	s_cbranch_vccz .LBB6_1528
; %bb.1527:
	s_waitcnt vmcnt(0)
	v_trunc_f64_e32 v[2:3], v[0:1]
	s_movk_i32 s6, 0xffe0
	v_ldexp_f64 v[6:7], v[2:3], s6
	v_floor_f64_e32 v[6:7], v[6:7]
	v_fmac_f64_e32 v[2:3], 0xc1f00000, v[6:7]
	v_cvt_i32_f64_e32 v11, v[6:7]
	v_cvt_u32_f64_e32 v10, v[2:3]
	s_mov_b64 s[6:7], 0
	global_store_dwordx2 v[4:5], v[10:11], off
.LBB6_1528:
	s_andn2_b64 vcc, exec, s[6:7]
	s_cbranch_vccnz .LBB6_1530
; %bb.1529:
	s_waitcnt vmcnt(0)
	v_cvt_i32_f64_e32 v2, v[0:1]
	global_store_dword v[4:5], v2, off
.LBB6_1530:
	s_mov_b64 s[6:7], 0
.LBB6_1531:
	s_andn2_b64 vcc, exec, s[6:7]
	s_cbranch_vccnz .LBB6_1533
; %bb.1532:
	s_waitcnt vmcnt(0)
	v_cvt_i32_f64_e32 v2, v[0:1]
	global_store_short v[4:5], v2, off
.LBB6_1533:
	s_mov_b64 s[6:7], 0
.LBB6_1534:
	s_andn2_b64 vcc, exec, s[6:7]
	s_cbranch_vccnz .LBB6_1539
; %bb.1535:
	v_cmp_lt_i16_e32 vcc, 0, v8
	s_mov_b64 s[6:7], -1
	s_cbranch_vccz .LBB6_1537
; %bb.1536:
	s_waitcnt vmcnt(0)
	v_cvt_i32_f64_e32 v2, v[0:1]
	s_mov_b64 s[6:7], 0
	global_store_byte v[4:5], v2, off
.LBB6_1537:
	s_andn2_b64 vcc, exec, s[6:7]
	s_cbranch_vccnz .LBB6_1539
; %bb.1538:
	s_waitcnt vmcnt(0)
	v_trunc_f64_e32 v[0:1], v[0:1]
	s_movk_i32 s6, 0xffe0
	v_ldexp_f64 v[2:3], v[0:1], s6
	v_floor_f64_e32 v[2:3], v[2:3]
	v_fmac_f64_e32 v[0:1], 0xc1f00000, v[2:3]
	v_cvt_u32_f64_e32 v0, v[0:1]
	global_store_byte v[4:5], v0, off
.LBB6_1539:
	s_or_b64 exec, exec, s[0:1]
	s_and_b64 s[6:7], s[22:23], exec
                                        ; implicit-def: $vgpr19
                                        ; implicit-def: $vgpr16
                                        ; implicit-def: $vgpr20
                                        ; implicit-def: $vgpr18
.LBB6_1540:
	s_or_saveexec_b64 s[4:5], s[4:5]
	s_mov_b64 s[0:1], 0
                                        ; implicit-def: $vgpr6
                                        ; implicit-def: $vgpr4_vgpr5
                                        ; implicit-def: $vgpr0_vgpr1
	s_xor_b64 exec, exec, s[4:5]
	s_cbranch_execz .LBB6_2871
; %bb.1541:
	s_waitcnt vmcnt(0)
	v_mul_lo_u32 v6, s13, v19
	v_ashrrev_i32_e32 v0, 31, v6
	v_mov_b32_e32 v1, s11
	v_add_co_u32_e32 v2, vcc, s10, v6
	v_addc_co_u32_e32 v3, vcc, v1, v0, vcc
	v_mov_b32_e32 v0, 11
	v_cmp_lt_i16_sdwa s[0:1], v16, v0 src0_sel:BYTE_0 src1_sel:DWORD
	s_and_b64 vcc, exec, s[0:1]
	s_cbranch_vccnz .LBB6_1548
; %bb.1542:
	v_mov_b32_e32 v0, 25
	v_cmp_gt_i16_sdwa s[0:1], v16, v0 src0_sel:BYTE_0 src1_sel:DWORD
	s_and_b64 vcc, exec, s[0:1]
	s_cbranch_vccz .LBB6_1550
; %bb.1543:
	v_mov_b32_e32 v0, 28
	v_cmp_gt_i16_sdwa s[0:1], v16, v0 src0_sel:BYTE_0 src1_sel:DWORD
	s_and_b64 vcc, exec, s[0:1]
	s_cbranch_vccz .LBB6_1551
	;; [unrolled: 5-line block ×4, first 2 shown]
; %bb.1546:
	v_mov_b32_e32 v0, 46
	v_cmp_eq_u16_sdwa s[0:1], v16, v0 src0_sel:BYTE_0 src1_sel:DWORD
	s_mov_b64 s[18:19], 0
	s_and_b64 vcc, exec, s[0:1]
	s_cbranch_vccz .LBB6_1556
; %bb.1547:
	global_load_dword v0, v[2:3], off
	s_mov_b64 s[0:1], 0
	s_mov_b64 s[20:21], -1
	s_waitcnt vmcnt(0)
	v_lshlrev_b32_e32 v0, 16, v0
	v_cvt_f64_f32_e32 v[0:1], v0
	s_branch .LBB6_1557
.LBB6_1548:
	s_mov_b64 s[20:21], 0
                                        ; implicit-def: $vgpr0_vgpr1
	s_mov_b64 s[18:19], s[6:7]
	s_cbranch_execnz .LBB6_1620
.LBB6_1549:
	s_andn2_b64 vcc, exec, s[20:21]
                                        ; implicit-def: $vgpr2_vgpr3
	s_cbranch_vccz .LBB6_1665
	s_branch .LBB6_2869
.LBB6_1550:
	s_mov_b64 s[20:21], 0
	s_mov_b64 s[0:1], 0
                                        ; implicit-def: $vgpr0_vgpr1
	s_cbranch_execnz .LBB6_1585
	s_branch .LBB6_1616
.LBB6_1551:
	s_mov_b64 s[18:19], -1
	s_mov_b64 s[20:21], 0
	s_mov_b64 s[0:1], 0
                                        ; implicit-def: $vgpr0_vgpr1
	s_branch .LBB6_1566
.LBB6_1552:
	s_mov_b64 s[20:21], 0
	s_mov_b64 s[0:1], 0
                                        ; implicit-def: $vgpr0_vgpr1
	s_cbranch_execnz .LBB6_1562
	s_branch .LBB6_1565
.LBB6_1553:
	s_mov_b64 s[18:19], -1
	s_mov_b64 s[20:21], 0
	s_mov_b64 s[0:1], 0
                                        ; implicit-def: $vgpr0_vgpr1
	s_branch .LBB6_1557
.LBB6_1554:
	s_or_saveexec_b64 s[26:27], s[26:27]
                                        ; implicit-def: $sgpr15
	s_xor_b64 exec, exec, s[26:27]
	s_cbranch_execz .LBB6_1450
.LBB6_1555:
	s_mov_b32 s15, 0x46000000
	v_add_f32_e64 v3, |v2|, s15
	v_and_b32_e32 v3, 0xff, v3
	v_cmp_ne_u32_e32 vcc, 0, v3
	s_andn2_b64 s[24:25], s[24:25], exec
	s_and_b64 s[28:29], vcc, exec
	s_mov_b32 s15, 0
	s_or_b64 s[24:25], s[24:25], s[28:29]
	s_or_b64 exec, exec, s[26:27]
	v_mov_b32_e32 v6, s15
	s_and_saveexec_b64 s[26:27], s[24:25]
	s_cbranch_execnz .LBB6_1451
	s_branch .LBB6_1452
.LBB6_1556:
	s_mov_b64 s[0:1], -1
                                        ; implicit-def: $vgpr0_vgpr1
	s_mov_b64 s[20:21], 0
.LBB6_1557:
	s_and_b64 vcc, exec, s[18:19]
	s_cbranch_vccz .LBB6_1560
; %bb.1558:
	v_mov_b32_e32 v0, 44
	v_cmp_eq_u16_sdwa s[0:1], v16, v0 src0_sel:BYTE_0 src1_sel:DWORD
	s_and_b64 vcc, exec, s[0:1]
	s_cbranch_vccz .LBB6_1561
; %bb.1559:
	global_load_ubyte v4, v[2:3], off
	s_movk_i32 s15, 0xff
	v_bfrev_b32_e32 v5, 4
	v_mov_b32_e32 v7, 0x7ff80000
	v_bfrev_b32_e32 v8, 28
	s_mov_b64 s[0:1], 0
	s_mov_b64 s[20:21], -1
	s_waitcnt vmcnt(0)
	v_lshlrev_b32_e32 v0, 23, v4
	v_cvt_f64_f32_e32 v[0:1], v0
	v_cmp_ne_u32_e32 vcc, s15, v4
	v_cndmask_b32_e32 v0, v5, v0, vcc
	v_cndmask_b32_e32 v1, v7, v1, vcc
	v_cmp_ne_u32_e32 vcc, 0, v4
	v_cndmask_b32_e32 v1, v8, v1, vcc
	v_cndmask_b32_e32 v0, 0, v0, vcc
.LBB6_1560:
	s_branch .LBB6_1565
.LBB6_1561:
	s_mov_b64 s[0:1], -1
                                        ; implicit-def: $vgpr0_vgpr1
	s_branch .LBB6_1565
.LBB6_1562:
	v_mov_b32_e32 v0, 29
	v_cmp_eq_u16_sdwa s[0:1], v16, v0 src0_sel:BYTE_0 src1_sel:DWORD
	s_and_b64 vcc, exec, s[0:1]
	s_cbranch_vccz .LBB6_1564
; %bb.1563:
	global_load_dwordx2 v[0:1], v[2:3], off
	s_mov_b64 s[0:1], 0
	s_mov_b64 s[20:21], -1
	s_mov_b64 s[18:19], 0
	s_waitcnt vmcnt(0)
	v_cvt_f64_u32_e32 v[4:5], v1
	v_cvt_f64_u32_e32 v[0:1], v0
	v_ldexp_f64 v[4:5], v[4:5], 32
	v_add_f64 v[0:1], v[4:5], v[0:1]
	s_branch .LBB6_1566
.LBB6_1564:
	s_mov_b64 s[0:1], -1
                                        ; implicit-def: $vgpr0_vgpr1
.LBB6_1565:
	s_mov_b64 s[18:19], 0
.LBB6_1566:
	s_and_b64 vcc, exec, s[18:19]
	s_cbranch_vccz .LBB6_1584
; %bb.1567:
	v_mov_b32_e32 v0, 27
	v_cmp_lt_i16_sdwa s[18:19], v16, v0 src0_sel:BYTE_0 src1_sel:DWORD
	s_and_b64 vcc, exec, s[18:19]
	s_cbranch_vccnz .LBB6_1570
; %bb.1568:
	v_cmp_gt_i16_sdwa s[18:19], v16, v0 src0_sel:BYTE_0 src1_sel:DWORD
	s_and_b64 vcc, exec, s[18:19]
	s_cbranch_vccz .LBB6_1571
; %bb.1569:
	global_load_dword v0, v[2:3], off
	s_mov_b64 s[18:19], 0
	s_waitcnt vmcnt(0)
	v_cvt_f64_u32_e32 v[0:1], v0
	s_branch .LBB6_1572
.LBB6_1570:
	s_mov_b64 s[18:19], -1
                                        ; implicit-def: $vgpr0_vgpr1
	s_branch .LBB6_1575
.LBB6_1571:
	s_mov_b64 s[18:19], -1
                                        ; implicit-def: $vgpr0_vgpr1
.LBB6_1572:
	s_andn2_b64 vcc, exec, s[18:19]
	s_cbranch_vccnz .LBB6_1574
; %bb.1573:
	global_load_ushort v0, v[2:3], off
	s_waitcnt vmcnt(0)
	v_cvt_f64_u32_e32 v[0:1], v0
.LBB6_1574:
	s_mov_b64 s[18:19], 0
.LBB6_1575:
	s_andn2_b64 vcc, exec, s[18:19]
	s_cbranch_vccnz .LBB6_1583
; %bb.1576:
	global_load_ubyte v4, v[2:3], off
	s_movk_i32 s15, 0x7f
	s_mov_b64 s[18:19], 0
                                        ; implicit-def: $sgpr20_sgpr21
	s_waitcnt vmcnt(0)
	v_cmp_lt_i16_e32 vcc, s15, v4
	s_and_saveexec_b64 s[22:23], vcc
	s_xor_b64 s[22:23], exec, s[22:23]
	s_cbranch_execz .LBB6_1596
; %bb.1577:
	s_movk_i32 s15, 0x80
	v_cmp_eq_u16_e32 vcc, s15, v4
	s_mov_b64 s[24:25], -1
                                        ; implicit-def: $sgpr20_sgpr21
	s_and_saveexec_b64 s[18:19], vcc
; %bb.1578:
	s_mov_b32 s21, 0x7ff80000
	s_brev_b32 s20, 4
	s_xor_b64 s[24:25], exec, -1
; %bb.1579:
	s_or_b64 exec, exec, s[18:19]
	s_and_b64 s[18:19], s[24:25], exec
	s_or_saveexec_b64 s[22:23], s[22:23]
	v_pk_mov_b32 v[0:1], s[20:21], s[20:21] op_sel:[0,1]
	s_xor_b64 exec, exec, s[22:23]
	s_cbranch_execnz .LBB6_1597
.LBB6_1580:
	s_or_b64 exec, exec, s[22:23]
	s_and_saveexec_b64 s[20:21], s[18:19]
	s_cbranch_execz .LBB6_1582
.LBB6_1581:
	v_and_b32_e32 v1, 0xffff, v4
	v_lshlrev_b32_e32 v0, 24, v4
	v_and_b32_e32 v4, 7, v1
	v_ffbh_u32_e32 v7, v4
	v_min_u32_e32 v7, 32, v7
	v_subrev_u32_e32 v8, 28, v7
	v_bfe_u32 v5, v1, 3, 4
	v_lshlrev_b32_e32 v1, v8, v1
	v_sub_u32_e32 v7, 29, v7
	v_and_b32_e32 v1, 7, v1
	v_cmp_eq_u32_e32 vcc, 0, v5
	v_cndmask_b32_e32 v5, v5, v7, vcc
	v_cndmask_b32_e32 v1, v4, v1, vcc
	v_mov_b32_e32 v4, 0x3b800000
	v_lshlrev_b32_e32 v1, 20, v1
	v_and_b32_e32 v0, 0x80000000, v0
	v_lshl_add_u32 v4, v5, 23, v4
	v_or3_b32 v0, v0, v4, v1
	v_cvt_f64_f32_e32 v[0:1], v0
.LBB6_1582:
	s_or_b64 exec, exec, s[20:21]
.LBB6_1583:
	s_mov_b64 s[20:21], -1
.LBB6_1584:
	s_branch .LBB6_1616
.LBB6_1585:
	v_mov_b32_e32 v0, 22
	v_cmp_gt_i16_sdwa s[16:17], v16, v0 src0_sel:BYTE_0 src1_sel:DWORD
	s_and_b64 vcc, exec, s[16:17]
	s_cbranch_vccz .LBB6_1595
; %bb.1586:
	v_mov_b32_e32 v0, 24
	v_cmp_lt_i16_sdwa s[16:17], v16, v0 src0_sel:BYTE_0 src1_sel:DWORD
	s_and_b64 vcc, exec, s[16:17]
	s_cbranch_vccnz .LBB6_1598
; %bb.1587:
	v_cmp_gt_i16_sdwa s[16:17], v16, v0 src0_sel:BYTE_0 src1_sel:DWORD
	s_and_b64 vcc, exec, s[16:17]
	s_cbranch_vccz .LBB6_1599
; %bb.1588:
	global_load_ubyte v4, v[2:3], off
	s_movk_i32 s15, 0x7f
	s_mov_b64 s[16:17], 0
                                        ; implicit-def: $sgpr18_sgpr19
	s_waitcnt vmcnt(0)
	v_cmp_lt_i16_e32 vcc, s15, v4
	s_and_saveexec_b64 s[20:21], vcc
	s_xor_b64 s[20:21], exec, s[20:21]
	s_cbranch_execz .LBB6_1610
; %bb.1589:
	s_movk_i32 s15, 0x80
	v_cmp_eq_u16_e32 vcc, s15, v4
	s_mov_b64 s[22:23], -1
                                        ; implicit-def: $sgpr18_sgpr19
	s_and_saveexec_b64 s[16:17], vcc
; %bb.1590:
	s_mov_b32 s19, 0x7ff80000
	s_brev_b32 s18, 4
	s_xor_b64 s[22:23], exec, -1
; %bb.1591:
	s_or_b64 exec, exec, s[16:17]
	s_and_b64 s[16:17], s[22:23], exec
	s_or_saveexec_b64 s[20:21], s[20:21]
	v_pk_mov_b32 v[0:1], s[18:19], s[18:19] op_sel:[0,1]
	s_xor_b64 exec, exec, s[20:21]
	s_cbranch_execnz .LBB6_1611
.LBB6_1592:
	s_or_b64 exec, exec, s[20:21]
	s_and_saveexec_b64 s[18:19], s[16:17]
	s_cbranch_execz .LBB6_1594
.LBB6_1593:
	v_and_b32_e32 v1, 0xffff, v4
	v_lshlrev_b32_e32 v0, 24, v4
	v_and_b32_e32 v4, 3, v1
	v_ffbh_u32_e32 v7, v4
	v_min_u32_e32 v7, 32, v7
	v_subrev_u32_e32 v8, 29, v7
	v_bfe_u32 v5, v1, 2, 5
	v_lshlrev_b32_e32 v1, v8, v1
	v_sub_u32_e32 v7, 30, v7
	v_and_b32_e32 v1, 3, v1
	v_cmp_eq_u32_e32 vcc, 0, v5
	v_cndmask_b32_e32 v5, v5, v7, vcc
	v_cndmask_b32_e32 v1, v4, v1, vcc
	v_mov_b32_e32 v4, 0x37800000
	v_lshlrev_b32_e32 v1, 21, v1
	v_and_b32_e32 v0, 0x80000000, v0
	v_lshl_add_u32 v4, v5, 23, v4
	v_or3_b32 v0, v0, v4, v1
	v_cvt_f64_f32_e32 v[0:1], v0
.LBB6_1594:
	s_or_b64 exec, exec, s[18:19]
	s_mov_b64 s[16:17], 0
	s_branch .LBB6_1600
.LBB6_1595:
                                        ; implicit-def: $vgpr0_vgpr1
	s_mov_b64 s[16:17], 0
	s_branch .LBB6_1606
.LBB6_1596:
	s_or_saveexec_b64 s[22:23], s[22:23]
	v_pk_mov_b32 v[0:1], s[20:21], s[20:21] op_sel:[0,1]
	s_xor_b64 exec, exec, s[22:23]
	s_cbranch_execz .LBB6_1580
.LBB6_1597:
	v_cmp_ne_u16_e32 vcc, 0, v4
	s_andn2_b64 s[18:19], s[18:19], exec
	s_and_b64 s[20:21], vcc, exec
	v_pk_mov_b32 v[0:1], 0, 0
	s_or_b64 s[18:19], s[18:19], s[20:21]
	s_or_b64 exec, exec, s[22:23]
	s_and_saveexec_b64 s[20:21], s[18:19]
	s_cbranch_execnz .LBB6_1581
	s_branch .LBB6_1582
.LBB6_1598:
	s_mov_b64 s[16:17], -1
                                        ; implicit-def: $vgpr0_vgpr1
	s_branch .LBB6_1603
.LBB6_1599:
	s_mov_b64 s[16:17], -1
                                        ; implicit-def: $vgpr0_vgpr1
.LBB6_1600:
	s_and_b64 vcc, exec, s[16:17]
	s_cbranch_vccz .LBB6_1602
; %bb.1601:
	global_load_ubyte v0, v[2:3], off
	s_mov_b32 s15, 0x7f800000
	s_waitcnt vmcnt(0)
	v_lshlrev_b32_e32 v0, 24, v0
	v_and_b32_e32 v1, 0x7f000000, v0
	v_ffbh_u32_e32 v4, v1
	v_min_u32_e32 v4, 32, v4
	v_sub_u32_e64 v4, v4, 4 clamp
	v_lshlrev_b32_e32 v7, v4, v1
	v_lshlrev_b32_e32 v4, 23, v4
	v_lshrrev_b32_e32 v7, 4, v7
	v_add_u32_e32 v5, 0x1000000, v1
	v_sub_u32_e32 v4, v7, v4
	v_ashrrev_i32_e32 v5, 8, v5
	v_add_u32_e32 v4, 0x3c000000, v4
	v_and_or_b32 v4, v5, s15, v4
	v_cmp_ne_u32_e32 vcc, 0, v1
	v_cndmask_b32_e32 v1, 0, v4, vcc
	s_brev_b32 s15, 1
	v_and_or_b32 v0, v0, s15, v1
	v_cvt_f64_f32_e32 v[0:1], v0
.LBB6_1602:
	s_mov_b64 s[16:17], 0
.LBB6_1603:
	s_andn2_b64 vcc, exec, s[16:17]
	s_cbranch_vccnz .LBB6_1605
; %bb.1604:
	global_load_ubyte v0, v[2:3], off
	s_movk_i32 s15, 0x7f00
	s_brev_b32 s16, 16
	s_waitcnt vmcnt(0)
	v_lshlrev_b16_e32 v1, 8, v0
	v_lshlrev_b32_e32 v0, 25, v0
	v_lshrrev_b32_e32 v4, 4, v0
	v_and_or_b32 v5, v1, s15, 0.5
	v_or_b32_e32 v4, 0x70000000, v4
	v_add_f32_e32 v5, -0.5, v5
	v_mul_f32_e32 v4, 0x7800000, v4
	v_cmp_gt_u32_e32 vcc, s16, v0
	v_bfe_i32 v1, v1, 0, 16
	v_cndmask_b32_e32 v0, v4, v5, vcc
	s_brev_b32 s15, 1
	v_and_or_b32 v0, v1, s15, v0
	v_cvt_f64_f32_e32 v[0:1], v0
.LBB6_1605:
	s_mov_b64 s[20:21], -1
	s_mov_b64 s[16:17], 0
	s_cbranch_execnz .LBB6_1616
.LBB6_1606:
	v_mov_b32_e32 v0, 14
	v_cmp_gt_i16_sdwa s[16:17], v16, v0 src0_sel:BYTE_0 src1_sel:DWORD
	s_and_b64 vcc, exec, s[16:17]
	s_cbranch_vccz .LBB6_1609
; %bb.1607:
	v_mov_b32_e32 v0, 15
	v_cmp_eq_u16_sdwa s[0:1], v16, v0 src0_sel:BYTE_0 src1_sel:DWORD
	s_and_b64 vcc, exec, s[0:1]
	s_cbranch_vccz .LBB6_1612
; %bb.1608:
	global_load_ushort v0, v[2:3], off
	s_mov_b64 s[0:1], 0
	s_mov_b64 s[20:21], -1
	s_waitcnt vmcnt(0)
	v_lshlrev_b32_e32 v0, 16, v0
	v_cvt_f64_f32_e32 v[0:1], v0
	s_branch .LBB6_1613
.LBB6_1609:
	s_mov_b64 s[18:19], -1
                                        ; implicit-def: $vgpr0_vgpr1
	s_branch .LBB6_1614
.LBB6_1610:
	s_or_saveexec_b64 s[20:21], s[20:21]
	v_pk_mov_b32 v[0:1], s[18:19], s[18:19] op_sel:[0,1]
	s_xor_b64 exec, exec, s[20:21]
	s_cbranch_execz .LBB6_1592
.LBB6_1611:
	v_cmp_ne_u16_e32 vcc, 0, v4
	s_andn2_b64 s[16:17], s[16:17], exec
	s_and_b64 s[18:19], vcc, exec
	v_pk_mov_b32 v[0:1], 0, 0
	s_or_b64 s[16:17], s[16:17], s[18:19]
	s_or_b64 exec, exec, s[20:21]
	s_and_saveexec_b64 s[18:19], s[16:17]
	s_cbranch_execnz .LBB6_1593
	s_branch .LBB6_1594
.LBB6_1612:
	s_mov_b64 s[0:1], -1
                                        ; implicit-def: $vgpr0_vgpr1
.LBB6_1613:
	s_mov_b64 s[18:19], 0
.LBB6_1614:
	s_mov_b64 s[16:17], 0
	s_and_b64 vcc, exec, s[18:19]
	s_cbranch_vccz .LBB6_1616
; %bb.1615:
	v_mov_b32_e32 v0, 11
	v_cmp_ne_u16_sdwa s[0:1], v16, v0 src0_sel:BYTE_0 src1_sel:DWORD
	s_mov_b64 s[16:17], -1
                                        ; implicit-def: $vgpr0_vgpr1
.LBB6_1616:
	s_and_b64 vcc, exec, s[0:1]
	s_mov_b64 s[18:19], s[6:7]
	s_cbranch_vccnz .LBB6_1677
; %bb.1617:
	s_andn2_b64 vcc, exec, s[16:17]
	s_cbranch_vccnz .LBB6_1619
.LBB6_1618:
	global_load_ubyte v1, v[2:3], off
	v_mov_b32_e32 v4, 0x3ff00000
	v_mov_b32_e32 v0, 0
	s_mov_b64 s[20:21], -1
	s_waitcnt vmcnt(0)
	v_cmp_ne_u16_e32 vcc, 0, v1
	v_cndmask_b32_e32 v1, 0, v4, vcc
.LBB6_1619:
	s_branch .LBB6_1549
.LBB6_1620:
	v_mov_b32_e32 v0, 5
	v_cmp_lt_i16_sdwa s[0:1], v16, v0 src0_sel:BYTE_0 src1_sel:DWORD
	s_and_b64 vcc, exec, s[0:1]
	s_cbranch_vccnz .LBB6_1625
; %bb.1621:
	v_mov_b32_e32 v0, 8
	v_cmp_lt_i16_sdwa s[0:1], v16, v0 src0_sel:BYTE_0 src1_sel:DWORD
	s_and_b64 vcc, exec, s[0:1]
	s_cbranch_vccnz .LBB6_1626
; %bb.1622:
	;; [unrolled: 5-line block ×3, first 2 shown]
	v_cmp_gt_i16_sdwa s[0:1], v16, v0 src0_sel:BYTE_0 src1_sel:DWORD
	s_and_b64 vcc, exec, s[0:1]
	s_cbranch_vccz .LBB6_1628
; %bb.1624:
	global_load_dwordx2 v[0:1], v[2:3], off
	s_mov_b64 s[0:1], 0
	s_branch .LBB6_1629
.LBB6_1625:
                                        ; implicit-def: $vgpr0_vgpr1
	s_branch .LBB6_1646
.LBB6_1626:
                                        ; implicit-def: $vgpr0_vgpr1
	s_branch .LBB6_1635
.LBB6_1627:
	s_mov_b64 s[0:1], -1
                                        ; implicit-def: $vgpr0_vgpr1
	s_branch .LBB6_1632
.LBB6_1628:
	s_mov_b64 s[0:1], -1
                                        ; implicit-def: $vgpr0_vgpr1
.LBB6_1629:
	s_andn2_b64 vcc, exec, s[0:1]
	s_cbranch_vccnz .LBB6_1631
; %bb.1630:
	global_load_dword v0, v[2:3], off
	s_waitcnt vmcnt(0)
	v_cvt_f64_f32_e32 v[0:1], v0
.LBB6_1631:
	s_mov_b64 s[0:1], 0
.LBB6_1632:
	s_andn2_b64 vcc, exec, s[0:1]
	s_cbranch_vccnz .LBB6_1634
; %bb.1633:
	global_load_dword v0, v[2:3], off
	s_waitcnt vmcnt(0)
	v_cvt_f32_f16_e32 v0, v0
	v_cvt_f64_f32_e32 v[0:1], v0
.LBB6_1634:
	s_cbranch_execnz .LBB6_1645
.LBB6_1635:
	s_waitcnt vmcnt(0)
	v_mov_b32_e32 v0, 6
	v_cmp_lt_i16_sdwa s[0:1], v16, v0 src0_sel:BYTE_0 src1_sel:DWORD
	s_and_b64 vcc, exec, s[0:1]
	s_cbranch_vccnz .LBB6_1638
; %bb.1636:
	v_cmp_gt_i16_sdwa s[0:1], v16, v0 src0_sel:BYTE_0 src1_sel:DWORD
	s_and_b64 vcc, exec, s[0:1]
	s_cbranch_vccz .LBB6_1639
; %bb.1637:
	global_load_dwordx2 v[0:1], v[2:3], off
	s_mov_b64 s[0:1], 0
	s_branch .LBB6_1640
.LBB6_1638:
	s_mov_b64 s[0:1], -1
                                        ; implicit-def: $vgpr0_vgpr1
	s_branch .LBB6_1643
.LBB6_1639:
	s_mov_b64 s[0:1], -1
                                        ; implicit-def: $vgpr0_vgpr1
.LBB6_1640:
	s_andn2_b64 vcc, exec, s[0:1]
	s_cbranch_vccnz .LBB6_1642
; %bb.1641:
	global_load_dword v0, v[2:3], off
	s_waitcnt vmcnt(0)
	v_cvt_f64_f32_e32 v[0:1], v0
.LBB6_1642:
	s_mov_b64 s[0:1], 0
.LBB6_1643:
	s_andn2_b64 vcc, exec, s[0:1]
	s_cbranch_vccnz .LBB6_1645
; %bb.1644:
	global_load_ushort v0, v[2:3], off
	s_waitcnt vmcnt(0)
	v_cvt_f32_f16_e32 v0, v0
	v_cvt_f64_f32_e32 v[0:1], v0
.LBB6_1645:
	s_cbranch_execnz .LBB6_1664
.LBB6_1646:
	s_waitcnt vmcnt(0)
	v_mov_b32_e32 v0, 2
	v_cmp_lt_i16_sdwa s[0:1], v16, v0 src0_sel:BYTE_0 src1_sel:DWORD
	s_and_b64 vcc, exec, s[0:1]
	s_cbranch_vccnz .LBB6_1650
; %bb.1647:
	v_mov_b32_e32 v0, 3
	v_cmp_lt_i16_sdwa s[0:1], v16, v0 src0_sel:BYTE_0 src1_sel:DWORD
	s_and_b64 vcc, exec, s[0:1]
	s_cbranch_vccnz .LBB6_1651
; %bb.1648:
	v_cmp_gt_i16_sdwa s[0:1], v16, v0 src0_sel:BYTE_0 src1_sel:DWORD
	s_and_b64 vcc, exec, s[0:1]
	s_cbranch_vccz .LBB6_1652
; %bb.1649:
	global_load_dwordx2 v[0:1], v[2:3], off
	s_mov_b64 s[0:1], 0
	s_waitcnt vmcnt(0)
	v_cvt_f64_i32_e32 v[4:5], v1
	v_cvt_f64_u32_e32 v[0:1], v0
	v_ldexp_f64 v[4:5], v[4:5], 32
	v_add_f64 v[0:1], v[4:5], v[0:1]
	s_branch .LBB6_1653
.LBB6_1650:
                                        ; implicit-def: $vgpr0_vgpr1
	s_branch .LBB6_1659
.LBB6_1651:
	s_mov_b64 s[0:1], -1
                                        ; implicit-def: $vgpr0_vgpr1
	s_branch .LBB6_1656
.LBB6_1652:
	s_mov_b64 s[0:1], -1
                                        ; implicit-def: $vgpr0_vgpr1
.LBB6_1653:
	s_andn2_b64 vcc, exec, s[0:1]
	s_cbranch_vccnz .LBB6_1655
; %bb.1654:
	global_load_dword v0, v[2:3], off
	s_waitcnt vmcnt(0)
	v_cvt_f64_i32_e32 v[0:1], v0
.LBB6_1655:
	s_mov_b64 s[0:1], 0
.LBB6_1656:
	s_andn2_b64 vcc, exec, s[0:1]
	s_cbranch_vccnz .LBB6_1658
; %bb.1657:
	global_load_sshort v0, v[2:3], off
	s_waitcnt vmcnt(0)
	v_cvt_f64_i32_e32 v[0:1], v0
.LBB6_1658:
	s_cbranch_execnz .LBB6_1664
.LBB6_1659:
	v_mov_b32_e32 v0, 0
	v_cmp_gt_i16_sdwa s[0:1], v16, v0 src0_sel:BYTE_0 src1_sel:DWORD
	s_and_b64 vcc, exec, s[0:1]
	s_cbranch_vccz .LBB6_1661
; %bb.1660:
	global_load_sbyte v0, v[2:3], off
	s_mov_b64 s[0:1], 0
	s_waitcnt vmcnt(0)
	v_cvt_f64_i32_e32 v[0:1], v0
	s_branch .LBB6_1662
.LBB6_1661:
	s_mov_b64 s[0:1], -1
                                        ; implicit-def: $vgpr0_vgpr1
.LBB6_1662:
	s_andn2_b64 vcc, exec, s[0:1]
	s_cbranch_vccnz .LBB6_1664
; %bb.1663:
	global_load_ubyte v0, v[2:3], off
	s_waitcnt vmcnt(0)
	v_cvt_f64_u32_e32 v[0:1], v0
.LBB6_1664:
                                        ; implicit-def: $vgpr2_vgpr3
.LBB6_1665:
	v_mul_lo_u32 v8, s14, v19
	v_ashrrev_i32_e32 v2, 31, v8
	v_mov_b32_e32 v3, s3
	v_add_co_u32_e32 v4, vcc, s2, v8
	v_addc_co_u32_e32 v5, vcc, v3, v2, vcc
	v_mov_b32_e32 v2, 11
	v_cmp_lt_i16_sdwa s[0:1], v20, v2 src0_sel:BYTE_0 src1_sel:DWORD
	s_and_b64 vcc, exec, s[0:1]
	s_cbranch_vccnz .LBB6_1672
; %bb.1666:
	v_mov_b32_e32 v2, 25
	v_cmp_gt_i16_sdwa s[0:1], v20, v2 src0_sel:BYTE_0 src1_sel:DWORD
	s_mov_b64 s[16:17], 0
	s_and_b64 vcc, exec, s[0:1]
	s_cbranch_vccz .LBB6_1674
; %bb.1667:
	v_mov_b32_e32 v2, 28
	v_cmp_gt_i16_sdwa s[0:1], v20, v2 src0_sel:BYTE_0 src1_sel:DWORD
	s_and_b64 vcc, exec, s[0:1]
	s_cbranch_vccz .LBB6_1675
; %bb.1668:
	v_mov_b32_e32 v2, 43
	v_cmp_gt_i16_sdwa s[0:1], v20, v2 src0_sel:BYTE_0 src1_sel:DWORD
	;; [unrolled: 5-line block ×3, first 2 shown]
	s_and_b64 vcc, exec, s[0:1]
	s_cbranch_vccz .LBB6_1678
; %bb.1670:
	v_mov_b32_e32 v2, 46
	v_cmp_eq_u16_sdwa s[0:1], v20, v2 src0_sel:BYTE_0 src1_sel:DWORD
	s_mov_b64 s[22:23], 0
	s_and_b64 vcc, exec, s[0:1]
	s_cbranch_vccz .LBB6_1681
; %bb.1671:
	global_load_dword v2, v[4:5], off
	s_mov_b64 s[0:1], 0
	s_mov_b64 s[20:21], -1
	s_waitcnt vmcnt(0)
	v_lshlrev_b32_e32 v2, 16, v2
	v_cvt_f64_f32_e32 v[2:3], v2
	s_branch .LBB6_1682
.LBB6_1672:
	s_mov_b64 s[20:21], 0
                                        ; implicit-def: $vgpr2_vgpr3
	s_cbranch_execnz .LBB6_1747
.LBB6_1673:
	s_andn2_b64 vcc, exec, s[20:21]
	s_cbranch_vccz .LBB6_1794
	s_branch .LBB6_2869
.LBB6_1674:
	s_mov_b64 s[20:21], 0
	s_mov_b64 s[0:1], 0
                                        ; implicit-def: $vgpr2_vgpr3
	s_cbranch_execnz .LBB6_1711
	s_branch .LBB6_1743
.LBB6_1675:
	s_mov_b64 s[22:23], -1
	s_mov_b64 s[20:21], 0
	s_mov_b64 s[0:1], 0
                                        ; implicit-def: $vgpr2_vgpr3
	s_branch .LBB6_1692
.LBB6_1676:
	s_mov_b64 s[22:23], -1
	s_mov_b64 s[20:21], 0
	s_mov_b64 s[0:1], 0
                                        ; implicit-def: $vgpr2_vgpr3
	s_branch .LBB6_1687
.LBB6_1677:
	s_or_b64 s[18:19], s[6:7], exec
	s_trap 2
                                        ; implicit-def: $vgpr0_vgpr1
	s_cbranch_execz .LBB6_1618
	s_branch .LBB6_1619
.LBB6_1678:
	s_mov_b64 s[22:23], -1
	s_mov_b64 s[20:21], 0
	s_mov_b64 s[0:1], 0
                                        ; implicit-def: $vgpr2_vgpr3
	s_branch .LBB6_1682
.LBB6_1679:
	s_or_saveexec_b64 s[28:29], s[28:29]
                                        ; implicit-def: $sgpr15
	s_xor_b64 exec, exec, s[28:29]
	s_cbranch_execz .LBB6_1462
.LBB6_1680:
	s_mov_b32 s15, 0x42800000
	v_add_f32_e64 v3, |v2|, s15
	v_and_b32_e32 v3, 0xff, v3
	v_cmp_ne_u32_e32 vcc, 0, v3
	s_andn2_b64 s[26:27], s[26:27], exec
	s_and_b64 s[30:31], vcc, exec
	s_mov_b32 s15, 0
	s_or_b64 s[26:27], s[26:27], s[30:31]
	s_or_b64 exec, exec, s[28:29]
	v_mov_b32_e32 v6, s15
	s_and_saveexec_b64 s[28:29], s[26:27]
	s_cbranch_execnz .LBB6_1463
	s_branch .LBB6_1464
.LBB6_1681:
	s_mov_b64 s[0:1], -1
                                        ; implicit-def: $vgpr2_vgpr3
	s_mov_b64 s[20:21], 0
.LBB6_1682:
	s_and_b64 vcc, exec, s[22:23]
	s_cbranch_vccz .LBB6_1686
; %bb.1683:
	v_mov_b32_e32 v2, 44
	v_cmp_eq_u16_sdwa s[0:1], v20, v2 src0_sel:BYTE_0 src1_sel:DWORD
	s_and_b64 vcc, exec, s[0:1]
	s_cbranch_vccz .LBB6_1685
; %bb.1684:
	global_load_ubyte v7, v[4:5], off
	s_movk_i32 s15, 0xff
	v_bfrev_b32_e32 v9, 4
	v_mov_b32_e32 v10, 0x7ff80000
	v_bfrev_b32_e32 v11, 28
	s_mov_b64 s[0:1], 0
	s_mov_b64 s[20:21], -1
	s_waitcnt vmcnt(0)
	v_lshlrev_b32_e32 v2, 23, v7
	v_cvt_f64_f32_e32 v[2:3], v2
	v_cmp_ne_u32_e32 vcc, s15, v7
	v_cndmask_b32_e32 v2, v9, v2, vcc
	v_cndmask_b32_e32 v3, v10, v3, vcc
	v_cmp_ne_u32_e32 vcc, 0, v7
	v_cndmask_b32_e32 v3, v11, v3, vcc
	v_cndmask_b32_e32 v2, 0, v2, vcc
	s_branch .LBB6_1686
.LBB6_1685:
	s_mov_b64 s[0:1], -1
                                        ; implicit-def: $vgpr2_vgpr3
.LBB6_1686:
	s_mov_b64 s[22:23], 0
.LBB6_1687:
	s_and_b64 vcc, exec, s[22:23]
	s_cbranch_vccz .LBB6_1691
; %bb.1688:
	v_mov_b32_e32 v2, 29
	v_cmp_eq_u16_sdwa s[0:1], v20, v2 src0_sel:BYTE_0 src1_sel:DWORD
	s_and_b64 vcc, exec, s[0:1]
	s_cbranch_vccz .LBB6_1690
; %bb.1689:
	global_load_dwordx2 v[2:3], v[4:5], off
	s_mov_b64 s[0:1], 0
	s_mov_b64 s[20:21], -1
	s_mov_b64 s[22:23], 0
	s_waitcnt vmcnt(0)
	v_cvt_f64_u32_e32 v[10:11], v3
	v_cvt_f64_u32_e32 v[2:3], v2
	v_ldexp_f64 v[10:11], v[10:11], 32
	v_add_f64 v[2:3], v[10:11], v[2:3]
	s_branch .LBB6_1692
.LBB6_1690:
	s_mov_b64 s[0:1], -1
                                        ; implicit-def: $vgpr2_vgpr3
.LBB6_1691:
	s_mov_b64 s[22:23], 0
.LBB6_1692:
	s_and_b64 vcc, exec, s[22:23]
	s_cbranch_vccz .LBB6_1710
; %bb.1693:
	v_mov_b32_e32 v2, 27
	v_cmp_lt_i16_sdwa s[20:21], v20, v2 src0_sel:BYTE_0 src1_sel:DWORD
	s_and_b64 vcc, exec, s[20:21]
	s_cbranch_vccnz .LBB6_1696
; %bb.1694:
	v_cmp_gt_i16_sdwa s[20:21], v20, v2 src0_sel:BYTE_0 src1_sel:DWORD
	s_and_b64 vcc, exec, s[20:21]
	s_cbranch_vccz .LBB6_1697
; %bb.1695:
	global_load_dword v2, v[4:5], off
	s_mov_b64 s[20:21], 0
	s_waitcnt vmcnt(0)
	v_cvt_f64_u32_e32 v[2:3], v2
	s_branch .LBB6_1698
.LBB6_1696:
	s_mov_b64 s[20:21], -1
                                        ; implicit-def: $vgpr2_vgpr3
	s_branch .LBB6_1701
.LBB6_1697:
	s_mov_b64 s[20:21], -1
                                        ; implicit-def: $vgpr2_vgpr3
.LBB6_1698:
	s_andn2_b64 vcc, exec, s[20:21]
	s_cbranch_vccnz .LBB6_1700
; %bb.1699:
	global_load_ushort v2, v[4:5], off
	s_waitcnt vmcnt(0)
	v_cvt_f64_u32_e32 v[2:3], v2
.LBB6_1700:
	s_mov_b64 s[20:21], 0
.LBB6_1701:
	s_andn2_b64 vcc, exec, s[20:21]
	s_cbranch_vccnz .LBB6_1709
; %bb.1702:
	global_load_ubyte v7, v[4:5], off
	s_movk_i32 s15, 0x7f
	s_mov_b64 s[20:21], 0
                                        ; implicit-def: $sgpr22_sgpr23
	s_waitcnt vmcnt(0)
	v_cmp_lt_i16_e32 vcc, s15, v7
	s_and_saveexec_b64 s[24:25], vcc
	s_xor_b64 s[24:25], exec, s[24:25]
	s_cbranch_execz .LBB6_1722
; %bb.1703:
	s_movk_i32 s15, 0x80
	v_cmp_eq_u16_e32 vcc, s15, v7
	s_mov_b64 s[26:27], -1
                                        ; implicit-def: $sgpr22_sgpr23
	s_and_saveexec_b64 s[20:21], vcc
; %bb.1704:
	s_mov_b32 s23, 0x7ff80000
	s_brev_b32 s22, 4
	s_xor_b64 s[26:27], exec, -1
; %bb.1705:
	s_or_b64 exec, exec, s[20:21]
	s_and_b64 s[20:21], s[26:27], exec
	s_or_saveexec_b64 s[24:25], s[24:25]
	v_pk_mov_b32 v[2:3], s[22:23], s[22:23] op_sel:[0,1]
	s_xor_b64 exec, exec, s[24:25]
	s_cbranch_execnz .LBB6_1723
.LBB6_1706:
	s_or_b64 exec, exec, s[24:25]
	s_and_saveexec_b64 s[22:23], s[20:21]
	s_cbranch_execz .LBB6_1708
.LBB6_1707:
	v_and_b32_e32 v3, 0xffff, v7
	v_lshlrev_b32_e32 v2, 24, v7
	v_and_b32_e32 v7, 7, v3
	v_ffbh_u32_e32 v10, v7
	v_min_u32_e32 v10, 32, v10
	v_subrev_u32_e32 v11, 28, v10
	v_bfe_u32 v9, v3, 3, 4
	v_lshlrev_b32_e32 v3, v11, v3
	v_sub_u32_e32 v10, 29, v10
	v_and_b32_e32 v3, 7, v3
	v_cmp_eq_u32_e32 vcc, 0, v9
	v_cndmask_b32_e32 v9, v9, v10, vcc
	v_cndmask_b32_e32 v3, v7, v3, vcc
	v_mov_b32_e32 v7, 0x3b800000
	v_lshlrev_b32_e32 v3, 20, v3
	v_and_b32_e32 v2, 0x80000000, v2
	v_lshl_add_u32 v7, v9, 23, v7
	v_or3_b32 v2, v2, v7, v3
	v_cvt_f64_f32_e32 v[2:3], v2
.LBB6_1708:
	s_or_b64 exec, exec, s[22:23]
.LBB6_1709:
	s_mov_b64 s[20:21], -1
.LBB6_1710:
	s_branch .LBB6_1743
.LBB6_1711:
	v_mov_b32_e32 v2, 22
	v_cmp_gt_i16_sdwa s[16:17], v20, v2 src0_sel:BYTE_0 src1_sel:DWORD
	s_and_b64 vcc, exec, s[16:17]
	s_cbranch_vccz .LBB6_1721
; %bb.1712:
	v_mov_b32_e32 v2, 24
	v_cmp_lt_i16_sdwa s[16:17], v20, v2 src0_sel:BYTE_0 src1_sel:DWORD
	s_and_b64 vcc, exec, s[16:17]
	s_cbranch_vccnz .LBB6_1724
; %bb.1713:
	v_cmp_gt_i16_sdwa s[16:17], v20, v2 src0_sel:BYTE_0 src1_sel:DWORD
	s_and_b64 vcc, exec, s[16:17]
	s_cbranch_vccz .LBB6_1725
; %bb.1714:
	global_load_ubyte v7, v[4:5], off
	s_movk_i32 s15, 0x7f
	s_mov_b64 s[16:17], 0
                                        ; implicit-def: $sgpr20_sgpr21
	s_waitcnt vmcnt(0)
	v_cmp_lt_i16_e32 vcc, s15, v7
	s_and_saveexec_b64 s[22:23], vcc
	s_xor_b64 s[22:23], exec, s[22:23]
	s_cbranch_execz .LBB6_1737
; %bb.1715:
	s_movk_i32 s15, 0x80
	v_cmp_eq_u16_e32 vcc, s15, v7
	s_mov_b64 s[24:25], -1
                                        ; implicit-def: $sgpr20_sgpr21
	s_and_saveexec_b64 s[16:17], vcc
; %bb.1716:
	s_mov_b32 s21, 0x7ff80000
	s_brev_b32 s20, 4
	s_xor_b64 s[24:25], exec, -1
; %bb.1717:
	s_or_b64 exec, exec, s[16:17]
	s_and_b64 s[16:17], s[24:25], exec
	s_or_saveexec_b64 s[22:23], s[22:23]
	v_pk_mov_b32 v[2:3], s[20:21], s[20:21] op_sel:[0,1]
	s_xor_b64 exec, exec, s[22:23]
	s_cbranch_execnz .LBB6_1738
.LBB6_1718:
	s_or_b64 exec, exec, s[22:23]
	s_and_saveexec_b64 s[20:21], s[16:17]
	s_cbranch_execz .LBB6_1720
.LBB6_1719:
	v_and_b32_e32 v3, 0xffff, v7
	v_lshlrev_b32_e32 v2, 24, v7
	v_and_b32_e32 v7, 3, v3
	v_ffbh_u32_e32 v10, v7
	v_min_u32_e32 v10, 32, v10
	v_subrev_u32_e32 v11, 29, v10
	v_bfe_u32 v9, v3, 2, 5
	v_lshlrev_b32_e32 v3, v11, v3
	v_sub_u32_e32 v10, 30, v10
	v_and_b32_e32 v3, 3, v3
	v_cmp_eq_u32_e32 vcc, 0, v9
	v_cndmask_b32_e32 v9, v9, v10, vcc
	v_cndmask_b32_e32 v3, v7, v3, vcc
	v_mov_b32_e32 v7, 0x37800000
	v_lshlrev_b32_e32 v3, 21, v3
	v_and_b32_e32 v2, 0x80000000, v2
	v_lshl_add_u32 v7, v9, 23, v7
	v_or3_b32 v2, v2, v7, v3
	v_cvt_f64_f32_e32 v[2:3], v2
.LBB6_1720:
	s_or_b64 exec, exec, s[20:21]
	s_mov_b64 s[16:17], 0
	s_branch .LBB6_1726
.LBB6_1721:
	s_mov_b64 s[16:17], -1
                                        ; implicit-def: $vgpr2_vgpr3
	s_branch .LBB6_1732
.LBB6_1722:
	s_or_saveexec_b64 s[24:25], s[24:25]
	v_pk_mov_b32 v[2:3], s[22:23], s[22:23] op_sel:[0,1]
	s_xor_b64 exec, exec, s[24:25]
	s_cbranch_execz .LBB6_1706
.LBB6_1723:
	v_cmp_ne_u16_e32 vcc, 0, v7
	s_andn2_b64 s[20:21], s[20:21], exec
	s_and_b64 s[22:23], vcc, exec
	v_pk_mov_b32 v[2:3], 0, 0
	s_or_b64 s[20:21], s[20:21], s[22:23]
	s_or_b64 exec, exec, s[24:25]
	s_and_saveexec_b64 s[22:23], s[20:21]
	s_cbranch_execnz .LBB6_1707
	s_branch .LBB6_1708
.LBB6_1724:
	s_mov_b64 s[16:17], -1
                                        ; implicit-def: $vgpr2_vgpr3
	s_branch .LBB6_1729
.LBB6_1725:
	s_mov_b64 s[16:17], -1
                                        ; implicit-def: $vgpr2_vgpr3
.LBB6_1726:
	s_and_b64 vcc, exec, s[16:17]
	s_cbranch_vccz .LBB6_1728
; %bb.1727:
	global_load_ubyte v2, v[4:5], off
	s_mov_b32 s15, 0x7f800000
	s_waitcnt vmcnt(0)
	v_lshlrev_b32_e32 v2, 24, v2
	v_and_b32_e32 v3, 0x7f000000, v2
	v_ffbh_u32_e32 v7, v3
	v_min_u32_e32 v7, 32, v7
	v_sub_u32_e64 v7, v7, 4 clamp
	v_lshlrev_b32_e32 v10, v7, v3
	v_lshlrev_b32_e32 v7, 23, v7
	v_lshrrev_b32_e32 v10, 4, v10
	v_add_u32_e32 v9, 0x1000000, v3
	v_sub_u32_e32 v7, v10, v7
	v_ashrrev_i32_e32 v9, 8, v9
	v_add_u32_e32 v7, 0x3c000000, v7
	v_and_or_b32 v7, v9, s15, v7
	v_cmp_ne_u32_e32 vcc, 0, v3
	v_cndmask_b32_e32 v3, 0, v7, vcc
	s_brev_b32 s15, 1
	v_and_or_b32 v2, v2, s15, v3
	v_cvt_f64_f32_e32 v[2:3], v2
.LBB6_1728:
	s_mov_b64 s[16:17], 0
.LBB6_1729:
	s_andn2_b64 vcc, exec, s[16:17]
	s_cbranch_vccnz .LBB6_1731
; %bb.1730:
	global_load_ubyte v2, v[4:5], off
	s_movk_i32 s15, 0x7f00
	s_brev_b32 s16, 16
	s_waitcnt vmcnt(0)
	v_lshlrev_b16_e32 v3, 8, v2
	v_lshlrev_b32_e32 v2, 25, v2
	v_lshrrev_b32_e32 v7, 4, v2
	v_and_or_b32 v9, v3, s15, 0.5
	v_or_b32_e32 v7, 0x70000000, v7
	v_add_f32_e32 v9, -0.5, v9
	v_mul_f32_e32 v7, 0x7800000, v7
	v_cmp_gt_u32_e32 vcc, s16, v2
	v_bfe_i32 v3, v3, 0, 16
	v_cndmask_b32_e32 v2, v7, v9, vcc
	s_brev_b32 s15, 1
	v_and_or_b32 v2, v3, s15, v2
	v_cvt_f64_f32_e32 v[2:3], v2
.LBB6_1731:
	s_mov_b64 s[16:17], 0
	s_mov_b64 s[20:21], -1
.LBB6_1732:
	s_andn2_b64 vcc, exec, s[16:17]
	s_mov_b64 s[16:17], 0
	s_cbranch_vccnz .LBB6_1743
; %bb.1733:
	v_mov_b32_e32 v2, 14
	v_cmp_gt_i16_sdwa s[16:17], v20, v2 src0_sel:BYTE_0 src1_sel:DWORD
	s_and_b64 vcc, exec, s[16:17]
	s_cbranch_vccz .LBB6_1736
; %bb.1734:
	v_mov_b32_e32 v2, 15
	v_cmp_eq_u16_sdwa s[0:1], v20, v2 src0_sel:BYTE_0 src1_sel:DWORD
	s_and_b64 vcc, exec, s[0:1]
	s_cbranch_vccz .LBB6_1739
; %bb.1735:
	global_load_ushort v2, v[4:5], off
	s_mov_b64 s[0:1], 0
	s_mov_b64 s[20:21], -1
	s_waitcnt vmcnt(0)
	v_lshlrev_b32_e32 v2, 16, v2
	v_cvt_f64_f32_e32 v[2:3], v2
	s_branch .LBB6_1740
.LBB6_1736:
	s_mov_b64 s[22:23], -1
                                        ; implicit-def: $vgpr2_vgpr3
	s_branch .LBB6_1741
.LBB6_1737:
	s_or_saveexec_b64 s[22:23], s[22:23]
	v_pk_mov_b32 v[2:3], s[20:21], s[20:21] op_sel:[0,1]
	s_xor_b64 exec, exec, s[22:23]
	s_cbranch_execz .LBB6_1718
.LBB6_1738:
	v_cmp_ne_u16_e32 vcc, 0, v7
	s_andn2_b64 s[16:17], s[16:17], exec
	s_and_b64 s[20:21], vcc, exec
	v_pk_mov_b32 v[2:3], 0, 0
	s_or_b64 s[16:17], s[16:17], s[20:21]
	s_or_b64 exec, exec, s[22:23]
	s_and_saveexec_b64 s[20:21], s[16:17]
	s_cbranch_execnz .LBB6_1719
	s_branch .LBB6_1720
.LBB6_1739:
	s_mov_b64 s[0:1], -1
                                        ; implicit-def: $vgpr2_vgpr3
.LBB6_1740:
	s_mov_b64 s[22:23], 0
.LBB6_1741:
	s_mov_b64 s[16:17], 0
	s_and_b64 vcc, exec, s[22:23]
	s_cbranch_vccz .LBB6_1743
; %bb.1742:
	v_mov_b32_e32 v2, 11
	v_cmp_ne_u16_sdwa s[0:1], v20, v2 src0_sel:BYTE_0 src1_sel:DWORD
	s_mov_b64 s[16:17], -1
                                        ; implicit-def: $vgpr2_vgpr3
.LBB6_1743:
	s_and_b64 vcc, exec, s[0:1]
	s_cbranch_vccnz .LBB6_1806
; %bb.1744:
	s_andn2_b64 vcc, exec, s[16:17]
	s_cbranch_vccnz .LBB6_1746
.LBB6_1745:
	global_load_ubyte v3, v[4:5], off
	v_mov_b32_e32 v7, 0x3ff00000
	v_mov_b32_e32 v2, 0
	s_mov_b64 s[20:21], -1
	s_waitcnt vmcnt(0)
	v_cmp_ne_u16_e32 vcc, 0, v3
	v_cndmask_b32_e32 v3, 0, v7, vcc
.LBB6_1746:
	s_branch .LBB6_1673
.LBB6_1747:
	v_mov_b32_e32 v2, 5
	v_cmp_lt_i16_sdwa s[0:1], v20, v2 src0_sel:BYTE_0 src1_sel:DWORD
	s_and_b64 vcc, exec, s[0:1]
	s_cbranch_vccnz .LBB6_1752
; %bb.1748:
	v_mov_b32_e32 v2, 8
	v_cmp_lt_i16_sdwa s[0:1], v20, v2 src0_sel:BYTE_0 src1_sel:DWORD
	s_and_b64 vcc, exec, s[0:1]
	s_cbranch_vccnz .LBB6_1753
; %bb.1749:
	;; [unrolled: 5-line block ×3, first 2 shown]
	v_cmp_gt_i16_sdwa s[0:1], v20, v2 src0_sel:BYTE_0 src1_sel:DWORD
	s_and_b64 vcc, exec, s[0:1]
	s_cbranch_vccz .LBB6_1755
; %bb.1751:
	global_load_dwordx2 v[2:3], v[4:5], off
	s_mov_b64 s[0:1], 0
	s_branch .LBB6_1756
.LBB6_1752:
                                        ; implicit-def: $vgpr2_vgpr3
	s_branch .LBB6_1774
.LBB6_1753:
	s_mov_b64 s[0:1], -1
                                        ; implicit-def: $vgpr2_vgpr3
	s_branch .LBB6_1762
.LBB6_1754:
	s_mov_b64 s[0:1], -1
                                        ; implicit-def: $vgpr2_vgpr3
	s_branch .LBB6_1759
.LBB6_1755:
	s_mov_b64 s[0:1], -1
                                        ; implicit-def: $vgpr2_vgpr3
.LBB6_1756:
	s_andn2_b64 vcc, exec, s[0:1]
	s_cbranch_vccnz .LBB6_1758
; %bb.1757:
	global_load_dword v2, v[4:5], off
	s_waitcnt vmcnt(0)
	v_cvt_f64_f32_e32 v[2:3], v2
.LBB6_1758:
	s_mov_b64 s[0:1], 0
.LBB6_1759:
	s_andn2_b64 vcc, exec, s[0:1]
	s_cbranch_vccnz .LBB6_1761
; %bb.1760:
	global_load_dword v2, v[4:5], off
	s_waitcnt vmcnt(0)
	v_cvt_f32_f16_e32 v2, v2
	v_cvt_f64_f32_e32 v[2:3], v2
.LBB6_1761:
	s_mov_b64 s[0:1], 0
.LBB6_1762:
	s_andn2_b64 vcc, exec, s[0:1]
	s_cbranch_vccnz .LBB6_1773
; %bb.1763:
	s_waitcnt vmcnt(0)
	v_mov_b32_e32 v2, 6
	v_cmp_lt_i16_sdwa s[0:1], v20, v2 src0_sel:BYTE_0 src1_sel:DWORD
	s_and_b64 vcc, exec, s[0:1]
	s_cbranch_vccnz .LBB6_1766
; %bb.1764:
	v_cmp_gt_i16_sdwa s[0:1], v20, v2 src0_sel:BYTE_0 src1_sel:DWORD
	s_and_b64 vcc, exec, s[0:1]
	s_cbranch_vccz .LBB6_1767
; %bb.1765:
	global_load_dwordx2 v[2:3], v[4:5], off
	s_mov_b64 s[0:1], 0
	s_branch .LBB6_1768
.LBB6_1766:
	s_mov_b64 s[0:1], -1
                                        ; implicit-def: $vgpr2_vgpr3
	s_branch .LBB6_1771
.LBB6_1767:
	s_mov_b64 s[0:1], -1
                                        ; implicit-def: $vgpr2_vgpr3
.LBB6_1768:
	s_andn2_b64 vcc, exec, s[0:1]
	s_cbranch_vccnz .LBB6_1770
; %bb.1769:
	global_load_dword v2, v[4:5], off
	s_waitcnt vmcnt(0)
	v_cvt_f64_f32_e32 v[2:3], v2
.LBB6_1770:
	s_mov_b64 s[0:1], 0
.LBB6_1771:
	s_andn2_b64 vcc, exec, s[0:1]
	s_cbranch_vccnz .LBB6_1773
; %bb.1772:
	global_load_ushort v2, v[4:5], off
	s_waitcnt vmcnt(0)
	v_cvt_f32_f16_e32 v2, v2
	v_cvt_f64_f32_e32 v[2:3], v2
.LBB6_1773:
	s_cbranch_execnz .LBB6_1793
.LBB6_1774:
	s_waitcnt vmcnt(0)
	v_mov_b32_e32 v2, 2
	v_cmp_lt_i16_sdwa s[0:1], v20, v2 src0_sel:BYTE_0 src1_sel:DWORD
	s_and_b64 vcc, exec, s[0:1]
	s_cbranch_vccnz .LBB6_1778
; %bb.1775:
	v_mov_b32_e32 v2, 3
	v_cmp_lt_i16_sdwa s[0:1], v20, v2 src0_sel:BYTE_0 src1_sel:DWORD
	s_and_b64 vcc, exec, s[0:1]
	s_cbranch_vccnz .LBB6_1779
; %bb.1776:
	v_cmp_gt_i16_sdwa s[0:1], v20, v2 src0_sel:BYTE_0 src1_sel:DWORD
	s_and_b64 vcc, exec, s[0:1]
	s_cbranch_vccz .LBB6_1780
; %bb.1777:
	global_load_dwordx2 v[2:3], v[4:5], off
	s_mov_b64 s[0:1], 0
	s_waitcnt vmcnt(0)
	v_cvt_f64_i32_e32 v[10:11], v3
	v_cvt_f64_u32_e32 v[2:3], v2
	v_ldexp_f64 v[10:11], v[10:11], 32
	v_add_f64 v[2:3], v[10:11], v[2:3]
	s_branch .LBB6_1781
.LBB6_1778:
	s_mov_b64 s[0:1], -1
                                        ; implicit-def: $vgpr2_vgpr3
	s_branch .LBB6_1787
.LBB6_1779:
	s_mov_b64 s[0:1], -1
                                        ; implicit-def: $vgpr2_vgpr3
	s_branch .LBB6_1784
.LBB6_1780:
	s_mov_b64 s[0:1], -1
                                        ; implicit-def: $vgpr2_vgpr3
.LBB6_1781:
	s_andn2_b64 vcc, exec, s[0:1]
	s_cbranch_vccnz .LBB6_1783
; %bb.1782:
	global_load_dword v2, v[4:5], off
	s_waitcnt vmcnt(0)
	v_cvt_f64_i32_e32 v[2:3], v2
.LBB6_1783:
	s_mov_b64 s[0:1], 0
.LBB6_1784:
	s_andn2_b64 vcc, exec, s[0:1]
	s_cbranch_vccnz .LBB6_1786
; %bb.1785:
	global_load_sshort v2, v[4:5], off
	s_waitcnt vmcnt(0)
	v_cvt_f64_i32_e32 v[2:3], v2
.LBB6_1786:
	s_mov_b64 s[0:1], 0
.LBB6_1787:
	s_andn2_b64 vcc, exec, s[0:1]
	s_cbranch_vccnz .LBB6_1793
; %bb.1788:
	v_mov_b32_e32 v2, 0
	v_cmp_gt_i16_sdwa s[0:1], v20, v2 src0_sel:BYTE_0 src1_sel:DWORD
	s_and_b64 vcc, exec, s[0:1]
	s_cbranch_vccz .LBB6_1790
; %bb.1789:
	global_load_sbyte v2, v[4:5], off
	s_mov_b64 s[0:1], 0
	s_waitcnt vmcnt(0)
	v_cvt_f64_i32_e32 v[2:3], v2
	s_branch .LBB6_1791
.LBB6_1790:
	s_mov_b64 s[0:1], -1
                                        ; implicit-def: $vgpr2_vgpr3
.LBB6_1791:
	s_andn2_b64 vcc, exec, s[0:1]
	s_cbranch_vccnz .LBB6_1793
; %bb.1792:
	global_load_ubyte v2, v[4:5], off
	s_waitcnt vmcnt(0)
	v_cvt_f64_u32_e32 v[2:3], v2
.LBB6_1793:
.LBB6_1794:
	s_lshl_b32 s13, s13, 7
	v_add_u32_e32 v10, s13, v6
	v_ashrrev_i32_e32 v4, 31, v10
	v_mov_b32_e32 v5, s11
	v_add_co_u32_e32 v6, vcc, s10, v10
	v_addc_co_u32_e32 v7, vcc, v5, v4, vcc
	v_mov_b32_e32 v4, 11
	v_cmp_lt_i16_sdwa s[0:1], v16, v4 src0_sel:BYTE_0 src1_sel:DWORD
	s_and_b64 vcc, exec, s[0:1]
	s_cbranch_vccnz .LBB6_1801
; %bb.1795:
	v_mov_b32_e32 v4, 25
	v_cmp_gt_i16_sdwa s[0:1], v16, v4 src0_sel:BYTE_0 src1_sel:DWORD
	s_mov_b64 s[16:17], 0
	s_and_b64 vcc, exec, s[0:1]
	s_cbranch_vccz .LBB6_1803
; %bb.1796:
	v_mov_b32_e32 v4, 28
	v_cmp_gt_i16_sdwa s[0:1], v16, v4 src0_sel:BYTE_0 src1_sel:DWORD
	s_and_b64 vcc, exec, s[0:1]
	s_cbranch_vccz .LBB6_1804
; %bb.1797:
	v_mov_b32_e32 v4, 43
	v_cmp_gt_i16_sdwa s[0:1], v16, v4 src0_sel:BYTE_0 src1_sel:DWORD
	;; [unrolled: 5-line block ×3, first 2 shown]
	s_and_b64 vcc, exec, s[0:1]
	s_cbranch_vccz .LBB6_1807
; %bb.1799:
	v_mov_b32_e32 v4, 46
	v_cmp_eq_u16_sdwa s[0:1], v16, v4 src0_sel:BYTE_0 src1_sel:DWORD
	s_mov_b64 s[22:23], 0
	s_and_b64 vcc, exec, s[0:1]
	s_cbranch_vccz .LBB6_1808
; %bb.1800:
	global_load_dword v4, v[6:7], off
	s_mov_b64 s[0:1], 0
	s_mov_b64 s[20:21], -1
	s_waitcnt vmcnt(0)
	v_lshlrev_b32_e32 v4, 16, v4
	v_cvt_f64_f32_e32 v[4:5], v4
	s_branch .LBB6_1809
.LBB6_1801:
	s_mov_b64 s[20:21], 0
                                        ; implicit-def: $vgpr4_vgpr5
	s_cbranch_execnz .LBB6_1875
.LBB6_1802:
	s_andn2_b64 vcc, exec, s[20:21]
	s_cbranch_vccz .LBB6_1923
	s_branch .LBB6_2869
.LBB6_1803:
	s_mov_b64 s[22:23], -1
	s_mov_b64 s[20:21], 0
	s_mov_b64 s[0:1], 0
                                        ; implicit-def: $vgpr4_vgpr5
	s_branch .LBB6_1838
.LBB6_1804:
	s_mov_b64 s[22:23], -1
	s_mov_b64 s[20:21], 0
	s_mov_b64 s[0:1], 0
                                        ; implicit-def: $vgpr4_vgpr5
	s_branch .LBB6_1819
.LBB6_1805:
	s_mov_b64 s[22:23], -1
	s_mov_b64 s[20:21], 0
	s_mov_b64 s[0:1], 0
                                        ; implicit-def: $vgpr4_vgpr5
	s_branch .LBB6_1814
.LBB6_1806:
	s_trap 2
	s_or_b64 s[18:19], s[18:19], exec
                                        ; implicit-def: $vgpr2_vgpr3
	s_cbranch_execz .LBB6_1745
	s_branch .LBB6_1746
.LBB6_1807:
	s_mov_b64 s[22:23], -1
	s_mov_b64 s[20:21], 0
	s_mov_b64 s[0:1], 0
                                        ; implicit-def: $vgpr4_vgpr5
	s_branch .LBB6_1809
.LBB6_1808:
	s_mov_b64 s[0:1], -1
                                        ; implicit-def: $vgpr4_vgpr5
	s_mov_b64 s[20:21], 0
.LBB6_1809:
	s_and_b64 vcc, exec, s[22:23]
	s_cbranch_vccz .LBB6_1813
; %bb.1810:
	v_mov_b32_e32 v4, 44
	v_cmp_eq_u16_sdwa s[0:1], v16, v4 src0_sel:BYTE_0 src1_sel:DWORD
	s_and_b64 vcc, exec, s[0:1]
	s_cbranch_vccz .LBB6_1812
; %bb.1811:
	global_load_ubyte v9, v[6:7], off
	s_movk_i32 s15, 0xff
	v_bfrev_b32_e32 v11, 4
	v_mov_b32_e32 v12, 0x7ff80000
	v_bfrev_b32_e32 v13, 28
	s_mov_b64 s[0:1], 0
	s_mov_b64 s[20:21], -1
	s_waitcnt vmcnt(0)
	v_lshlrev_b32_e32 v4, 23, v9
	v_cvt_f64_f32_e32 v[4:5], v4
	v_cmp_ne_u32_e32 vcc, s15, v9
	v_cndmask_b32_e32 v4, v11, v4, vcc
	v_cndmask_b32_e32 v5, v12, v5, vcc
	v_cmp_ne_u32_e32 vcc, 0, v9
	v_cndmask_b32_e32 v5, v13, v5, vcc
	v_cndmask_b32_e32 v4, 0, v4, vcc
	s_branch .LBB6_1813
.LBB6_1812:
	s_mov_b64 s[0:1], -1
                                        ; implicit-def: $vgpr4_vgpr5
.LBB6_1813:
	s_mov_b64 s[22:23], 0
.LBB6_1814:
	s_and_b64 vcc, exec, s[22:23]
	s_cbranch_vccz .LBB6_1818
; %bb.1815:
	v_mov_b32_e32 v4, 29
	v_cmp_eq_u16_sdwa s[0:1], v16, v4 src0_sel:BYTE_0 src1_sel:DWORD
	s_and_b64 vcc, exec, s[0:1]
	s_cbranch_vccz .LBB6_1817
; %bb.1816:
	global_load_dwordx2 v[4:5], v[6:7], off
	s_mov_b64 s[0:1], 0
	s_mov_b64 s[20:21], -1
	s_mov_b64 s[22:23], 0
	s_waitcnt vmcnt(0)
	v_cvt_f64_u32_e32 v[12:13], v5
	v_cvt_f64_u32_e32 v[4:5], v4
	v_ldexp_f64 v[12:13], v[12:13], 32
	v_add_f64 v[4:5], v[12:13], v[4:5]
	s_branch .LBB6_1819
.LBB6_1817:
	s_mov_b64 s[0:1], -1
                                        ; implicit-def: $vgpr4_vgpr5
.LBB6_1818:
	s_mov_b64 s[22:23], 0
.LBB6_1819:
	s_and_b64 vcc, exec, s[22:23]
	s_cbranch_vccz .LBB6_1837
; %bb.1820:
	v_mov_b32_e32 v4, 27
	v_cmp_lt_i16_sdwa s[20:21], v16, v4 src0_sel:BYTE_0 src1_sel:DWORD
	s_and_b64 vcc, exec, s[20:21]
	s_cbranch_vccnz .LBB6_1823
; %bb.1821:
	v_cmp_gt_i16_sdwa s[20:21], v16, v4 src0_sel:BYTE_0 src1_sel:DWORD
	s_and_b64 vcc, exec, s[20:21]
	s_cbranch_vccz .LBB6_1824
; %bb.1822:
	global_load_dword v4, v[6:7], off
	s_mov_b64 s[20:21], 0
	s_waitcnt vmcnt(0)
	v_cvt_f64_u32_e32 v[4:5], v4
	s_branch .LBB6_1825
.LBB6_1823:
	s_mov_b64 s[20:21], -1
                                        ; implicit-def: $vgpr4_vgpr5
	s_branch .LBB6_1828
.LBB6_1824:
	s_mov_b64 s[20:21], -1
                                        ; implicit-def: $vgpr4_vgpr5
.LBB6_1825:
	s_andn2_b64 vcc, exec, s[20:21]
	s_cbranch_vccnz .LBB6_1827
; %bb.1826:
	global_load_ushort v4, v[6:7], off
	s_waitcnt vmcnt(0)
	v_cvt_f64_u32_e32 v[4:5], v4
.LBB6_1827:
	s_mov_b64 s[20:21], 0
.LBB6_1828:
	s_andn2_b64 vcc, exec, s[20:21]
	s_cbranch_vccnz .LBB6_1836
; %bb.1829:
	global_load_ubyte v9, v[6:7], off
	s_movk_i32 s15, 0x7f
	s_mov_b64 s[20:21], 0
                                        ; implicit-def: $sgpr22_sgpr23
	s_waitcnt vmcnt(0)
	v_cmp_lt_i16_e32 vcc, s15, v9
	s_and_saveexec_b64 s[24:25], vcc
	s_xor_b64 s[24:25], exec, s[24:25]
	s_cbranch_execz .LBB6_1850
; %bb.1830:
	s_movk_i32 s15, 0x80
	v_cmp_eq_u16_e32 vcc, s15, v9
	s_mov_b64 s[26:27], -1
                                        ; implicit-def: $sgpr22_sgpr23
	s_and_saveexec_b64 s[20:21], vcc
; %bb.1831:
	s_mov_b32 s23, 0x7ff80000
	s_brev_b32 s22, 4
	s_xor_b64 s[26:27], exec, -1
; %bb.1832:
	s_or_b64 exec, exec, s[20:21]
	s_and_b64 s[20:21], s[26:27], exec
	s_or_saveexec_b64 s[24:25], s[24:25]
	v_pk_mov_b32 v[4:5], s[22:23], s[22:23] op_sel:[0,1]
	s_xor_b64 exec, exec, s[24:25]
	s_cbranch_execnz .LBB6_1851
.LBB6_1833:
	s_or_b64 exec, exec, s[24:25]
	s_and_saveexec_b64 s[22:23], s[20:21]
	s_cbranch_execz .LBB6_1835
.LBB6_1834:
	v_and_b32_e32 v5, 0xffff, v9
	v_lshlrev_b32_e32 v4, 24, v9
	v_and_b32_e32 v9, 7, v5
	v_ffbh_u32_e32 v12, v9
	v_min_u32_e32 v12, 32, v12
	v_subrev_u32_e32 v13, 28, v12
	v_bfe_u32 v11, v5, 3, 4
	v_lshlrev_b32_e32 v5, v13, v5
	v_sub_u32_e32 v12, 29, v12
	v_and_b32_e32 v5, 7, v5
	v_cmp_eq_u32_e32 vcc, 0, v11
	v_cndmask_b32_e32 v11, v11, v12, vcc
	v_cndmask_b32_e32 v5, v9, v5, vcc
	v_mov_b32_e32 v9, 0x3b800000
	v_lshlrev_b32_e32 v5, 20, v5
	v_and_b32_e32 v4, 0x80000000, v4
	v_lshl_add_u32 v9, v11, 23, v9
	v_or3_b32 v4, v4, v9, v5
	v_cvt_f64_f32_e32 v[4:5], v4
.LBB6_1835:
	s_or_b64 exec, exec, s[22:23]
.LBB6_1836:
	s_mov_b64 s[20:21], -1
.LBB6_1837:
	s_mov_b64 s[22:23], 0
.LBB6_1838:
	s_and_b64 vcc, exec, s[22:23]
	s_cbranch_vccz .LBB6_1871
; %bb.1839:
	v_mov_b32_e32 v4, 22
	v_cmp_gt_i16_sdwa s[16:17], v16, v4 src0_sel:BYTE_0 src1_sel:DWORD
	s_and_b64 vcc, exec, s[16:17]
	s_cbranch_vccz .LBB6_1849
; %bb.1840:
	v_mov_b32_e32 v4, 24
	v_cmp_lt_i16_sdwa s[16:17], v16, v4 src0_sel:BYTE_0 src1_sel:DWORD
	s_and_b64 vcc, exec, s[16:17]
	s_cbranch_vccnz .LBB6_1852
; %bb.1841:
	v_cmp_gt_i16_sdwa s[16:17], v16, v4 src0_sel:BYTE_0 src1_sel:DWORD
	s_and_b64 vcc, exec, s[16:17]
	s_cbranch_vccz .LBB6_1853
; %bb.1842:
	global_load_ubyte v9, v[6:7], off
	s_movk_i32 s15, 0x7f
	s_mov_b64 s[16:17], 0
                                        ; implicit-def: $sgpr20_sgpr21
	s_waitcnt vmcnt(0)
	v_cmp_lt_i16_e32 vcc, s15, v9
	s_and_saveexec_b64 s[22:23], vcc
	s_xor_b64 s[22:23], exec, s[22:23]
	s_cbranch_execz .LBB6_1865
; %bb.1843:
	s_movk_i32 s15, 0x80
	v_cmp_eq_u16_e32 vcc, s15, v9
	s_mov_b64 s[24:25], -1
                                        ; implicit-def: $sgpr20_sgpr21
	s_and_saveexec_b64 s[16:17], vcc
; %bb.1844:
	s_mov_b32 s21, 0x7ff80000
	s_brev_b32 s20, 4
	s_xor_b64 s[24:25], exec, -1
; %bb.1845:
	s_or_b64 exec, exec, s[16:17]
	s_and_b64 s[16:17], s[24:25], exec
	s_or_saveexec_b64 s[22:23], s[22:23]
	v_pk_mov_b32 v[4:5], s[20:21], s[20:21] op_sel:[0,1]
	s_xor_b64 exec, exec, s[22:23]
	s_cbranch_execnz .LBB6_1866
.LBB6_1846:
	s_or_b64 exec, exec, s[22:23]
	s_and_saveexec_b64 s[20:21], s[16:17]
	s_cbranch_execz .LBB6_1848
.LBB6_1847:
	v_and_b32_e32 v5, 0xffff, v9
	v_lshlrev_b32_e32 v4, 24, v9
	v_and_b32_e32 v9, 3, v5
	v_ffbh_u32_e32 v12, v9
	v_min_u32_e32 v12, 32, v12
	v_subrev_u32_e32 v13, 29, v12
	v_bfe_u32 v11, v5, 2, 5
	v_lshlrev_b32_e32 v5, v13, v5
	v_sub_u32_e32 v12, 30, v12
	v_and_b32_e32 v5, 3, v5
	v_cmp_eq_u32_e32 vcc, 0, v11
	v_cndmask_b32_e32 v11, v11, v12, vcc
	v_cndmask_b32_e32 v5, v9, v5, vcc
	v_mov_b32_e32 v9, 0x37800000
	v_lshlrev_b32_e32 v5, 21, v5
	v_and_b32_e32 v4, 0x80000000, v4
	v_lshl_add_u32 v9, v11, 23, v9
	v_or3_b32 v4, v4, v9, v5
	v_cvt_f64_f32_e32 v[4:5], v4
.LBB6_1848:
	s_or_b64 exec, exec, s[20:21]
	s_mov_b64 s[16:17], 0
	s_branch .LBB6_1854
.LBB6_1849:
	s_mov_b64 s[16:17], -1
                                        ; implicit-def: $vgpr4_vgpr5
	s_branch .LBB6_1860
.LBB6_1850:
	s_or_saveexec_b64 s[24:25], s[24:25]
	v_pk_mov_b32 v[4:5], s[22:23], s[22:23] op_sel:[0,1]
	s_xor_b64 exec, exec, s[24:25]
	s_cbranch_execz .LBB6_1833
.LBB6_1851:
	v_cmp_ne_u16_e32 vcc, 0, v9
	s_andn2_b64 s[20:21], s[20:21], exec
	s_and_b64 s[22:23], vcc, exec
	v_pk_mov_b32 v[4:5], 0, 0
	s_or_b64 s[20:21], s[20:21], s[22:23]
	s_or_b64 exec, exec, s[24:25]
	s_and_saveexec_b64 s[22:23], s[20:21]
	s_cbranch_execnz .LBB6_1834
	s_branch .LBB6_1835
.LBB6_1852:
	s_mov_b64 s[16:17], -1
                                        ; implicit-def: $vgpr4_vgpr5
	s_branch .LBB6_1857
.LBB6_1853:
	s_mov_b64 s[16:17], -1
                                        ; implicit-def: $vgpr4_vgpr5
.LBB6_1854:
	s_and_b64 vcc, exec, s[16:17]
	s_cbranch_vccz .LBB6_1856
; %bb.1855:
	global_load_ubyte v4, v[6:7], off
	s_mov_b32 s15, 0x7f800000
	s_waitcnt vmcnt(0)
	v_lshlrev_b32_e32 v4, 24, v4
	v_and_b32_e32 v5, 0x7f000000, v4
	v_ffbh_u32_e32 v9, v5
	v_min_u32_e32 v9, 32, v9
	v_sub_u32_e64 v9, v9, 4 clamp
	v_lshlrev_b32_e32 v12, v9, v5
	v_lshlrev_b32_e32 v9, 23, v9
	v_lshrrev_b32_e32 v12, 4, v12
	v_add_u32_e32 v11, 0x1000000, v5
	v_sub_u32_e32 v9, v12, v9
	v_ashrrev_i32_e32 v11, 8, v11
	v_add_u32_e32 v9, 0x3c000000, v9
	v_and_or_b32 v9, v11, s15, v9
	v_cmp_ne_u32_e32 vcc, 0, v5
	v_cndmask_b32_e32 v5, 0, v9, vcc
	s_brev_b32 s15, 1
	v_and_or_b32 v4, v4, s15, v5
	v_cvt_f64_f32_e32 v[4:5], v4
.LBB6_1856:
	s_mov_b64 s[16:17], 0
.LBB6_1857:
	s_andn2_b64 vcc, exec, s[16:17]
	s_cbranch_vccnz .LBB6_1859
; %bb.1858:
	global_load_ubyte v4, v[6:7], off
	s_movk_i32 s15, 0x7f00
	s_brev_b32 s16, 16
	s_waitcnt vmcnt(0)
	v_lshlrev_b16_e32 v5, 8, v4
	v_lshlrev_b32_e32 v4, 25, v4
	v_lshrrev_b32_e32 v9, 4, v4
	v_and_or_b32 v11, v5, s15, 0.5
	v_or_b32_e32 v9, 0x70000000, v9
	v_add_f32_e32 v11, -0.5, v11
	v_mul_f32_e32 v9, 0x7800000, v9
	v_cmp_gt_u32_e32 vcc, s16, v4
	v_bfe_i32 v5, v5, 0, 16
	v_cndmask_b32_e32 v4, v9, v11, vcc
	s_brev_b32 s15, 1
	v_and_or_b32 v4, v5, s15, v4
	v_cvt_f64_f32_e32 v[4:5], v4
.LBB6_1859:
	s_mov_b64 s[16:17], 0
	s_mov_b64 s[20:21], -1
.LBB6_1860:
	s_andn2_b64 vcc, exec, s[16:17]
	s_mov_b64 s[16:17], 0
	s_cbranch_vccnz .LBB6_1871
; %bb.1861:
	v_mov_b32_e32 v4, 14
	v_cmp_gt_i16_sdwa s[16:17], v16, v4 src0_sel:BYTE_0 src1_sel:DWORD
	s_and_b64 vcc, exec, s[16:17]
	s_cbranch_vccz .LBB6_1864
; %bb.1862:
	v_mov_b32_e32 v4, 15
	v_cmp_eq_u16_sdwa s[0:1], v16, v4 src0_sel:BYTE_0 src1_sel:DWORD
	s_and_b64 vcc, exec, s[0:1]
	s_cbranch_vccz .LBB6_1867
; %bb.1863:
	global_load_ushort v4, v[6:7], off
	s_mov_b64 s[0:1], 0
	s_mov_b64 s[20:21], -1
	s_waitcnt vmcnt(0)
	v_lshlrev_b32_e32 v4, 16, v4
	v_cvt_f64_f32_e32 v[4:5], v4
	s_branch .LBB6_1868
.LBB6_1864:
	s_mov_b64 s[22:23], -1
                                        ; implicit-def: $vgpr4_vgpr5
	s_branch .LBB6_1869
.LBB6_1865:
	s_or_saveexec_b64 s[22:23], s[22:23]
	v_pk_mov_b32 v[4:5], s[20:21], s[20:21] op_sel:[0,1]
	s_xor_b64 exec, exec, s[22:23]
	s_cbranch_execz .LBB6_1846
.LBB6_1866:
	v_cmp_ne_u16_e32 vcc, 0, v9
	s_andn2_b64 s[16:17], s[16:17], exec
	s_and_b64 s[20:21], vcc, exec
	v_pk_mov_b32 v[4:5], 0, 0
	s_or_b64 s[16:17], s[16:17], s[20:21]
	s_or_b64 exec, exec, s[22:23]
	s_and_saveexec_b64 s[20:21], s[16:17]
	s_cbranch_execnz .LBB6_1847
	s_branch .LBB6_1848
.LBB6_1867:
	s_mov_b64 s[0:1], -1
                                        ; implicit-def: $vgpr4_vgpr5
.LBB6_1868:
	s_mov_b64 s[22:23], 0
.LBB6_1869:
	s_mov_b64 s[16:17], 0
	s_and_b64 vcc, exec, s[22:23]
	s_cbranch_vccz .LBB6_1871
; %bb.1870:
	v_mov_b32_e32 v4, 11
	v_cmp_ne_u16_sdwa s[0:1], v16, v4 src0_sel:BYTE_0 src1_sel:DWORD
	s_mov_b64 s[16:17], -1
                                        ; implicit-def: $vgpr4_vgpr5
.LBB6_1871:
	s_and_b64 vcc, exec, s[0:1]
	s_cbranch_vccnz .LBB6_1934
; %bb.1872:
	s_andn2_b64 vcc, exec, s[16:17]
	s_cbranch_vccnz .LBB6_1874
.LBB6_1873:
	global_load_ubyte v5, v[6:7], off
	v_mov_b32_e32 v9, 0x3ff00000
	v_mov_b32_e32 v4, 0
	s_mov_b64 s[20:21], -1
	s_waitcnt vmcnt(0)
	v_cmp_ne_u16_e32 vcc, 0, v5
	v_cndmask_b32_e32 v5, 0, v9, vcc
.LBB6_1874:
	s_branch .LBB6_1802
.LBB6_1875:
	v_mov_b32_e32 v4, 5
	v_cmp_lt_i16_sdwa s[0:1], v16, v4 src0_sel:BYTE_0 src1_sel:DWORD
	s_and_b64 vcc, exec, s[0:1]
	s_cbranch_vccnz .LBB6_1880
; %bb.1876:
	v_mov_b32_e32 v4, 8
	v_cmp_lt_i16_sdwa s[0:1], v16, v4 src0_sel:BYTE_0 src1_sel:DWORD
	s_and_b64 vcc, exec, s[0:1]
	s_cbranch_vccnz .LBB6_1881
; %bb.1877:
	;; [unrolled: 5-line block ×3, first 2 shown]
	v_cmp_gt_i16_sdwa s[0:1], v16, v4 src0_sel:BYTE_0 src1_sel:DWORD
	s_and_b64 vcc, exec, s[0:1]
	s_cbranch_vccz .LBB6_1883
; %bb.1879:
	global_load_dwordx2 v[4:5], v[6:7], off
	s_mov_b64 s[0:1], 0
	s_branch .LBB6_1884
.LBB6_1880:
	s_mov_b64 s[0:1], -1
                                        ; implicit-def: $vgpr4_vgpr5
	s_branch .LBB6_1902
.LBB6_1881:
	s_mov_b64 s[0:1], -1
                                        ; implicit-def: $vgpr4_vgpr5
	s_branch .LBB6_1890
.LBB6_1882:
	s_mov_b64 s[0:1], -1
                                        ; implicit-def: $vgpr4_vgpr5
	s_branch .LBB6_1887
.LBB6_1883:
	s_mov_b64 s[0:1], -1
                                        ; implicit-def: $vgpr4_vgpr5
.LBB6_1884:
	s_andn2_b64 vcc, exec, s[0:1]
	s_cbranch_vccnz .LBB6_1886
; %bb.1885:
	global_load_dword v4, v[6:7], off
	s_waitcnt vmcnt(0)
	v_cvt_f64_f32_e32 v[4:5], v4
.LBB6_1886:
	s_mov_b64 s[0:1], 0
.LBB6_1887:
	s_andn2_b64 vcc, exec, s[0:1]
	s_cbranch_vccnz .LBB6_1889
; %bb.1888:
	global_load_dword v4, v[6:7], off
	s_waitcnt vmcnt(0)
	v_cvt_f32_f16_e32 v4, v4
	v_cvt_f64_f32_e32 v[4:5], v4
.LBB6_1889:
	s_mov_b64 s[0:1], 0
.LBB6_1890:
	s_andn2_b64 vcc, exec, s[0:1]
	s_cbranch_vccnz .LBB6_1901
; %bb.1891:
	s_waitcnt vmcnt(0)
	v_mov_b32_e32 v4, 6
	v_cmp_lt_i16_sdwa s[0:1], v16, v4 src0_sel:BYTE_0 src1_sel:DWORD
	s_and_b64 vcc, exec, s[0:1]
	s_cbranch_vccnz .LBB6_1894
; %bb.1892:
	v_cmp_gt_i16_sdwa s[0:1], v16, v4 src0_sel:BYTE_0 src1_sel:DWORD
	s_and_b64 vcc, exec, s[0:1]
	s_cbranch_vccz .LBB6_1895
; %bb.1893:
	global_load_dwordx2 v[4:5], v[6:7], off
	s_mov_b64 s[0:1], 0
	s_branch .LBB6_1896
.LBB6_1894:
	s_mov_b64 s[0:1], -1
                                        ; implicit-def: $vgpr4_vgpr5
	s_branch .LBB6_1899
.LBB6_1895:
	s_mov_b64 s[0:1], -1
                                        ; implicit-def: $vgpr4_vgpr5
.LBB6_1896:
	s_andn2_b64 vcc, exec, s[0:1]
	s_cbranch_vccnz .LBB6_1898
; %bb.1897:
	global_load_dword v4, v[6:7], off
	s_waitcnt vmcnt(0)
	v_cvt_f64_f32_e32 v[4:5], v4
.LBB6_1898:
	s_mov_b64 s[0:1], 0
.LBB6_1899:
	s_andn2_b64 vcc, exec, s[0:1]
	s_cbranch_vccnz .LBB6_1901
; %bb.1900:
	global_load_ushort v4, v[6:7], off
	s_waitcnt vmcnt(0)
	v_cvt_f32_f16_e32 v4, v4
	v_cvt_f64_f32_e32 v[4:5], v4
.LBB6_1901:
	s_mov_b64 s[0:1], 0
.LBB6_1902:
	s_andn2_b64 vcc, exec, s[0:1]
	s_cbranch_vccnz .LBB6_1922
; %bb.1903:
	s_waitcnt vmcnt(0)
	v_mov_b32_e32 v4, 2
	v_cmp_lt_i16_sdwa s[0:1], v16, v4 src0_sel:BYTE_0 src1_sel:DWORD
	s_and_b64 vcc, exec, s[0:1]
	s_cbranch_vccnz .LBB6_1907
; %bb.1904:
	v_mov_b32_e32 v4, 3
	v_cmp_lt_i16_sdwa s[0:1], v16, v4 src0_sel:BYTE_0 src1_sel:DWORD
	s_and_b64 vcc, exec, s[0:1]
	s_cbranch_vccnz .LBB6_1908
; %bb.1905:
	v_cmp_gt_i16_sdwa s[0:1], v16, v4 src0_sel:BYTE_0 src1_sel:DWORD
	s_and_b64 vcc, exec, s[0:1]
	s_cbranch_vccz .LBB6_1909
; %bb.1906:
	global_load_dwordx2 v[4:5], v[6:7], off
	s_mov_b64 s[0:1], 0
	s_waitcnt vmcnt(0)
	v_cvt_f64_i32_e32 v[12:13], v5
	v_cvt_f64_u32_e32 v[4:5], v4
	v_ldexp_f64 v[12:13], v[12:13], 32
	v_add_f64 v[4:5], v[12:13], v[4:5]
	s_branch .LBB6_1910
.LBB6_1907:
	s_mov_b64 s[0:1], -1
                                        ; implicit-def: $vgpr4_vgpr5
	s_branch .LBB6_1916
.LBB6_1908:
	s_mov_b64 s[0:1], -1
                                        ; implicit-def: $vgpr4_vgpr5
	s_branch .LBB6_1913
.LBB6_1909:
	s_mov_b64 s[0:1], -1
                                        ; implicit-def: $vgpr4_vgpr5
.LBB6_1910:
	s_andn2_b64 vcc, exec, s[0:1]
	s_cbranch_vccnz .LBB6_1912
; %bb.1911:
	global_load_dword v4, v[6:7], off
	s_waitcnt vmcnt(0)
	v_cvt_f64_i32_e32 v[4:5], v4
.LBB6_1912:
	s_mov_b64 s[0:1], 0
.LBB6_1913:
	s_andn2_b64 vcc, exec, s[0:1]
	s_cbranch_vccnz .LBB6_1915
; %bb.1914:
	global_load_sshort v4, v[6:7], off
	s_waitcnt vmcnt(0)
	v_cvt_f64_i32_e32 v[4:5], v4
.LBB6_1915:
	s_mov_b64 s[0:1], 0
.LBB6_1916:
	s_andn2_b64 vcc, exec, s[0:1]
	s_cbranch_vccnz .LBB6_1922
; %bb.1917:
	v_mov_b32_e32 v4, 0
	v_cmp_gt_i16_sdwa s[0:1], v16, v4 src0_sel:BYTE_0 src1_sel:DWORD
	s_and_b64 vcc, exec, s[0:1]
	s_cbranch_vccz .LBB6_1919
; %bb.1918:
	global_load_sbyte v4, v[6:7], off
	s_mov_b64 s[0:1], 0
	s_waitcnt vmcnt(0)
	v_cvt_f64_i32_e32 v[4:5], v4
	s_branch .LBB6_1920
.LBB6_1919:
	s_mov_b64 s[0:1], -1
                                        ; implicit-def: $vgpr4_vgpr5
.LBB6_1920:
	s_andn2_b64 vcc, exec, s[0:1]
	s_cbranch_vccnz .LBB6_1922
; %bb.1921:
	global_load_ubyte v4, v[6:7], off
	s_waitcnt vmcnt(0)
	v_cvt_f64_u32_e32 v[4:5], v4
.LBB6_1922:
.LBB6_1923:
	s_lshl_b32 s26, s14, 7
	v_add_u32_e32 v12, s26, v8
	v_ashrrev_i32_e32 v6, 31, v12
	v_mov_b32_e32 v7, s3
	v_add_co_u32_e32 v8, vcc, s2, v12
	v_addc_co_u32_e32 v9, vcc, v7, v6, vcc
	v_mov_b32_e32 v6, 11
	v_cmp_lt_i16_sdwa s[0:1], v20, v6 src0_sel:BYTE_0 src1_sel:DWORD
	s_and_b64 vcc, exec, s[0:1]
	s_cbranch_vccnz .LBB6_1930
; %bb.1924:
	v_mov_b32_e32 v6, 25
	v_cmp_gt_i16_sdwa s[0:1], v20, v6 src0_sel:BYTE_0 src1_sel:DWORD
	s_mov_b64 s[14:15], 0
	s_and_b64 vcc, exec, s[0:1]
	s_cbranch_vccz .LBB6_1931
; %bb.1925:
	v_mov_b32_e32 v6, 28
	v_cmp_gt_i16_sdwa s[0:1], v20, v6 src0_sel:BYTE_0 src1_sel:DWORD
	s_and_b64 vcc, exec, s[0:1]
	s_cbranch_vccz .LBB6_1932
; %bb.1926:
	v_mov_b32_e32 v6, 43
	v_cmp_gt_i16_sdwa s[0:1], v20, v6 src0_sel:BYTE_0 src1_sel:DWORD
	;; [unrolled: 5-line block ×3, first 2 shown]
	s_and_b64 vcc, exec, s[0:1]
	s_cbranch_vccz .LBB6_1935
; %bb.1928:
	v_mov_b32_e32 v6, 46
	v_cmp_eq_u16_sdwa s[0:1], v20, v6 src0_sel:BYTE_0 src1_sel:DWORD
	s_mov_b64 s[20:21], 0
	s_and_b64 vcc, exec, s[0:1]
	s_cbranch_vccz .LBB6_1936
; %bb.1929:
	global_load_dword v6, v[8:9], off
	s_mov_b64 s[0:1], 0
	s_mov_b64 s[16:17], -1
	s_waitcnt vmcnt(0)
	v_lshlrev_b32_e32 v6, 16, v6
	v_cvt_f64_f32_e32 v[6:7], v6
	s_branch .LBB6_1937
.LBB6_1930:
	s_mov_b64 s[0:1], -1
	s_mov_b64 s[16:17], 0
                                        ; implicit-def: $vgpr6_vgpr7
	s_branch .LBB6_2003
.LBB6_1931:
	s_mov_b64 s[20:21], -1
	s_mov_b64 s[16:17], 0
	s_mov_b64 s[0:1], 0
                                        ; implicit-def: $vgpr6_vgpr7
	s_branch .LBB6_1966
.LBB6_1932:
	s_mov_b64 s[20:21], -1
	s_mov_b64 s[16:17], 0
	s_mov_b64 s[0:1], 0
                                        ; implicit-def: $vgpr6_vgpr7
	s_branch .LBB6_1947
.LBB6_1933:
	s_mov_b64 s[20:21], -1
	s_mov_b64 s[16:17], 0
	s_mov_b64 s[0:1], 0
                                        ; implicit-def: $vgpr6_vgpr7
	s_branch .LBB6_1942
.LBB6_1934:
	s_trap 2
	s_or_b64 s[18:19], s[18:19], exec
                                        ; implicit-def: $vgpr4_vgpr5
	s_cbranch_execz .LBB6_1873
	s_branch .LBB6_1874
.LBB6_1935:
	s_mov_b64 s[20:21], -1
	s_mov_b64 s[16:17], 0
	s_mov_b64 s[0:1], 0
                                        ; implicit-def: $vgpr6_vgpr7
	s_branch .LBB6_1937
.LBB6_1936:
	s_mov_b64 s[0:1], -1
                                        ; implicit-def: $vgpr6_vgpr7
	s_mov_b64 s[16:17], 0
.LBB6_1937:
	s_and_b64 vcc, exec, s[20:21]
	s_cbranch_vccz .LBB6_1941
; %bb.1938:
	v_mov_b32_e32 v6, 44
	v_cmp_eq_u16_sdwa s[0:1], v20, v6 src0_sel:BYTE_0 src1_sel:DWORD
	s_and_b64 vcc, exec, s[0:1]
	s_cbranch_vccz .LBB6_1940
; %bb.1939:
	global_load_ubyte v11, v[8:9], off
	s_movk_i32 s16, 0xff
	v_bfrev_b32_e32 v13, 4
	v_mov_b32_e32 v14, 0x7ff80000
	v_bfrev_b32_e32 v15, 28
	s_mov_b64 s[0:1], 0
	s_waitcnt vmcnt(0)
	v_lshlrev_b32_e32 v6, 23, v11
	v_cvt_f64_f32_e32 v[6:7], v6
	v_cmp_ne_u32_e32 vcc, s16, v11
	v_cndmask_b32_e32 v6, v13, v6, vcc
	v_cndmask_b32_e32 v7, v14, v7, vcc
	v_cmp_ne_u32_e32 vcc, 0, v11
	v_cndmask_b32_e32 v7, v15, v7, vcc
	v_cndmask_b32_e32 v6, 0, v6, vcc
	s_mov_b64 s[16:17], -1
	s_branch .LBB6_1941
.LBB6_1940:
	s_mov_b64 s[0:1], -1
                                        ; implicit-def: $vgpr6_vgpr7
.LBB6_1941:
	s_mov_b64 s[20:21], 0
.LBB6_1942:
	s_and_b64 vcc, exec, s[20:21]
	s_cbranch_vccz .LBB6_1946
; %bb.1943:
	v_mov_b32_e32 v6, 29
	v_cmp_eq_u16_sdwa s[0:1], v20, v6 src0_sel:BYTE_0 src1_sel:DWORD
	s_and_b64 vcc, exec, s[0:1]
	s_cbranch_vccz .LBB6_1945
; %bb.1944:
	global_load_dwordx2 v[6:7], v[8:9], off
	s_mov_b64 s[0:1], 0
	s_mov_b64 s[16:17], -1
	s_mov_b64 s[20:21], 0
	s_waitcnt vmcnt(0)
	v_cvt_f64_u32_e32 v[14:15], v7
	v_cvt_f64_u32_e32 v[6:7], v6
	v_ldexp_f64 v[14:15], v[14:15], 32
	v_add_f64 v[6:7], v[14:15], v[6:7]
	s_branch .LBB6_1947
.LBB6_1945:
	s_mov_b64 s[0:1], -1
                                        ; implicit-def: $vgpr6_vgpr7
.LBB6_1946:
	s_mov_b64 s[20:21], 0
.LBB6_1947:
	s_and_b64 vcc, exec, s[20:21]
	s_cbranch_vccz .LBB6_1965
; %bb.1948:
	v_mov_b32_e32 v6, 27
	v_cmp_lt_i16_sdwa s[16:17], v20, v6 src0_sel:BYTE_0 src1_sel:DWORD
	s_and_b64 vcc, exec, s[16:17]
	s_cbranch_vccnz .LBB6_1951
; %bb.1949:
	v_cmp_gt_i16_sdwa s[16:17], v20, v6 src0_sel:BYTE_0 src1_sel:DWORD
	s_and_b64 vcc, exec, s[16:17]
	s_cbranch_vccz .LBB6_1952
; %bb.1950:
	global_load_dword v6, v[8:9], off
	s_mov_b64 s[16:17], 0
	s_waitcnt vmcnt(0)
	v_cvt_f64_u32_e32 v[6:7], v6
	s_branch .LBB6_1953
.LBB6_1951:
	s_mov_b64 s[16:17], -1
                                        ; implicit-def: $vgpr6_vgpr7
	s_branch .LBB6_1956
.LBB6_1952:
	s_mov_b64 s[16:17], -1
                                        ; implicit-def: $vgpr6_vgpr7
.LBB6_1953:
	s_andn2_b64 vcc, exec, s[16:17]
	s_cbranch_vccnz .LBB6_1955
; %bb.1954:
	global_load_ushort v6, v[8:9], off
	s_waitcnt vmcnt(0)
	v_cvt_f64_u32_e32 v[6:7], v6
.LBB6_1955:
	s_mov_b64 s[16:17], 0
.LBB6_1956:
	s_andn2_b64 vcc, exec, s[16:17]
	s_cbranch_vccnz .LBB6_1964
; %bb.1957:
	global_load_ubyte v11, v[8:9], off
	s_movk_i32 s16, 0x7f
                                        ; implicit-def: $sgpr20_sgpr21
	s_waitcnt vmcnt(0)
	v_cmp_lt_i16_e32 vcc, s16, v11
	s_mov_b64 s[16:17], 0
	s_and_saveexec_b64 s[22:23], vcc
	s_xor_b64 s[22:23], exec, s[22:23]
	s_cbranch_execz .LBB6_1978
; %bb.1958:
	s_movk_i32 s16, 0x80
	v_cmp_eq_u16_e32 vcc, s16, v11
	s_mov_b64 s[24:25], -1
                                        ; implicit-def: $sgpr20_sgpr21
	s_and_saveexec_b64 s[16:17], vcc
; %bb.1959:
	s_mov_b32 s21, 0x7ff80000
	s_brev_b32 s20, 4
	s_xor_b64 s[24:25], exec, -1
; %bb.1960:
	s_or_b64 exec, exec, s[16:17]
	s_and_b64 s[16:17], s[24:25], exec
	s_or_saveexec_b64 s[22:23], s[22:23]
	v_pk_mov_b32 v[6:7], s[20:21], s[20:21] op_sel:[0,1]
	s_xor_b64 exec, exec, s[22:23]
	s_cbranch_execnz .LBB6_1979
.LBB6_1961:
	s_or_b64 exec, exec, s[22:23]
	s_and_saveexec_b64 s[20:21], s[16:17]
	s_cbranch_execz .LBB6_1963
.LBB6_1962:
	v_and_b32_e32 v7, 0xffff, v11
	v_lshlrev_b32_e32 v6, 24, v11
	v_and_b32_e32 v11, 7, v7
	v_ffbh_u32_e32 v14, v11
	v_min_u32_e32 v14, 32, v14
	v_subrev_u32_e32 v15, 28, v14
	v_bfe_u32 v13, v7, 3, 4
	v_lshlrev_b32_e32 v7, v15, v7
	v_sub_u32_e32 v14, 29, v14
	v_and_b32_e32 v7, 7, v7
	v_cmp_eq_u32_e32 vcc, 0, v13
	v_cndmask_b32_e32 v13, v13, v14, vcc
	v_cndmask_b32_e32 v7, v11, v7, vcc
	v_mov_b32_e32 v11, 0x3b800000
	v_lshlrev_b32_e32 v7, 20, v7
	v_and_b32_e32 v6, 0x80000000, v6
	v_lshl_add_u32 v11, v13, 23, v11
	v_or3_b32 v6, v6, v11, v7
	v_cvt_f64_f32_e32 v[6:7], v6
.LBB6_1963:
	s_or_b64 exec, exec, s[20:21]
.LBB6_1964:
	s_mov_b64 s[16:17], -1
.LBB6_1965:
	s_mov_b64 s[20:21], 0
.LBB6_1966:
	s_and_b64 vcc, exec, s[20:21]
	s_cbranch_vccz .LBB6_1999
; %bb.1967:
	v_mov_b32_e32 v6, 22
	v_cmp_gt_i16_sdwa s[14:15], v20, v6 src0_sel:BYTE_0 src1_sel:DWORD
	s_and_b64 vcc, exec, s[14:15]
	s_cbranch_vccz .LBB6_1977
; %bb.1968:
	v_mov_b32_e32 v6, 24
	v_cmp_lt_i16_sdwa s[14:15], v20, v6 src0_sel:BYTE_0 src1_sel:DWORD
	s_and_b64 vcc, exec, s[14:15]
	s_cbranch_vccnz .LBB6_1980
; %bb.1969:
	v_cmp_gt_i16_sdwa s[14:15], v20, v6 src0_sel:BYTE_0 src1_sel:DWORD
	s_and_b64 vcc, exec, s[14:15]
	s_cbranch_vccz .LBB6_1981
; %bb.1970:
	global_load_ubyte v11, v[8:9], off
	s_movk_i32 s14, 0x7f
                                        ; implicit-def: $sgpr16_sgpr17
	s_waitcnt vmcnt(0)
	v_cmp_lt_i16_e32 vcc, s14, v11
	s_mov_b64 s[14:15], 0
	s_and_saveexec_b64 s[20:21], vcc
	s_xor_b64 s[20:21], exec, s[20:21]
	s_cbranch_execz .LBB6_1993
; %bb.1971:
	s_movk_i32 s14, 0x80
	v_cmp_eq_u16_e32 vcc, s14, v11
	s_mov_b64 s[22:23], -1
                                        ; implicit-def: $sgpr16_sgpr17
	s_and_saveexec_b64 s[14:15], vcc
; %bb.1972:
	s_mov_b32 s17, 0x7ff80000
	s_brev_b32 s16, 4
	s_xor_b64 s[22:23], exec, -1
; %bb.1973:
	s_or_b64 exec, exec, s[14:15]
	s_and_b64 s[14:15], s[22:23], exec
	s_or_saveexec_b64 s[20:21], s[20:21]
	v_pk_mov_b32 v[6:7], s[16:17], s[16:17] op_sel:[0,1]
	s_xor_b64 exec, exec, s[20:21]
	s_cbranch_execnz .LBB6_1994
.LBB6_1974:
	s_or_b64 exec, exec, s[20:21]
	s_and_saveexec_b64 s[16:17], s[14:15]
	s_cbranch_execz .LBB6_1976
.LBB6_1975:
	v_and_b32_e32 v7, 0xffff, v11
	v_lshlrev_b32_e32 v6, 24, v11
	v_and_b32_e32 v11, 3, v7
	v_ffbh_u32_e32 v14, v11
	v_min_u32_e32 v14, 32, v14
	v_subrev_u32_e32 v15, 29, v14
	v_bfe_u32 v13, v7, 2, 5
	v_lshlrev_b32_e32 v7, v15, v7
	v_sub_u32_e32 v14, 30, v14
	v_and_b32_e32 v7, 3, v7
	v_cmp_eq_u32_e32 vcc, 0, v13
	v_cndmask_b32_e32 v13, v13, v14, vcc
	v_cndmask_b32_e32 v7, v11, v7, vcc
	v_mov_b32_e32 v11, 0x37800000
	v_lshlrev_b32_e32 v7, 21, v7
	v_and_b32_e32 v6, 0x80000000, v6
	v_lshl_add_u32 v11, v13, 23, v11
	v_or3_b32 v6, v6, v11, v7
	v_cvt_f64_f32_e32 v[6:7], v6
.LBB6_1976:
	s_or_b64 exec, exec, s[16:17]
	s_mov_b64 s[14:15], 0
	s_branch .LBB6_1982
.LBB6_1977:
	s_mov_b64 s[14:15], -1
                                        ; implicit-def: $vgpr6_vgpr7
	s_branch .LBB6_1988
.LBB6_1978:
	s_or_saveexec_b64 s[22:23], s[22:23]
	v_pk_mov_b32 v[6:7], s[20:21], s[20:21] op_sel:[0,1]
	s_xor_b64 exec, exec, s[22:23]
	s_cbranch_execz .LBB6_1961
.LBB6_1979:
	v_cmp_ne_u16_e32 vcc, 0, v11
	s_andn2_b64 s[16:17], s[16:17], exec
	s_and_b64 s[20:21], vcc, exec
	v_pk_mov_b32 v[6:7], 0, 0
	s_or_b64 s[16:17], s[16:17], s[20:21]
	s_or_b64 exec, exec, s[22:23]
	s_and_saveexec_b64 s[20:21], s[16:17]
	s_cbranch_execnz .LBB6_1962
	s_branch .LBB6_1963
.LBB6_1980:
	s_mov_b64 s[14:15], -1
                                        ; implicit-def: $vgpr6_vgpr7
	s_branch .LBB6_1985
.LBB6_1981:
	s_mov_b64 s[14:15], -1
                                        ; implicit-def: $vgpr6_vgpr7
.LBB6_1982:
	s_and_b64 vcc, exec, s[14:15]
	s_cbranch_vccz .LBB6_1984
; %bb.1983:
	global_load_ubyte v6, v[8:9], off
	s_mov_b32 s14, 0x7f800000
	s_waitcnt vmcnt(0)
	v_lshlrev_b32_e32 v6, 24, v6
	v_and_b32_e32 v7, 0x7f000000, v6
	v_ffbh_u32_e32 v11, v7
	v_min_u32_e32 v11, 32, v11
	v_sub_u32_e64 v11, v11, 4 clamp
	v_lshlrev_b32_e32 v14, v11, v7
	v_lshlrev_b32_e32 v11, 23, v11
	v_lshrrev_b32_e32 v14, 4, v14
	v_add_u32_e32 v13, 0x1000000, v7
	v_sub_u32_e32 v11, v14, v11
	v_ashrrev_i32_e32 v13, 8, v13
	v_add_u32_e32 v11, 0x3c000000, v11
	v_and_or_b32 v11, v13, s14, v11
	v_cmp_ne_u32_e32 vcc, 0, v7
	v_cndmask_b32_e32 v7, 0, v11, vcc
	s_brev_b32 s14, 1
	v_and_or_b32 v6, v6, s14, v7
	v_cvt_f64_f32_e32 v[6:7], v6
.LBB6_1984:
	s_mov_b64 s[14:15], 0
.LBB6_1985:
	s_andn2_b64 vcc, exec, s[14:15]
	s_cbranch_vccnz .LBB6_1987
; %bb.1986:
	global_load_ubyte v6, v[8:9], off
	s_movk_i32 s14, 0x7f00
	s_brev_b32 s15, 16
	s_waitcnt vmcnt(0)
	v_lshlrev_b16_e32 v7, 8, v6
	v_lshlrev_b32_e32 v6, 25, v6
	v_lshrrev_b32_e32 v11, 4, v6
	v_and_or_b32 v13, v7, s14, 0.5
	v_or_b32_e32 v11, 0x70000000, v11
	v_add_f32_e32 v13, -0.5, v13
	v_mul_f32_e32 v11, 0x7800000, v11
	v_cmp_gt_u32_e32 vcc, s15, v6
	v_bfe_i32 v7, v7, 0, 16
	v_cndmask_b32_e32 v6, v11, v13, vcc
	s_brev_b32 s14, 1
	v_and_or_b32 v6, v7, s14, v6
	v_cvt_f64_f32_e32 v[6:7], v6
.LBB6_1987:
	s_mov_b64 s[14:15], 0
	s_mov_b64 s[16:17], -1
.LBB6_1988:
	s_andn2_b64 vcc, exec, s[14:15]
	s_mov_b64 s[14:15], 0
	s_cbranch_vccnz .LBB6_1999
; %bb.1989:
	v_mov_b32_e32 v6, 14
	v_cmp_gt_i16_sdwa s[14:15], v20, v6 src0_sel:BYTE_0 src1_sel:DWORD
	s_and_b64 vcc, exec, s[14:15]
	s_cbranch_vccz .LBB6_1992
; %bb.1990:
	v_mov_b32_e32 v6, 15
	v_cmp_eq_u16_sdwa s[0:1], v20, v6 src0_sel:BYTE_0 src1_sel:DWORD
	s_and_b64 vcc, exec, s[0:1]
	s_cbranch_vccz .LBB6_1995
; %bb.1991:
	global_load_ushort v6, v[8:9], off
	s_mov_b64 s[0:1], 0
	s_mov_b64 s[16:17], -1
	s_waitcnt vmcnt(0)
	v_lshlrev_b32_e32 v6, 16, v6
	v_cvt_f64_f32_e32 v[6:7], v6
	s_branch .LBB6_1996
.LBB6_1992:
	s_mov_b64 s[20:21], -1
                                        ; implicit-def: $vgpr6_vgpr7
	s_branch .LBB6_1997
.LBB6_1993:
	s_or_saveexec_b64 s[20:21], s[20:21]
	v_pk_mov_b32 v[6:7], s[16:17], s[16:17] op_sel:[0,1]
	s_xor_b64 exec, exec, s[20:21]
	s_cbranch_execz .LBB6_1974
.LBB6_1994:
	v_cmp_ne_u16_e32 vcc, 0, v11
	s_andn2_b64 s[14:15], s[14:15], exec
	s_and_b64 s[16:17], vcc, exec
	v_pk_mov_b32 v[6:7], 0, 0
	s_or_b64 s[14:15], s[14:15], s[16:17]
	s_or_b64 exec, exec, s[20:21]
	s_and_saveexec_b64 s[16:17], s[14:15]
	s_cbranch_execnz .LBB6_1975
	s_branch .LBB6_1976
.LBB6_1995:
	s_mov_b64 s[0:1], -1
                                        ; implicit-def: $vgpr6_vgpr7
.LBB6_1996:
	s_mov_b64 s[20:21], 0
.LBB6_1997:
	s_mov_b64 s[14:15], 0
	s_and_b64 vcc, exec, s[20:21]
	s_cbranch_vccz .LBB6_1999
; %bb.1998:
	v_mov_b32_e32 v6, 11
	v_cmp_ne_u16_sdwa s[0:1], v20, v6 src0_sel:BYTE_0 src1_sel:DWORD
	s_mov_b64 s[14:15], -1
                                        ; implicit-def: $vgpr6_vgpr7
.LBB6_1999:
	s_and_b64 vcc, exec, s[0:1]
	s_cbranch_vccnz .LBB6_2064
; %bb.2000:
	s_andn2_b64 vcc, exec, s[14:15]
	s_cbranch_vccnz .LBB6_2002
.LBB6_2001:
	global_load_ubyte v7, v[8:9], off
	v_mov_b32_e32 v11, 0x3ff00000
	v_mov_b32_e32 v6, 0
	s_mov_b64 s[16:17], -1
	s_waitcnt vmcnt(0)
	v_cmp_ne_u16_e32 vcc, 0, v7
	v_cndmask_b32_e32 v7, 0, v11, vcc
.LBB6_2002:
	s_mov_b64 s[0:1], 0
.LBB6_2003:
	s_and_b64 vcc, exec, s[0:1]
	s_cbranch_vccz .LBB6_2052
; %bb.2004:
	v_mov_b32_e32 v6, 5
	v_cmp_lt_i16_sdwa s[0:1], v20, v6 src0_sel:BYTE_0 src1_sel:DWORD
	s_and_b64 vcc, exec, s[0:1]
	s_cbranch_vccnz .LBB6_2009
; %bb.2005:
	v_mov_b32_e32 v6, 8
	v_cmp_lt_i16_sdwa s[0:1], v20, v6 src0_sel:BYTE_0 src1_sel:DWORD
	s_and_b64 vcc, exec, s[0:1]
	s_cbranch_vccnz .LBB6_2010
	;; [unrolled: 5-line block ×3, first 2 shown]
; %bb.2007:
	v_cmp_gt_i16_sdwa s[0:1], v20, v6 src0_sel:BYTE_0 src1_sel:DWORD
	s_and_b64 vcc, exec, s[0:1]
	s_cbranch_vccz .LBB6_2012
; %bb.2008:
	global_load_dwordx2 v[6:7], v[8:9], off
	s_mov_b64 s[0:1], 0
	s_branch .LBB6_2013
.LBB6_2009:
	s_mov_b64 s[0:1], -1
                                        ; implicit-def: $vgpr6_vgpr7
	s_branch .LBB6_2031
.LBB6_2010:
	s_mov_b64 s[0:1], -1
                                        ; implicit-def: $vgpr6_vgpr7
	s_branch .LBB6_2019
.LBB6_2011:
	s_mov_b64 s[0:1], -1
                                        ; implicit-def: $vgpr6_vgpr7
	s_branch .LBB6_2016
.LBB6_2012:
	s_mov_b64 s[0:1], -1
                                        ; implicit-def: $vgpr6_vgpr7
.LBB6_2013:
	s_andn2_b64 vcc, exec, s[0:1]
	s_cbranch_vccnz .LBB6_2015
; %bb.2014:
	global_load_dword v6, v[8:9], off
	s_waitcnt vmcnt(0)
	v_cvt_f64_f32_e32 v[6:7], v6
.LBB6_2015:
	s_mov_b64 s[0:1], 0
.LBB6_2016:
	s_andn2_b64 vcc, exec, s[0:1]
	s_cbranch_vccnz .LBB6_2018
; %bb.2017:
	global_load_dword v6, v[8:9], off
	s_waitcnt vmcnt(0)
	v_cvt_f32_f16_e32 v6, v6
	v_cvt_f64_f32_e32 v[6:7], v6
.LBB6_2018:
	s_mov_b64 s[0:1], 0
.LBB6_2019:
	s_andn2_b64 vcc, exec, s[0:1]
	s_cbranch_vccnz .LBB6_2030
; %bb.2020:
	s_waitcnt vmcnt(0)
	v_mov_b32_e32 v6, 6
	v_cmp_lt_i16_sdwa s[0:1], v20, v6 src0_sel:BYTE_0 src1_sel:DWORD
	s_and_b64 vcc, exec, s[0:1]
	s_cbranch_vccnz .LBB6_2023
; %bb.2021:
	v_cmp_gt_i16_sdwa s[0:1], v20, v6 src0_sel:BYTE_0 src1_sel:DWORD
	s_and_b64 vcc, exec, s[0:1]
	s_cbranch_vccz .LBB6_2024
; %bb.2022:
	global_load_dwordx2 v[6:7], v[8:9], off
	s_mov_b64 s[0:1], 0
	s_branch .LBB6_2025
.LBB6_2023:
	s_mov_b64 s[0:1], -1
                                        ; implicit-def: $vgpr6_vgpr7
	s_branch .LBB6_2028
.LBB6_2024:
	s_mov_b64 s[0:1], -1
                                        ; implicit-def: $vgpr6_vgpr7
.LBB6_2025:
	s_andn2_b64 vcc, exec, s[0:1]
	s_cbranch_vccnz .LBB6_2027
; %bb.2026:
	global_load_dword v6, v[8:9], off
	s_waitcnt vmcnt(0)
	v_cvt_f64_f32_e32 v[6:7], v6
.LBB6_2027:
	s_mov_b64 s[0:1], 0
.LBB6_2028:
	s_andn2_b64 vcc, exec, s[0:1]
	s_cbranch_vccnz .LBB6_2030
; %bb.2029:
	global_load_ushort v6, v[8:9], off
	s_waitcnt vmcnt(0)
	v_cvt_f32_f16_e32 v6, v6
	v_cvt_f64_f32_e32 v[6:7], v6
.LBB6_2030:
	s_mov_b64 s[0:1], 0
.LBB6_2031:
	s_andn2_b64 vcc, exec, s[0:1]
	s_cbranch_vccnz .LBB6_2051
; %bb.2032:
	s_waitcnt vmcnt(0)
	v_mov_b32_e32 v6, 2
	v_cmp_lt_i16_sdwa s[0:1], v20, v6 src0_sel:BYTE_0 src1_sel:DWORD
	s_and_b64 vcc, exec, s[0:1]
	s_cbranch_vccnz .LBB6_2036
; %bb.2033:
	v_mov_b32_e32 v6, 3
	v_cmp_lt_i16_sdwa s[0:1], v20, v6 src0_sel:BYTE_0 src1_sel:DWORD
	s_and_b64 vcc, exec, s[0:1]
	s_cbranch_vccnz .LBB6_2037
; %bb.2034:
	v_cmp_gt_i16_sdwa s[0:1], v20, v6 src0_sel:BYTE_0 src1_sel:DWORD
	s_and_b64 vcc, exec, s[0:1]
	s_cbranch_vccz .LBB6_2038
; %bb.2035:
	global_load_dwordx2 v[6:7], v[8:9], off
	s_mov_b64 s[0:1], 0
	s_waitcnt vmcnt(0)
	v_cvt_f64_i32_e32 v[14:15], v7
	v_cvt_f64_u32_e32 v[6:7], v6
	v_ldexp_f64 v[14:15], v[14:15], 32
	v_add_f64 v[6:7], v[14:15], v[6:7]
	s_branch .LBB6_2039
.LBB6_2036:
	s_mov_b64 s[0:1], -1
                                        ; implicit-def: $vgpr6_vgpr7
	s_branch .LBB6_2045
.LBB6_2037:
	s_mov_b64 s[0:1], -1
                                        ; implicit-def: $vgpr6_vgpr7
	s_branch .LBB6_2042
.LBB6_2038:
	s_mov_b64 s[0:1], -1
                                        ; implicit-def: $vgpr6_vgpr7
.LBB6_2039:
	s_andn2_b64 vcc, exec, s[0:1]
	s_cbranch_vccnz .LBB6_2041
; %bb.2040:
	global_load_dword v6, v[8:9], off
	s_waitcnt vmcnt(0)
	v_cvt_f64_i32_e32 v[6:7], v6
.LBB6_2041:
	s_mov_b64 s[0:1], 0
.LBB6_2042:
	s_andn2_b64 vcc, exec, s[0:1]
	s_cbranch_vccnz .LBB6_2044
; %bb.2043:
	global_load_sshort v6, v[8:9], off
	s_waitcnt vmcnt(0)
	v_cvt_f64_i32_e32 v[6:7], v6
.LBB6_2044:
	s_mov_b64 s[0:1], 0
.LBB6_2045:
	s_andn2_b64 vcc, exec, s[0:1]
	s_cbranch_vccnz .LBB6_2051
; %bb.2046:
	v_mov_b32_e32 v6, 0
	v_cmp_gt_i16_sdwa s[0:1], v20, v6 src0_sel:BYTE_0 src1_sel:DWORD
	s_and_b64 vcc, exec, s[0:1]
	s_cbranch_vccz .LBB6_2048
; %bb.2047:
	global_load_sbyte v6, v[8:9], off
	s_mov_b64 s[0:1], 0
	s_waitcnt vmcnt(0)
	v_cvt_f64_i32_e32 v[6:7], v6
	s_branch .LBB6_2049
.LBB6_2048:
	s_mov_b64 s[0:1], -1
                                        ; implicit-def: $vgpr6_vgpr7
.LBB6_2049:
	s_andn2_b64 vcc, exec, s[0:1]
	s_cbranch_vccnz .LBB6_2051
; %bb.2050:
	global_load_ubyte v6, v[8:9], off
	s_waitcnt vmcnt(0)
	v_cvt_f64_u32_e32 v[6:7], v6
.LBB6_2051:
	s_mov_b64 s[16:17], -1
.LBB6_2052:
	s_andn2_b64 vcc, exec, s[16:17]
	s_cbranch_vccnz .LBB6_2869
; %bb.2053:
	v_add_u32_e32 v14, s13, v10
	v_ashrrev_i32_e32 v8, 31, v14
	v_mov_b32_e32 v9, s11
	v_add_co_u32_e32 v10, vcc, s10, v14
	v_addc_co_u32_e32 v11, vcc, v9, v8, vcc
	v_mov_b32_e32 v8, 11
	v_cmp_lt_i16_sdwa s[0:1], v16, v8 src0_sel:BYTE_0 src1_sel:DWORD
	s_and_b64 vcc, exec, s[0:1]
	s_cbranch_vccnz .LBB6_2060
; %bb.2054:
	v_mov_b32_e32 v8, 25
	v_cmp_gt_i16_sdwa s[0:1], v16, v8 src0_sel:BYTE_0 src1_sel:DWORD
	s_mov_b64 s[14:15], 0
	s_and_b64 vcc, exec, s[0:1]
	s_cbranch_vccz .LBB6_2061
; %bb.2055:
	v_mov_b32_e32 v8, 28
	v_cmp_gt_i16_sdwa s[0:1], v16, v8 src0_sel:BYTE_0 src1_sel:DWORD
	s_and_b64 vcc, exec, s[0:1]
	s_cbranch_vccz .LBB6_2062
; %bb.2056:
	v_mov_b32_e32 v8, 43
	v_cmp_gt_i16_sdwa s[0:1], v16, v8 src0_sel:BYTE_0 src1_sel:DWORD
	s_and_b64 vcc, exec, s[0:1]
	s_cbranch_vccz .LBB6_2063
; %bb.2057:
	v_mov_b32_e32 v8, 45
	v_cmp_gt_i16_sdwa s[0:1], v16, v8 src0_sel:BYTE_0 src1_sel:DWORD
	s_and_b64 vcc, exec, s[0:1]
	s_cbranch_vccz .LBB6_2065
; %bb.2058:
	v_mov_b32_e32 v8, 46
	v_cmp_eq_u16_sdwa s[0:1], v16, v8 src0_sel:BYTE_0 src1_sel:DWORD
	s_mov_b64 s[20:21], 0
	s_and_b64 vcc, exec, s[0:1]
	s_cbranch_vccz .LBB6_2066
; %bb.2059:
	global_load_dword v8, v[10:11], off
	s_mov_b64 s[0:1], 0
	s_mov_b64 s[16:17], -1
	s_waitcnt vmcnt(0)
	v_lshlrev_b32_e32 v8, 16, v8
	v_cvt_f64_f32_e32 v[8:9], v8
	s_branch .LBB6_2067
.LBB6_2060:
	s_mov_b64 s[0:1], -1
	s_mov_b64 s[16:17], 0
                                        ; implicit-def: $vgpr8_vgpr9
	s_branch .LBB6_2133
.LBB6_2061:
	s_mov_b64 s[20:21], -1
	s_mov_b64 s[16:17], 0
	s_mov_b64 s[0:1], 0
                                        ; implicit-def: $vgpr8_vgpr9
	s_branch .LBB6_2096
.LBB6_2062:
	s_mov_b64 s[20:21], -1
	s_mov_b64 s[16:17], 0
	s_mov_b64 s[0:1], 0
                                        ; implicit-def: $vgpr8_vgpr9
	s_branch .LBB6_2077
.LBB6_2063:
	s_mov_b64 s[20:21], -1
	s_mov_b64 s[16:17], 0
	s_mov_b64 s[0:1], 0
                                        ; implicit-def: $vgpr8_vgpr9
	s_branch .LBB6_2072
.LBB6_2064:
	s_trap 2
	s_or_b64 s[18:19], s[18:19], exec
                                        ; implicit-def: $vgpr6_vgpr7
	s_cbranch_execz .LBB6_2001
	s_branch .LBB6_2002
.LBB6_2065:
	s_mov_b64 s[20:21], -1
	s_mov_b64 s[16:17], 0
	s_mov_b64 s[0:1], 0
                                        ; implicit-def: $vgpr8_vgpr9
	s_branch .LBB6_2067
.LBB6_2066:
	s_mov_b64 s[0:1], -1
                                        ; implicit-def: $vgpr8_vgpr9
	s_mov_b64 s[16:17], 0
.LBB6_2067:
	s_and_b64 vcc, exec, s[20:21]
	s_cbranch_vccz .LBB6_2071
; %bb.2068:
	v_mov_b32_e32 v8, 44
	v_cmp_eq_u16_sdwa s[0:1], v16, v8 src0_sel:BYTE_0 src1_sel:DWORD
	s_and_b64 vcc, exec, s[0:1]
	s_cbranch_vccz .LBB6_2070
; %bb.2069:
	global_load_ubyte v13, v[10:11], off
	s_movk_i32 s16, 0xff
	v_bfrev_b32_e32 v15, 4
	v_mov_b32_e32 v17, 0x7ff80000
	v_bfrev_b32_e32 v21, 28
	s_mov_b64 s[0:1], 0
	s_waitcnt vmcnt(0)
	v_lshlrev_b32_e32 v8, 23, v13
	v_cvt_f64_f32_e32 v[8:9], v8
	v_cmp_ne_u32_e32 vcc, s16, v13
	v_cndmask_b32_e32 v8, v15, v8, vcc
	v_cndmask_b32_e32 v9, v17, v9, vcc
	v_cmp_ne_u32_e32 vcc, 0, v13
	v_cndmask_b32_e32 v9, v21, v9, vcc
	v_cndmask_b32_e32 v8, 0, v8, vcc
	s_mov_b64 s[16:17], -1
	s_branch .LBB6_2071
.LBB6_2070:
	s_mov_b64 s[0:1], -1
                                        ; implicit-def: $vgpr8_vgpr9
.LBB6_2071:
	s_mov_b64 s[20:21], 0
.LBB6_2072:
	s_and_b64 vcc, exec, s[20:21]
	s_cbranch_vccz .LBB6_2076
; %bb.2073:
	v_mov_b32_e32 v8, 29
	v_cmp_eq_u16_sdwa s[0:1], v16, v8 src0_sel:BYTE_0 src1_sel:DWORD
	s_and_b64 vcc, exec, s[0:1]
	s_cbranch_vccz .LBB6_2075
; %bb.2074:
	global_load_dwordx2 v[8:9], v[10:11], off
	s_mov_b64 s[0:1], 0
	s_mov_b64 s[16:17], -1
	s_mov_b64 s[20:21], 0
	s_waitcnt vmcnt(0)
	v_cvt_f64_u32_e32 v[22:23], v9
	v_cvt_f64_u32_e32 v[8:9], v8
	v_ldexp_f64 v[22:23], v[22:23], 32
	v_add_f64 v[8:9], v[22:23], v[8:9]
	s_branch .LBB6_2077
.LBB6_2075:
	s_mov_b64 s[0:1], -1
                                        ; implicit-def: $vgpr8_vgpr9
.LBB6_2076:
	s_mov_b64 s[20:21], 0
.LBB6_2077:
	s_and_b64 vcc, exec, s[20:21]
	s_cbranch_vccz .LBB6_2095
; %bb.2078:
	v_mov_b32_e32 v8, 27
	v_cmp_lt_i16_sdwa s[16:17], v16, v8 src0_sel:BYTE_0 src1_sel:DWORD
	s_and_b64 vcc, exec, s[16:17]
	s_cbranch_vccnz .LBB6_2081
; %bb.2079:
	v_cmp_gt_i16_sdwa s[16:17], v16, v8 src0_sel:BYTE_0 src1_sel:DWORD
	s_and_b64 vcc, exec, s[16:17]
	s_cbranch_vccz .LBB6_2082
; %bb.2080:
	global_load_dword v8, v[10:11], off
	s_mov_b64 s[16:17], 0
	s_waitcnt vmcnt(0)
	v_cvt_f64_u32_e32 v[8:9], v8
	s_branch .LBB6_2083
.LBB6_2081:
	s_mov_b64 s[16:17], -1
                                        ; implicit-def: $vgpr8_vgpr9
	s_branch .LBB6_2086
.LBB6_2082:
	s_mov_b64 s[16:17], -1
                                        ; implicit-def: $vgpr8_vgpr9
.LBB6_2083:
	s_andn2_b64 vcc, exec, s[16:17]
	s_cbranch_vccnz .LBB6_2085
; %bb.2084:
	global_load_ushort v8, v[10:11], off
	s_waitcnt vmcnt(0)
	v_cvt_f64_u32_e32 v[8:9], v8
.LBB6_2085:
	s_mov_b64 s[16:17], 0
.LBB6_2086:
	s_andn2_b64 vcc, exec, s[16:17]
	s_cbranch_vccnz .LBB6_2094
; %bb.2087:
	global_load_ubyte v13, v[10:11], off
	s_movk_i32 s16, 0x7f
                                        ; implicit-def: $sgpr20_sgpr21
	s_waitcnt vmcnt(0)
	v_cmp_lt_i16_e32 vcc, s16, v13
	s_mov_b64 s[16:17], 0
	s_and_saveexec_b64 s[22:23], vcc
	s_xor_b64 s[22:23], exec, s[22:23]
	s_cbranch_execz .LBB6_2108
; %bb.2088:
	s_movk_i32 s16, 0x80
	v_cmp_eq_u16_e32 vcc, s16, v13
	s_mov_b64 s[24:25], -1
                                        ; implicit-def: $sgpr20_sgpr21
	s_and_saveexec_b64 s[16:17], vcc
; %bb.2089:
	s_mov_b32 s21, 0x7ff80000
	s_brev_b32 s20, 4
	s_xor_b64 s[24:25], exec, -1
; %bb.2090:
	s_or_b64 exec, exec, s[16:17]
	s_and_b64 s[16:17], s[24:25], exec
	s_or_saveexec_b64 s[22:23], s[22:23]
	v_pk_mov_b32 v[8:9], s[20:21], s[20:21] op_sel:[0,1]
	s_xor_b64 exec, exec, s[22:23]
	s_cbranch_execnz .LBB6_2109
.LBB6_2091:
	s_or_b64 exec, exec, s[22:23]
	s_and_saveexec_b64 s[20:21], s[16:17]
	s_cbranch_execz .LBB6_2093
.LBB6_2092:
	v_and_b32_e32 v9, 0xffff, v13
	v_lshlrev_b32_e32 v8, 24, v13
	v_and_b32_e32 v13, 7, v9
	v_ffbh_u32_e32 v17, v13
	v_min_u32_e32 v17, 32, v17
	v_subrev_u32_e32 v21, 28, v17
	v_bfe_u32 v15, v9, 3, 4
	v_lshlrev_b32_e32 v9, v21, v9
	v_sub_u32_e32 v17, 29, v17
	v_and_b32_e32 v9, 7, v9
	v_cmp_eq_u32_e32 vcc, 0, v15
	v_cndmask_b32_e32 v15, v15, v17, vcc
	v_cndmask_b32_e32 v9, v13, v9, vcc
	v_mov_b32_e32 v13, 0x3b800000
	v_lshlrev_b32_e32 v9, 20, v9
	v_and_b32_e32 v8, 0x80000000, v8
	v_lshl_add_u32 v13, v15, 23, v13
	v_or3_b32 v8, v8, v13, v9
	v_cvt_f64_f32_e32 v[8:9], v8
.LBB6_2093:
	s_or_b64 exec, exec, s[20:21]
.LBB6_2094:
	s_mov_b64 s[16:17], -1
.LBB6_2095:
	s_mov_b64 s[20:21], 0
.LBB6_2096:
	s_and_b64 vcc, exec, s[20:21]
	s_cbranch_vccz .LBB6_2129
; %bb.2097:
	v_mov_b32_e32 v8, 22
	v_cmp_gt_i16_sdwa s[14:15], v16, v8 src0_sel:BYTE_0 src1_sel:DWORD
	s_and_b64 vcc, exec, s[14:15]
	s_cbranch_vccz .LBB6_2107
; %bb.2098:
	v_mov_b32_e32 v8, 24
	v_cmp_lt_i16_sdwa s[14:15], v16, v8 src0_sel:BYTE_0 src1_sel:DWORD
	s_and_b64 vcc, exec, s[14:15]
	s_cbranch_vccnz .LBB6_2110
; %bb.2099:
	v_cmp_gt_i16_sdwa s[14:15], v16, v8 src0_sel:BYTE_0 src1_sel:DWORD
	s_and_b64 vcc, exec, s[14:15]
	s_cbranch_vccz .LBB6_2111
; %bb.2100:
	global_load_ubyte v13, v[10:11], off
	s_movk_i32 s14, 0x7f
                                        ; implicit-def: $sgpr16_sgpr17
	s_waitcnt vmcnt(0)
	v_cmp_lt_i16_e32 vcc, s14, v13
	s_mov_b64 s[14:15], 0
	s_and_saveexec_b64 s[20:21], vcc
	s_xor_b64 s[20:21], exec, s[20:21]
	s_cbranch_execz .LBB6_2123
; %bb.2101:
	s_movk_i32 s14, 0x80
	v_cmp_eq_u16_e32 vcc, s14, v13
	s_mov_b64 s[22:23], -1
                                        ; implicit-def: $sgpr16_sgpr17
	s_and_saveexec_b64 s[14:15], vcc
; %bb.2102:
	s_mov_b32 s17, 0x7ff80000
	s_brev_b32 s16, 4
	s_xor_b64 s[22:23], exec, -1
; %bb.2103:
	s_or_b64 exec, exec, s[14:15]
	s_and_b64 s[14:15], s[22:23], exec
	s_or_saveexec_b64 s[20:21], s[20:21]
	v_pk_mov_b32 v[8:9], s[16:17], s[16:17] op_sel:[0,1]
	s_xor_b64 exec, exec, s[20:21]
	s_cbranch_execnz .LBB6_2124
.LBB6_2104:
	s_or_b64 exec, exec, s[20:21]
	s_and_saveexec_b64 s[16:17], s[14:15]
	s_cbranch_execz .LBB6_2106
.LBB6_2105:
	v_and_b32_e32 v9, 0xffff, v13
	v_lshlrev_b32_e32 v8, 24, v13
	v_and_b32_e32 v13, 3, v9
	v_ffbh_u32_e32 v17, v13
	v_min_u32_e32 v17, 32, v17
	v_subrev_u32_e32 v21, 29, v17
	v_bfe_u32 v15, v9, 2, 5
	v_lshlrev_b32_e32 v9, v21, v9
	v_sub_u32_e32 v17, 30, v17
	v_and_b32_e32 v9, 3, v9
	v_cmp_eq_u32_e32 vcc, 0, v15
	v_cndmask_b32_e32 v15, v15, v17, vcc
	v_cndmask_b32_e32 v9, v13, v9, vcc
	v_mov_b32_e32 v13, 0x37800000
	v_lshlrev_b32_e32 v9, 21, v9
	v_and_b32_e32 v8, 0x80000000, v8
	v_lshl_add_u32 v13, v15, 23, v13
	v_or3_b32 v8, v8, v13, v9
	v_cvt_f64_f32_e32 v[8:9], v8
.LBB6_2106:
	s_or_b64 exec, exec, s[16:17]
	s_mov_b64 s[14:15], 0
	s_branch .LBB6_2112
.LBB6_2107:
	s_mov_b64 s[14:15], -1
                                        ; implicit-def: $vgpr8_vgpr9
	s_branch .LBB6_2118
.LBB6_2108:
	s_or_saveexec_b64 s[22:23], s[22:23]
	v_pk_mov_b32 v[8:9], s[20:21], s[20:21] op_sel:[0,1]
	s_xor_b64 exec, exec, s[22:23]
	s_cbranch_execz .LBB6_2091
.LBB6_2109:
	v_cmp_ne_u16_e32 vcc, 0, v13
	s_andn2_b64 s[16:17], s[16:17], exec
	s_and_b64 s[20:21], vcc, exec
	v_pk_mov_b32 v[8:9], 0, 0
	s_or_b64 s[16:17], s[16:17], s[20:21]
	s_or_b64 exec, exec, s[22:23]
	s_and_saveexec_b64 s[20:21], s[16:17]
	s_cbranch_execnz .LBB6_2092
	s_branch .LBB6_2093
.LBB6_2110:
	s_mov_b64 s[14:15], -1
                                        ; implicit-def: $vgpr8_vgpr9
	s_branch .LBB6_2115
.LBB6_2111:
	s_mov_b64 s[14:15], -1
                                        ; implicit-def: $vgpr8_vgpr9
.LBB6_2112:
	s_and_b64 vcc, exec, s[14:15]
	s_cbranch_vccz .LBB6_2114
; %bb.2113:
	global_load_ubyte v8, v[10:11], off
	s_mov_b32 s14, 0x7f800000
	s_waitcnt vmcnt(0)
	v_lshlrev_b32_e32 v8, 24, v8
	v_and_b32_e32 v9, 0x7f000000, v8
	v_ffbh_u32_e32 v13, v9
	v_min_u32_e32 v13, 32, v13
	v_sub_u32_e64 v13, v13, 4 clamp
	v_lshlrev_b32_e32 v17, v13, v9
	v_lshlrev_b32_e32 v13, 23, v13
	v_lshrrev_b32_e32 v17, 4, v17
	v_add_u32_e32 v15, 0x1000000, v9
	v_sub_u32_e32 v13, v17, v13
	v_ashrrev_i32_e32 v15, 8, v15
	v_add_u32_e32 v13, 0x3c000000, v13
	v_and_or_b32 v13, v15, s14, v13
	v_cmp_ne_u32_e32 vcc, 0, v9
	v_cndmask_b32_e32 v9, 0, v13, vcc
	s_brev_b32 s14, 1
	v_and_or_b32 v8, v8, s14, v9
	v_cvt_f64_f32_e32 v[8:9], v8
.LBB6_2114:
	s_mov_b64 s[14:15], 0
.LBB6_2115:
	s_andn2_b64 vcc, exec, s[14:15]
	s_cbranch_vccnz .LBB6_2117
; %bb.2116:
	global_load_ubyte v8, v[10:11], off
	s_movk_i32 s14, 0x7f00
	s_brev_b32 s15, 16
	s_waitcnt vmcnt(0)
	v_lshlrev_b16_e32 v9, 8, v8
	v_lshlrev_b32_e32 v8, 25, v8
	v_lshrrev_b32_e32 v13, 4, v8
	v_and_or_b32 v15, v9, s14, 0.5
	v_or_b32_e32 v13, 0x70000000, v13
	v_add_f32_e32 v15, -0.5, v15
	v_mul_f32_e32 v13, 0x7800000, v13
	v_cmp_gt_u32_e32 vcc, s15, v8
	v_bfe_i32 v9, v9, 0, 16
	v_cndmask_b32_e32 v8, v13, v15, vcc
	s_brev_b32 s14, 1
	v_and_or_b32 v8, v9, s14, v8
	v_cvt_f64_f32_e32 v[8:9], v8
.LBB6_2117:
	s_mov_b64 s[14:15], 0
	s_mov_b64 s[16:17], -1
.LBB6_2118:
	s_andn2_b64 vcc, exec, s[14:15]
	s_mov_b64 s[14:15], 0
	s_cbranch_vccnz .LBB6_2129
; %bb.2119:
	v_mov_b32_e32 v8, 14
	v_cmp_gt_i16_sdwa s[14:15], v16, v8 src0_sel:BYTE_0 src1_sel:DWORD
	s_and_b64 vcc, exec, s[14:15]
	s_cbranch_vccz .LBB6_2122
; %bb.2120:
	v_mov_b32_e32 v8, 15
	v_cmp_eq_u16_sdwa s[0:1], v16, v8 src0_sel:BYTE_0 src1_sel:DWORD
	s_and_b64 vcc, exec, s[0:1]
	s_cbranch_vccz .LBB6_2125
; %bb.2121:
	global_load_ushort v8, v[10:11], off
	s_mov_b64 s[0:1], 0
	s_mov_b64 s[16:17], -1
	s_waitcnt vmcnt(0)
	v_lshlrev_b32_e32 v8, 16, v8
	v_cvt_f64_f32_e32 v[8:9], v8
	s_branch .LBB6_2126
.LBB6_2122:
	s_mov_b64 s[20:21], -1
                                        ; implicit-def: $vgpr8_vgpr9
	s_branch .LBB6_2127
.LBB6_2123:
	s_or_saveexec_b64 s[20:21], s[20:21]
	v_pk_mov_b32 v[8:9], s[16:17], s[16:17] op_sel:[0,1]
	s_xor_b64 exec, exec, s[20:21]
	s_cbranch_execz .LBB6_2104
.LBB6_2124:
	v_cmp_ne_u16_e32 vcc, 0, v13
	s_andn2_b64 s[14:15], s[14:15], exec
	s_and_b64 s[16:17], vcc, exec
	v_pk_mov_b32 v[8:9], 0, 0
	s_or_b64 s[14:15], s[14:15], s[16:17]
	s_or_b64 exec, exec, s[20:21]
	s_and_saveexec_b64 s[16:17], s[14:15]
	s_cbranch_execnz .LBB6_2105
	s_branch .LBB6_2106
.LBB6_2125:
	s_mov_b64 s[0:1], -1
                                        ; implicit-def: $vgpr8_vgpr9
.LBB6_2126:
	s_mov_b64 s[20:21], 0
.LBB6_2127:
	s_mov_b64 s[14:15], 0
	s_and_b64 vcc, exec, s[20:21]
	s_cbranch_vccz .LBB6_2129
; %bb.2128:
	v_mov_b32_e32 v8, 11
	v_cmp_ne_u16_sdwa s[0:1], v16, v8 src0_sel:BYTE_0 src1_sel:DWORD
	s_mov_b64 s[14:15], -1
                                        ; implicit-def: $vgpr8_vgpr9
.LBB6_2129:
	s_and_b64 vcc, exec, s[0:1]
	s_cbranch_vccnz .LBB6_2194
; %bb.2130:
	s_andn2_b64 vcc, exec, s[14:15]
	s_cbranch_vccnz .LBB6_2132
.LBB6_2131:
	global_load_ubyte v9, v[10:11], off
	v_mov_b32_e32 v13, 0x3ff00000
	v_mov_b32_e32 v8, 0
	s_mov_b64 s[16:17], -1
	s_waitcnt vmcnt(0)
	v_cmp_ne_u16_e32 vcc, 0, v9
	v_cndmask_b32_e32 v9, 0, v13, vcc
.LBB6_2132:
	s_mov_b64 s[0:1], 0
.LBB6_2133:
	s_and_b64 vcc, exec, s[0:1]
	s_cbranch_vccz .LBB6_2182
; %bb.2134:
	v_mov_b32_e32 v8, 5
	v_cmp_lt_i16_sdwa s[0:1], v16, v8 src0_sel:BYTE_0 src1_sel:DWORD
	s_and_b64 vcc, exec, s[0:1]
	s_cbranch_vccnz .LBB6_2139
; %bb.2135:
	v_mov_b32_e32 v8, 8
	v_cmp_lt_i16_sdwa s[0:1], v16, v8 src0_sel:BYTE_0 src1_sel:DWORD
	s_and_b64 vcc, exec, s[0:1]
	s_cbranch_vccnz .LBB6_2140
; %bb.2136:
	v_mov_b32_e32 v8, 9
	v_cmp_lt_i16_sdwa s[0:1], v16, v8 src0_sel:BYTE_0 src1_sel:DWORD
	s_and_b64 vcc, exec, s[0:1]
	s_cbranch_vccnz .LBB6_2141
; %bb.2137:
	v_cmp_gt_i16_sdwa s[0:1], v16, v8 src0_sel:BYTE_0 src1_sel:DWORD
	s_and_b64 vcc, exec, s[0:1]
	s_cbranch_vccz .LBB6_2142
; %bb.2138:
	global_load_dwordx2 v[8:9], v[10:11], off
	s_mov_b64 s[0:1], 0
	s_branch .LBB6_2143
.LBB6_2139:
	s_mov_b64 s[0:1], -1
                                        ; implicit-def: $vgpr8_vgpr9
	s_branch .LBB6_2161
.LBB6_2140:
	s_mov_b64 s[0:1], -1
                                        ; implicit-def: $vgpr8_vgpr9
	s_branch .LBB6_2149
.LBB6_2141:
	s_mov_b64 s[0:1], -1
                                        ; implicit-def: $vgpr8_vgpr9
	s_branch .LBB6_2146
.LBB6_2142:
	s_mov_b64 s[0:1], -1
                                        ; implicit-def: $vgpr8_vgpr9
.LBB6_2143:
	s_andn2_b64 vcc, exec, s[0:1]
	s_cbranch_vccnz .LBB6_2145
; %bb.2144:
	global_load_dword v8, v[10:11], off
	s_waitcnt vmcnt(0)
	v_cvt_f64_f32_e32 v[8:9], v8
.LBB6_2145:
	s_mov_b64 s[0:1], 0
.LBB6_2146:
	s_andn2_b64 vcc, exec, s[0:1]
	s_cbranch_vccnz .LBB6_2148
; %bb.2147:
	global_load_dword v8, v[10:11], off
	s_waitcnt vmcnt(0)
	v_cvt_f32_f16_e32 v8, v8
	v_cvt_f64_f32_e32 v[8:9], v8
.LBB6_2148:
	s_mov_b64 s[0:1], 0
.LBB6_2149:
	s_andn2_b64 vcc, exec, s[0:1]
	s_cbranch_vccnz .LBB6_2160
; %bb.2150:
	s_waitcnt vmcnt(0)
	v_mov_b32_e32 v8, 6
	v_cmp_lt_i16_sdwa s[0:1], v16, v8 src0_sel:BYTE_0 src1_sel:DWORD
	s_and_b64 vcc, exec, s[0:1]
	s_cbranch_vccnz .LBB6_2153
; %bb.2151:
	v_cmp_gt_i16_sdwa s[0:1], v16, v8 src0_sel:BYTE_0 src1_sel:DWORD
	s_and_b64 vcc, exec, s[0:1]
	s_cbranch_vccz .LBB6_2154
; %bb.2152:
	global_load_dwordx2 v[8:9], v[10:11], off
	s_mov_b64 s[0:1], 0
	s_branch .LBB6_2155
.LBB6_2153:
	s_mov_b64 s[0:1], -1
                                        ; implicit-def: $vgpr8_vgpr9
	s_branch .LBB6_2158
.LBB6_2154:
	s_mov_b64 s[0:1], -1
                                        ; implicit-def: $vgpr8_vgpr9
.LBB6_2155:
	s_andn2_b64 vcc, exec, s[0:1]
	s_cbranch_vccnz .LBB6_2157
; %bb.2156:
	global_load_dword v8, v[10:11], off
	s_waitcnt vmcnt(0)
	v_cvt_f64_f32_e32 v[8:9], v8
.LBB6_2157:
	s_mov_b64 s[0:1], 0
.LBB6_2158:
	s_andn2_b64 vcc, exec, s[0:1]
	s_cbranch_vccnz .LBB6_2160
; %bb.2159:
	global_load_ushort v8, v[10:11], off
	s_waitcnt vmcnt(0)
	v_cvt_f32_f16_e32 v8, v8
	v_cvt_f64_f32_e32 v[8:9], v8
.LBB6_2160:
	s_mov_b64 s[0:1], 0
.LBB6_2161:
	s_andn2_b64 vcc, exec, s[0:1]
	s_cbranch_vccnz .LBB6_2181
; %bb.2162:
	s_waitcnt vmcnt(0)
	v_mov_b32_e32 v8, 2
	v_cmp_lt_i16_sdwa s[0:1], v16, v8 src0_sel:BYTE_0 src1_sel:DWORD
	s_and_b64 vcc, exec, s[0:1]
	s_cbranch_vccnz .LBB6_2166
; %bb.2163:
	v_mov_b32_e32 v8, 3
	v_cmp_lt_i16_sdwa s[0:1], v16, v8 src0_sel:BYTE_0 src1_sel:DWORD
	s_and_b64 vcc, exec, s[0:1]
	s_cbranch_vccnz .LBB6_2167
; %bb.2164:
	v_cmp_gt_i16_sdwa s[0:1], v16, v8 src0_sel:BYTE_0 src1_sel:DWORD
	s_and_b64 vcc, exec, s[0:1]
	s_cbranch_vccz .LBB6_2168
; %bb.2165:
	global_load_dwordx2 v[8:9], v[10:11], off
	s_mov_b64 s[0:1], 0
	s_waitcnt vmcnt(0)
	v_cvt_f64_i32_e32 v[22:23], v9
	v_cvt_f64_u32_e32 v[8:9], v8
	v_ldexp_f64 v[22:23], v[22:23], 32
	v_add_f64 v[8:9], v[22:23], v[8:9]
	s_branch .LBB6_2169
.LBB6_2166:
	s_mov_b64 s[0:1], -1
                                        ; implicit-def: $vgpr8_vgpr9
	s_branch .LBB6_2175
.LBB6_2167:
	s_mov_b64 s[0:1], -1
                                        ; implicit-def: $vgpr8_vgpr9
	s_branch .LBB6_2172
.LBB6_2168:
	s_mov_b64 s[0:1], -1
                                        ; implicit-def: $vgpr8_vgpr9
.LBB6_2169:
	s_andn2_b64 vcc, exec, s[0:1]
	s_cbranch_vccnz .LBB6_2171
; %bb.2170:
	global_load_dword v8, v[10:11], off
	s_waitcnt vmcnt(0)
	v_cvt_f64_i32_e32 v[8:9], v8
.LBB6_2171:
	s_mov_b64 s[0:1], 0
.LBB6_2172:
	s_andn2_b64 vcc, exec, s[0:1]
	s_cbranch_vccnz .LBB6_2174
; %bb.2173:
	global_load_sshort v8, v[10:11], off
	s_waitcnt vmcnt(0)
	v_cvt_f64_i32_e32 v[8:9], v8
.LBB6_2174:
	s_mov_b64 s[0:1], 0
.LBB6_2175:
	s_andn2_b64 vcc, exec, s[0:1]
	s_cbranch_vccnz .LBB6_2181
; %bb.2176:
	v_mov_b32_e32 v8, 0
	v_cmp_gt_i16_sdwa s[0:1], v16, v8 src0_sel:BYTE_0 src1_sel:DWORD
	s_and_b64 vcc, exec, s[0:1]
	s_cbranch_vccz .LBB6_2178
; %bb.2177:
	global_load_sbyte v8, v[10:11], off
	s_mov_b64 s[0:1], 0
	s_waitcnt vmcnt(0)
	v_cvt_f64_i32_e32 v[8:9], v8
	s_branch .LBB6_2179
.LBB6_2178:
	s_mov_b64 s[0:1], -1
                                        ; implicit-def: $vgpr8_vgpr9
.LBB6_2179:
	s_andn2_b64 vcc, exec, s[0:1]
	s_cbranch_vccnz .LBB6_2181
; %bb.2180:
	global_load_ubyte v8, v[10:11], off
	s_waitcnt vmcnt(0)
	v_cvt_f64_u32_e32 v[8:9], v8
.LBB6_2181:
	s_mov_b64 s[16:17], -1
.LBB6_2182:
	s_andn2_b64 vcc, exec, s[16:17]
	s_cbranch_vccnz .LBB6_2869
; %bb.2183:
	v_add_u32_e32 v17, s26, v12
	v_ashrrev_i32_e32 v10, 31, v17
	v_mov_b32_e32 v11, s3
	v_add_co_u32_e32 v12, vcc, s2, v17
	v_addc_co_u32_e32 v13, vcc, v11, v10, vcc
	v_mov_b32_e32 v10, 11
	v_cmp_lt_i16_sdwa s[0:1], v20, v10 src0_sel:BYTE_0 src1_sel:DWORD
	s_and_b64 vcc, exec, s[0:1]
	s_cbranch_vccnz .LBB6_2190
; %bb.2184:
	v_mov_b32_e32 v10, 25
	v_cmp_gt_i16_sdwa s[0:1], v20, v10 src0_sel:BYTE_0 src1_sel:DWORD
	s_mov_b64 s[14:15], 0
	s_and_b64 vcc, exec, s[0:1]
	s_cbranch_vccz .LBB6_2191
; %bb.2185:
	v_mov_b32_e32 v10, 28
	v_cmp_gt_i16_sdwa s[0:1], v20, v10 src0_sel:BYTE_0 src1_sel:DWORD
	s_and_b64 vcc, exec, s[0:1]
	s_cbranch_vccz .LBB6_2192
; %bb.2186:
	v_mov_b32_e32 v10, 43
	v_cmp_gt_i16_sdwa s[0:1], v20, v10 src0_sel:BYTE_0 src1_sel:DWORD
	;; [unrolled: 5-line block ×3, first 2 shown]
	s_and_b64 vcc, exec, s[0:1]
	s_cbranch_vccz .LBB6_2195
; %bb.2188:
	v_mov_b32_e32 v10, 46
	v_cmp_eq_u16_sdwa s[0:1], v20, v10 src0_sel:BYTE_0 src1_sel:DWORD
	s_mov_b64 s[20:21], 0
	s_and_b64 vcc, exec, s[0:1]
	s_cbranch_vccz .LBB6_2198
; %bb.2189:
	global_load_dword v10, v[12:13], off
	s_mov_b64 s[0:1], 0
	s_mov_b64 s[16:17], -1
	s_waitcnt vmcnt(0)
	v_lshlrev_b32_e32 v10, 16, v10
	v_cvt_f64_f32_e32 v[10:11], v10
	s_branch .LBB6_2199
.LBB6_2190:
	s_mov_b64 s[0:1], -1
	s_mov_b64 s[16:17], 0
                                        ; implicit-def: $vgpr10_vgpr11
	s_branch .LBB6_2265
.LBB6_2191:
	s_mov_b64 s[20:21], -1
	s_mov_b64 s[16:17], 0
	s_mov_b64 s[0:1], 0
                                        ; implicit-def: $vgpr10_vgpr11
	s_branch .LBB6_2228
.LBB6_2192:
	s_mov_b64 s[20:21], -1
	s_mov_b64 s[16:17], 0
	s_mov_b64 s[0:1], 0
                                        ; implicit-def: $vgpr10_vgpr11
	s_branch .LBB6_2209
.LBB6_2193:
	s_mov_b64 s[20:21], -1
	s_mov_b64 s[16:17], 0
	s_mov_b64 s[0:1], 0
                                        ; implicit-def: $vgpr10_vgpr11
	s_branch .LBB6_2204
.LBB6_2194:
	s_trap 2
	s_or_b64 s[18:19], s[18:19], exec
                                        ; implicit-def: $vgpr8_vgpr9
	s_cbranch_execz .LBB6_2131
	s_branch .LBB6_2132
.LBB6_2195:
	s_mov_b64 s[20:21], -1
	s_mov_b64 s[16:17], 0
	s_mov_b64 s[0:1], 0
                                        ; implicit-def: $vgpr10_vgpr11
	s_branch .LBB6_2199
.LBB6_2196:
	s_or_saveexec_b64 s[44:45], s[44:45]
                                        ; implicit-def: $sgpr15
	s_xor_b64 exec, exec, s[44:45]
	s_cbranch_execz .LBB6_1122
.LBB6_2197:
	s_mov_b32 s15, 0x42800000
	v_add_f32_e64 v3, |v2|, s15
	v_and_b32_e32 v3, 0xff, v3
	v_cmp_ne_u32_e32 vcc, 0, v3
	s_andn2_b64 s[42:43], s[42:43], exec
	s_and_b64 s[46:47], vcc, exec
	s_mov_b32 s15, 0
	s_or_b64 s[42:43], s[42:43], s[46:47]
	s_or_b64 exec, exec, s[44:45]
	v_mov_b32_e32 v6, s15
	s_and_saveexec_b64 s[44:45], s[42:43]
	s_cbranch_execnz .LBB6_1123
	s_branch .LBB6_1124
.LBB6_2198:
	s_mov_b64 s[0:1], -1
                                        ; implicit-def: $vgpr10_vgpr11
	s_mov_b64 s[16:17], 0
.LBB6_2199:
	s_and_b64 vcc, exec, s[20:21]
	s_cbranch_vccz .LBB6_2203
; %bb.2200:
	v_mov_b32_e32 v10, 44
	v_cmp_eq_u16_sdwa s[0:1], v20, v10 src0_sel:BYTE_0 src1_sel:DWORD
	s_and_b64 vcc, exec, s[0:1]
	s_cbranch_vccz .LBB6_2202
; %bb.2201:
	global_load_ubyte v15, v[12:13], off
	s_movk_i32 s16, 0xff
	v_bfrev_b32_e32 v21, 4
	v_mov_b32_e32 v22, 0x7ff80000
	v_bfrev_b32_e32 v23, 28
	s_mov_b64 s[0:1], 0
	s_waitcnt vmcnt(0)
	v_lshlrev_b32_e32 v10, 23, v15
	v_cvt_f64_f32_e32 v[10:11], v10
	v_cmp_ne_u32_e32 vcc, s16, v15
	v_cndmask_b32_e32 v10, v21, v10, vcc
	v_cndmask_b32_e32 v11, v22, v11, vcc
	v_cmp_ne_u32_e32 vcc, 0, v15
	v_cndmask_b32_e32 v11, v23, v11, vcc
	v_cndmask_b32_e32 v10, 0, v10, vcc
	s_mov_b64 s[16:17], -1
	s_branch .LBB6_2203
.LBB6_2202:
	s_mov_b64 s[0:1], -1
                                        ; implicit-def: $vgpr10_vgpr11
.LBB6_2203:
	s_mov_b64 s[20:21], 0
.LBB6_2204:
	s_and_b64 vcc, exec, s[20:21]
	s_cbranch_vccz .LBB6_2208
; %bb.2205:
	v_mov_b32_e32 v10, 29
	v_cmp_eq_u16_sdwa s[0:1], v20, v10 src0_sel:BYTE_0 src1_sel:DWORD
	s_and_b64 vcc, exec, s[0:1]
	s_cbranch_vccz .LBB6_2207
; %bb.2206:
	global_load_dwordx2 v[10:11], v[12:13], off
	s_mov_b64 s[0:1], 0
	s_mov_b64 s[16:17], -1
	s_mov_b64 s[20:21], 0
	s_waitcnt vmcnt(0)
	v_cvt_f64_u32_e32 v[22:23], v11
	v_cvt_f64_u32_e32 v[10:11], v10
	v_ldexp_f64 v[22:23], v[22:23], 32
	v_add_f64 v[10:11], v[22:23], v[10:11]
	s_branch .LBB6_2209
.LBB6_2207:
	s_mov_b64 s[0:1], -1
                                        ; implicit-def: $vgpr10_vgpr11
.LBB6_2208:
	s_mov_b64 s[20:21], 0
.LBB6_2209:
	s_and_b64 vcc, exec, s[20:21]
	s_cbranch_vccz .LBB6_2227
; %bb.2210:
	v_mov_b32_e32 v10, 27
	v_cmp_lt_i16_sdwa s[16:17], v20, v10 src0_sel:BYTE_0 src1_sel:DWORD
	s_and_b64 vcc, exec, s[16:17]
	s_cbranch_vccnz .LBB6_2213
; %bb.2211:
	v_cmp_gt_i16_sdwa s[16:17], v20, v10 src0_sel:BYTE_0 src1_sel:DWORD
	s_and_b64 vcc, exec, s[16:17]
	s_cbranch_vccz .LBB6_2214
; %bb.2212:
	global_load_dword v10, v[12:13], off
	s_mov_b64 s[16:17], 0
	s_waitcnt vmcnt(0)
	v_cvt_f64_u32_e32 v[10:11], v10
	s_branch .LBB6_2215
.LBB6_2213:
	s_mov_b64 s[16:17], -1
                                        ; implicit-def: $vgpr10_vgpr11
	s_branch .LBB6_2218
.LBB6_2214:
	s_mov_b64 s[16:17], -1
                                        ; implicit-def: $vgpr10_vgpr11
.LBB6_2215:
	s_andn2_b64 vcc, exec, s[16:17]
	s_cbranch_vccnz .LBB6_2217
; %bb.2216:
	global_load_ushort v10, v[12:13], off
	s_waitcnt vmcnt(0)
	v_cvt_f64_u32_e32 v[10:11], v10
.LBB6_2217:
	s_mov_b64 s[16:17], 0
.LBB6_2218:
	s_andn2_b64 vcc, exec, s[16:17]
	s_cbranch_vccnz .LBB6_2226
; %bb.2219:
	global_load_ubyte v15, v[12:13], off
	s_movk_i32 s16, 0x7f
                                        ; implicit-def: $sgpr20_sgpr21
	s_waitcnt vmcnt(0)
	v_cmp_lt_i16_e32 vcc, s16, v15
	s_mov_b64 s[16:17], 0
	s_and_saveexec_b64 s[22:23], vcc
	s_xor_b64 s[22:23], exec, s[22:23]
	s_cbranch_execz .LBB6_2240
; %bb.2220:
	s_movk_i32 s16, 0x80
	v_cmp_eq_u16_e32 vcc, s16, v15
	s_mov_b64 s[24:25], -1
                                        ; implicit-def: $sgpr20_sgpr21
	s_and_saveexec_b64 s[16:17], vcc
; %bb.2221:
	s_mov_b32 s21, 0x7ff80000
	s_brev_b32 s20, 4
	s_xor_b64 s[24:25], exec, -1
; %bb.2222:
	s_or_b64 exec, exec, s[16:17]
	s_and_b64 s[16:17], s[24:25], exec
	s_or_saveexec_b64 s[22:23], s[22:23]
	v_pk_mov_b32 v[10:11], s[20:21], s[20:21] op_sel:[0,1]
	s_xor_b64 exec, exec, s[22:23]
	s_cbranch_execnz .LBB6_2241
.LBB6_2223:
	s_or_b64 exec, exec, s[22:23]
	s_and_saveexec_b64 s[20:21], s[16:17]
	s_cbranch_execz .LBB6_2225
.LBB6_2224:
	v_and_b32_e32 v11, 0xffff, v15
	v_lshlrev_b32_e32 v10, 24, v15
	v_and_b32_e32 v15, 7, v11
	v_ffbh_u32_e32 v22, v15
	v_min_u32_e32 v22, 32, v22
	v_subrev_u32_e32 v23, 28, v22
	v_bfe_u32 v21, v11, 3, 4
	v_lshlrev_b32_e32 v11, v23, v11
	v_sub_u32_e32 v22, 29, v22
	v_and_b32_e32 v11, 7, v11
	v_cmp_eq_u32_e32 vcc, 0, v21
	v_cndmask_b32_e32 v21, v21, v22, vcc
	v_cndmask_b32_e32 v11, v15, v11, vcc
	v_mov_b32_e32 v15, 0x3b800000
	v_lshlrev_b32_e32 v11, 20, v11
	v_and_b32_e32 v10, 0x80000000, v10
	v_lshl_add_u32 v15, v21, 23, v15
	v_or3_b32 v10, v10, v15, v11
	v_cvt_f64_f32_e32 v[10:11], v10
.LBB6_2225:
	s_or_b64 exec, exec, s[20:21]
.LBB6_2226:
	s_mov_b64 s[16:17], -1
.LBB6_2227:
	s_mov_b64 s[20:21], 0
.LBB6_2228:
	s_and_b64 vcc, exec, s[20:21]
	s_cbranch_vccz .LBB6_2261
; %bb.2229:
	v_mov_b32_e32 v10, 22
	v_cmp_gt_i16_sdwa s[14:15], v20, v10 src0_sel:BYTE_0 src1_sel:DWORD
	s_and_b64 vcc, exec, s[14:15]
	s_cbranch_vccz .LBB6_2239
; %bb.2230:
	v_mov_b32_e32 v10, 24
	v_cmp_lt_i16_sdwa s[14:15], v20, v10 src0_sel:BYTE_0 src1_sel:DWORD
	s_and_b64 vcc, exec, s[14:15]
	s_cbranch_vccnz .LBB6_2242
; %bb.2231:
	v_cmp_gt_i16_sdwa s[14:15], v20, v10 src0_sel:BYTE_0 src1_sel:DWORD
	s_and_b64 vcc, exec, s[14:15]
	s_cbranch_vccz .LBB6_2243
; %bb.2232:
	global_load_ubyte v15, v[12:13], off
	s_movk_i32 s14, 0x7f
                                        ; implicit-def: $sgpr16_sgpr17
	s_waitcnt vmcnt(0)
	v_cmp_lt_i16_e32 vcc, s14, v15
	s_mov_b64 s[14:15], 0
	s_and_saveexec_b64 s[20:21], vcc
	s_xor_b64 s[20:21], exec, s[20:21]
	s_cbranch_execz .LBB6_2255
; %bb.2233:
	s_movk_i32 s14, 0x80
	v_cmp_eq_u16_e32 vcc, s14, v15
	s_mov_b64 s[22:23], -1
                                        ; implicit-def: $sgpr16_sgpr17
	s_and_saveexec_b64 s[14:15], vcc
; %bb.2234:
	s_mov_b32 s17, 0x7ff80000
	s_brev_b32 s16, 4
	s_xor_b64 s[22:23], exec, -1
; %bb.2235:
	s_or_b64 exec, exec, s[14:15]
	s_and_b64 s[14:15], s[22:23], exec
	s_or_saveexec_b64 s[20:21], s[20:21]
	v_pk_mov_b32 v[10:11], s[16:17], s[16:17] op_sel:[0,1]
	s_xor_b64 exec, exec, s[20:21]
	s_cbranch_execnz .LBB6_2256
.LBB6_2236:
	s_or_b64 exec, exec, s[20:21]
	s_and_saveexec_b64 s[16:17], s[14:15]
	s_cbranch_execz .LBB6_2238
.LBB6_2237:
	v_and_b32_e32 v11, 0xffff, v15
	v_lshlrev_b32_e32 v10, 24, v15
	v_and_b32_e32 v15, 3, v11
	v_ffbh_u32_e32 v22, v15
	v_min_u32_e32 v22, 32, v22
	v_subrev_u32_e32 v23, 29, v22
	v_bfe_u32 v21, v11, 2, 5
	v_lshlrev_b32_e32 v11, v23, v11
	v_sub_u32_e32 v22, 30, v22
	v_and_b32_e32 v11, 3, v11
	v_cmp_eq_u32_e32 vcc, 0, v21
	v_cndmask_b32_e32 v21, v21, v22, vcc
	v_cndmask_b32_e32 v11, v15, v11, vcc
	v_mov_b32_e32 v15, 0x37800000
	v_lshlrev_b32_e32 v11, 21, v11
	v_and_b32_e32 v10, 0x80000000, v10
	v_lshl_add_u32 v15, v21, 23, v15
	v_or3_b32 v10, v10, v15, v11
	v_cvt_f64_f32_e32 v[10:11], v10
.LBB6_2238:
	s_or_b64 exec, exec, s[16:17]
	s_mov_b64 s[14:15], 0
	s_branch .LBB6_2244
.LBB6_2239:
	s_mov_b64 s[14:15], -1
                                        ; implicit-def: $vgpr10_vgpr11
	s_branch .LBB6_2250
.LBB6_2240:
	s_or_saveexec_b64 s[22:23], s[22:23]
	v_pk_mov_b32 v[10:11], s[20:21], s[20:21] op_sel:[0,1]
	s_xor_b64 exec, exec, s[22:23]
	s_cbranch_execz .LBB6_2223
.LBB6_2241:
	v_cmp_ne_u16_e32 vcc, 0, v15
	s_andn2_b64 s[16:17], s[16:17], exec
	s_and_b64 s[20:21], vcc, exec
	v_pk_mov_b32 v[10:11], 0, 0
	s_or_b64 s[16:17], s[16:17], s[20:21]
	s_or_b64 exec, exec, s[22:23]
	s_and_saveexec_b64 s[20:21], s[16:17]
	s_cbranch_execnz .LBB6_2224
	s_branch .LBB6_2225
.LBB6_2242:
	s_mov_b64 s[14:15], -1
                                        ; implicit-def: $vgpr10_vgpr11
	s_branch .LBB6_2247
.LBB6_2243:
	s_mov_b64 s[14:15], -1
                                        ; implicit-def: $vgpr10_vgpr11
.LBB6_2244:
	s_and_b64 vcc, exec, s[14:15]
	s_cbranch_vccz .LBB6_2246
; %bb.2245:
	global_load_ubyte v10, v[12:13], off
	s_mov_b32 s14, 0x7f800000
	s_waitcnt vmcnt(0)
	v_lshlrev_b32_e32 v10, 24, v10
	v_and_b32_e32 v11, 0x7f000000, v10
	v_ffbh_u32_e32 v15, v11
	v_min_u32_e32 v15, 32, v15
	v_sub_u32_e64 v15, v15, 4 clamp
	v_lshlrev_b32_e32 v22, v15, v11
	v_lshlrev_b32_e32 v15, 23, v15
	v_lshrrev_b32_e32 v22, 4, v22
	v_add_u32_e32 v21, 0x1000000, v11
	v_sub_u32_e32 v15, v22, v15
	v_ashrrev_i32_e32 v21, 8, v21
	v_add_u32_e32 v15, 0x3c000000, v15
	v_and_or_b32 v15, v21, s14, v15
	v_cmp_ne_u32_e32 vcc, 0, v11
	v_cndmask_b32_e32 v11, 0, v15, vcc
	s_brev_b32 s14, 1
	v_and_or_b32 v10, v10, s14, v11
	v_cvt_f64_f32_e32 v[10:11], v10
.LBB6_2246:
	s_mov_b64 s[14:15], 0
.LBB6_2247:
	s_andn2_b64 vcc, exec, s[14:15]
	s_cbranch_vccnz .LBB6_2249
; %bb.2248:
	global_load_ubyte v10, v[12:13], off
	s_movk_i32 s14, 0x7f00
	s_brev_b32 s15, 16
	s_waitcnt vmcnt(0)
	v_lshlrev_b16_e32 v11, 8, v10
	v_lshlrev_b32_e32 v10, 25, v10
	v_lshrrev_b32_e32 v15, 4, v10
	v_and_or_b32 v21, v11, s14, 0.5
	v_or_b32_e32 v15, 0x70000000, v15
	v_add_f32_e32 v21, -0.5, v21
	v_mul_f32_e32 v15, 0x7800000, v15
	v_cmp_gt_u32_e32 vcc, s15, v10
	v_bfe_i32 v11, v11, 0, 16
	v_cndmask_b32_e32 v10, v15, v21, vcc
	s_brev_b32 s14, 1
	v_and_or_b32 v10, v11, s14, v10
	v_cvt_f64_f32_e32 v[10:11], v10
.LBB6_2249:
	s_mov_b64 s[14:15], 0
	s_mov_b64 s[16:17], -1
.LBB6_2250:
	s_andn2_b64 vcc, exec, s[14:15]
	s_mov_b64 s[14:15], 0
	s_cbranch_vccnz .LBB6_2261
; %bb.2251:
	v_mov_b32_e32 v10, 14
	v_cmp_gt_i16_sdwa s[14:15], v20, v10 src0_sel:BYTE_0 src1_sel:DWORD
	s_and_b64 vcc, exec, s[14:15]
	s_cbranch_vccz .LBB6_2254
; %bb.2252:
	v_mov_b32_e32 v10, 15
	v_cmp_eq_u16_sdwa s[0:1], v20, v10 src0_sel:BYTE_0 src1_sel:DWORD
	s_and_b64 vcc, exec, s[0:1]
	s_cbranch_vccz .LBB6_2257
; %bb.2253:
	global_load_ushort v10, v[12:13], off
	s_mov_b64 s[0:1], 0
	s_mov_b64 s[16:17], -1
	s_waitcnt vmcnt(0)
	v_lshlrev_b32_e32 v10, 16, v10
	v_cvt_f64_f32_e32 v[10:11], v10
	s_branch .LBB6_2258
.LBB6_2254:
	s_mov_b64 s[20:21], -1
                                        ; implicit-def: $vgpr10_vgpr11
	s_branch .LBB6_2259
.LBB6_2255:
	s_or_saveexec_b64 s[20:21], s[20:21]
	v_pk_mov_b32 v[10:11], s[16:17], s[16:17] op_sel:[0,1]
	s_xor_b64 exec, exec, s[20:21]
	s_cbranch_execz .LBB6_2236
.LBB6_2256:
	v_cmp_ne_u16_e32 vcc, 0, v15
	s_andn2_b64 s[14:15], s[14:15], exec
	s_and_b64 s[16:17], vcc, exec
	v_pk_mov_b32 v[10:11], 0, 0
	s_or_b64 s[14:15], s[14:15], s[16:17]
	s_or_b64 exec, exec, s[20:21]
	s_and_saveexec_b64 s[16:17], s[14:15]
	s_cbranch_execnz .LBB6_2237
	s_branch .LBB6_2238
.LBB6_2257:
	s_mov_b64 s[0:1], -1
                                        ; implicit-def: $vgpr10_vgpr11
.LBB6_2258:
	s_mov_b64 s[20:21], 0
.LBB6_2259:
	s_mov_b64 s[14:15], 0
	s_and_b64 vcc, exec, s[20:21]
	s_cbranch_vccz .LBB6_2261
; %bb.2260:
	v_mov_b32_e32 v10, 11
	v_cmp_ne_u16_sdwa s[0:1], v20, v10 src0_sel:BYTE_0 src1_sel:DWORD
	s_mov_b64 s[14:15], -1
                                        ; implicit-def: $vgpr10_vgpr11
.LBB6_2261:
	s_and_b64 vcc, exec, s[0:1]
	s_cbranch_vccnz .LBB6_2326
; %bb.2262:
	s_andn2_b64 vcc, exec, s[14:15]
	s_cbranch_vccnz .LBB6_2264
.LBB6_2263:
	global_load_ubyte v11, v[12:13], off
	v_mov_b32_e32 v15, 0x3ff00000
	v_mov_b32_e32 v10, 0
	s_mov_b64 s[16:17], -1
	s_waitcnt vmcnt(0)
	v_cmp_ne_u16_e32 vcc, 0, v11
	v_cndmask_b32_e32 v11, 0, v15, vcc
.LBB6_2264:
	s_mov_b64 s[0:1], 0
.LBB6_2265:
	s_and_b64 vcc, exec, s[0:1]
	s_cbranch_vccz .LBB6_2314
; %bb.2266:
	v_mov_b32_e32 v10, 5
	v_cmp_lt_i16_sdwa s[0:1], v20, v10 src0_sel:BYTE_0 src1_sel:DWORD
	s_and_b64 vcc, exec, s[0:1]
	s_cbranch_vccnz .LBB6_2271
; %bb.2267:
	v_mov_b32_e32 v10, 8
	v_cmp_lt_i16_sdwa s[0:1], v20, v10 src0_sel:BYTE_0 src1_sel:DWORD
	s_and_b64 vcc, exec, s[0:1]
	s_cbranch_vccnz .LBB6_2272
	;; [unrolled: 5-line block ×3, first 2 shown]
; %bb.2269:
	v_cmp_gt_i16_sdwa s[0:1], v20, v10 src0_sel:BYTE_0 src1_sel:DWORD
	s_and_b64 vcc, exec, s[0:1]
	s_cbranch_vccz .LBB6_2274
; %bb.2270:
	global_load_dwordx2 v[10:11], v[12:13], off
	s_mov_b64 s[0:1], 0
	s_branch .LBB6_2275
.LBB6_2271:
	s_mov_b64 s[0:1], -1
                                        ; implicit-def: $vgpr10_vgpr11
	s_branch .LBB6_2293
.LBB6_2272:
	s_mov_b64 s[0:1], -1
                                        ; implicit-def: $vgpr10_vgpr11
	s_branch .LBB6_2281
.LBB6_2273:
	s_mov_b64 s[0:1], -1
                                        ; implicit-def: $vgpr10_vgpr11
	s_branch .LBB6_2278
.LBB6_2274:
	s_mov_b64 s[0:1], -1
                                        ; implicit-def: $vgpr10_vgpr11
.LBB6_2275:
	s_andn2_b64 vcc, exec, s[0:1]
	s_cbranch_vccnz .LBB6_2277
; %bb.2276:
	global_load_dword v10, v[12:13], off
	s_waitcnt vmcnt(0)
	v_cvt_f64_f32_e32 v[10:11], v10
.LBB6_2277:
	s_mov_b64 s[0:1], 0
.LBB6_2278:
	s_andn2_b64 vcc, exec, s[0:1]
	s_cbranch_vccnz .LBB6_2280
; %bb.2279:
	global_load_dword v10, v[12:13], off
	s_waitcnt vmcnt(0)
	v_cvt_f32_f16_e32 v10, v10
	v_cvt_f64_f32_e32 v[10:11], v10
.LBB6_2280:
	s_mov_b64 s[0:1], 0
.LBB6_2281:
	s_andn2_b64 vcc, exec, s[0:1]
	s_cbranch_vccnz .LBB6_2292
; %bb.2282:
	s_waitcnt vmcnt(0)
	v_mov_b32_e32 v10, 6
	v_cmp_lt_i16_sdwa s[0:1], v20, v10 src0_sel:BYTE_0 src1_sel:DWORD
	s_and_b64 vcc, exec, s[0:1]
	s_cbranch_vccnz .LBB6_2285
; %bb.2283:
	v_cmp_gt_i16_sdwa s[0:1], v20, v10 src0_sel:BYTE_0 src1_sel:DWORD
	s_and_b64 vcc, exec, s[0:1]
	s_cbranch_vccz .LBB6_2286
; %bb.2284:
	global_load_dwordx2 v[10:11], v[12:13], off
	s_mov_b64 s[0:1], 0
	s_branch .LBB6_2287
.LBB6_2285:
	s_mov_b64 s[0:1], -1
                                        ; implicit-def: $vgpr10_vgpr11
	s_branch .LBB6_2290
.LBB6_2286:
	s_mov_b64 s[0:1], -1
                                        ; implicit-def: $vgpr10_vgpr11
.LBB6_2287:
	s_andn2_b64 vcc, exec, s[0:1]
	s_cbranch_vccnz .LBB6_2289
; %bb.2288:
	global_load_dword v10, v[12:13], off
	s_waitcnt vmcnt(0)
	v_cvt_f64_f32_e32 v[10:11], v10
.LBB6_2289:
	s_mov_b64 s[0:1], 0
.LBB6_2290:
	s_andn2_b64 vcc, exec, s[0:1]
	s_cbranch_vccnz .LBB6_2292
; %bb.2291:
	global_load_ushort v10, v[12:13], off
	s_waitcnt vmcnt(0)
	v_cvt_f32_f16_e32 v10, v10
	v_cvt_f64_f32_e32 v[10:11], v10
.LBB6_2292:
	s_mov_b64 s[0:1], 0
.LBB6_2293:
	s_andn2_b64 vcc, exec, s[0:1]
	s_cbranch_vccnz .LBB6_2313
; %bb.2294:
	s_waitcnt vmcnt(0)
	v_mov_b32_e32 v10, 2
	v_cmp_lt_i16_sdwa s[0:1], v20, v10 src0_sel:BYTE_0 src1_sel:DWORD
	s_and_b64 vcc, exec, s[0:1]
	s_cbranch_vccnz .LBB6_2298
; %bb.2295:
	v_mov_b32_e32 v10, 3
	v_cmp_lt_i16_sdwa s[0:1], v20, v10 src0_sel:BYTE_0 src1_sel:DWORD
	s_and_b64 vcc, exec, s[0:1]
	s_cbranch_vccnz .LBB6_2299
; %bb.2296:
	v_cmp_gt_i16_sdwa s[0:1], v20, v10 src0_sel:BYTE_0 src1_sel:DWORD
	s_and_b64 vcc, exec, s[0:1]
	s_cbranch_vccz .LBB6_2300
; %bb.2297:
	global_load_dwordx2 v[10:11], v[12:13], off
	s_mov_b64 s[0:1], 0
	s_waitcnt vmcnt(0)
	v_cvt_f64_i32_e32 v[22:23], v11
	v_cvt_f64_u32_e32 v[10:11], v10
	v_ldexp_f64 v[22:23], v[22:23], 32
	v_add_f64 v[10:11], v[22:23], v[10:11]
	s_branch .LBB6_2301
.LBB6_2298:
	s_mov_b64 s[0:1], -1
                                        ; implicit-def: $vgpr10_vgpr11
	s_branch .LBB6_2307
.LBB6_2299:
	s_mov_b64 s[0:1], -1
                                        ; implicit-def: $vgpr10_vgpr11
	s_branch .LBB6_2304
.LBB6_2300:
	s_mov_b64 s[0:1], -1
                                        ; implicit-def: $vgpr10_vgpr11
.LBB6_2301:
	s_andn2_b64 vcc, exec, s[0:1]
	s_cbranch_vccnz .LBB6_2303
; %bb.2302:
	global_load_dword v10, v[12:13], off
	s_waitcnt vmcnt(0)
	v_cvt_f64_i32_e32 v[10:11], v10
.LBB6_2303:
	s_mov_b64 s[0:1], 0
.LBB6_2304:
	s_andn2_b64 vcc, exec, s[0:1]
	s_cbranch_vccnz .LBB6_2306
; %bb.2305:
	global_load_sshort v10, v[12:13], off
	s_waitcnt vmcnt(0)
	v_cvt_f64_i32_e32 v[10:11], v10
.LBB6_2306:
	s_mov_b64 s[0:1], 0
.LBB6_2307:
	s_andn2_b64 vcc, exec, s[0:1]
	s_cbranch_vccnz .LBB6_2313
; %bb.2308:
	v_mov_b32_e32 v10, 0
	v_cmp_gt_i16_sdwa s[0:1], v20, v10 src0_sel:BYTE_0 src1_sel:DWORD
	s_and_b64 vcc, exec, s[0:1]
	s_cbranch_vccz .LBB6_2310
; %bb.2309:
	global_load_sbyte v10, v[12:13], off
	s_mov_b64 s[0:1], 0
	s_waitcnt vmcnt(0)
	v_cvt_f64_i32_e32 v[10:11], v10
	s_branch .LBB6_2311
.LBB6_2310:
	s_mov_b64 s[0:1], -1
                                        ; implicit-def: $vgpr10_vgpr11
.LBB6_2311:
	s_andn2_b64 vcc, exec, s[0:1]
	s_cbranch_vccnz .LBB6_2313
; %bb.2312:
	global_load_ubyte v10, v[12:13], off
	s_waitcnt vmcnt(0)
	v_cvt_f64_u32_e32 v[10:11], v10
.LBB6_2313:
	s_mov_b64 s[16:17], -1
.LBB6_2314:
	s_andn2_b64 vcc, exec, s[16:17]
	s_cbranch_vccnz .LBB6_2869
; %bb.2315:
	v_add_u32_e32 v12, s13, v14
	v_ashrrev_i32_e32 v13, 31, v12
	v_mov_b32_e32 v15, s11
	v_add_co_u32_e32 v14, vcc, s10, v12
	v_mov_b32_e32 v12, 11
	v_addc_co_u32_e32 v15, vcc, v15, v13, vcc
	v_cmp_lt_i16_sdwa s[0:1], v16, v12 src0_sel:BYTE_0 src1_sel:DWORD
	s_and_b64 vcc, exec, s[0:1]
	s_cbranch_vccnz .LBB6_2322
; %bb.2316:
	v_mov_b32_e32 v12, 25
	v_cmp_gt_i16_sdwa s[0:1], v16, v12 src0_sel:BYTE_0 src1_sel:DWORD
	s_mov_b64 s[10:11], 0
	s_and_b64 vcc, exec, s[0:1]
	s_cbranch_vccz .LBB6_2323
; %bb.2317:
	v_mov_b32_e32 v12, 28
	v_cmp_gt_i16_sdwa s[0:1], v16, v12 src0_sel:BYTE_0 src1_sel:DWORD
	s_and_b64 vcc, exec, s[0:1]
	s_cbranch_vccz .LBB6_2324
; %bb.2318:
	v_mov_b32_e32 v12, 43
	v_cmp_gt_i16_sdwa s[0:1], v16, v12 src0_sel:BYTE_0 src1_sel:DWORD
	;; [unrolled: 5-line block ×3, first 2 shown]
	s_and_b64 vcc, exec, s[0:1]
	s_cbranch_vccz .LBB6_2327
; %bb.2320:
	v_mov_b32_e32 v12, 46
	v_cmp_eq_u16_sdwa s[0:1], v16, v12 src0_sel:BYTE_0 src1_sel:DWORD
	s_mov_b64 s[16:17], 0
	s_and_b64 vcc, exec, s[0:1]
	s_cbranch_vccz .LBB6_2328
; %bb.2321:
	global_load_dword v12, v[14:15], off
	s_mov_b64 s[0:1], 0
	s_mov_b64 s[14:15], -1
	s_waitcnt vmcnt(0)
	v_lshlrev_b32_e32 v12, 16, v12
	v_cvt_f64_f32_e32 v[12:13], v12
	s_branch .LBB6_2329
.LBB6_2322:
	s_mov_b64 s[0:1], -1
	s_mov_b64 s[14:15], 0
                                        ; implicit-def: $vgpr12_vgpr13
	s_branch .LBB6_2395
.LBB6_2323:
	s_mov_b64 s[16:17], -1
	s_mov_b64 s[14:15], 0
	s_mov_b64 s[0:1], 0
                                        ; implicit-def: $vgpr12_vgpr13
	s_branch .LBB6_2358
.LBB6_2324:
	s_mov_b64 s[16:17], -1
	s_mov_b64 s[14:15], 0
	s_mov_b64 s[0:1], 0
                                        ; implicit-def: $vgpr12_vgpr13
	s_branch .LBB6_2339
.LBB6_2325:
	s_mov_b64 s[16:17], -1
	s_mov_b64 s[14:15], 0
	s_mov_b64 s[0:1], 0
                                        ; implicit-def: $vgpr12_vgpr13
	s_branch .LBB6_2334
.LBB6_2326:
	s_trap 2
	s_or_b64 s[18:19], s[18:19], exec
                                        ; implicit-def: $vgpr10_vgpr11
	s_cbranch_execz .LBB6_2263
	s_branch .LBB6_2264
.LBB6_2327:
	s_mov_b64 s[16:17], -1
	s_mov_b64 s[14:15], 0
	s_mov_b64 s[0:1], 0
                                        ; implicit-def: $vgpr12_vgpr13
	s_branch .LBB6_2329
.LBB6_2328:
	s_mov_b64 s[0:1], -1
                                        ; implicit-def: $vgpr12_vgpr13
	s_mov_b64 s[14:15], 0
.LBB6_2329:
	s_and_b64 vcc, exec, s[16:17]
	s_cbranch_vccz .LBB6_2333
; %bb.2330:
	v_mov_b32_e32 v12, 44
	v_cmp_eq_u16_sdwa s[0:1], v16, v12 src0_sel:BYTE_0 src1_sel:DWORD
	s_and_b64 vcc, exec, s[0:1]
	s_cbranch_vccz .LBB6_2332
; %bb.2331:
	global_load_ubyte v21, v[14:15], off
	s_movk_i32 s13, 0xff
	v_bfrev_b32_e32 v22, 4
	v_mov_b32_e32 v23, 0x7ff80000
	v_bfrev_b32_e32 v24, 28
	s_mov_b64 s[0:1], 0
	s_mov_b64 s[14:15], -1
	s_waitcnt vmcnt(0)
	v_lshlrev_b32_e32 v12, 23, v21
	v_cvt_f64_f32_e32 v[12:13], v12
	v_cmp_ne_u32_e32 vcc, s13, v21
	v_cndmask_b32_e32 v12, v22, v12, vcc
	v_cndmask_b32_e32 v13, v23, v13, vcc
	v_cmp_ne_u32_e32 vcc, 0, v21
	v_cndmask_b32_e32 v13, v24, v13, vcc
	v_cndmask_b32_e32 v12, 0, v12, vcc
	s_branch .LBB6_2333
.LBB6_2332:
	s_mov_b64 s[0:1], -1
                                        ; implicit-def: $vgpr12_vgpr13
.LBB6_2333:
	s_mov_b64 s[16:17], 0
.LBB6_2334:
	s_and_b64 vcc, exec, s[16:17]
	s_cbranch_vccz .LBB6_2338
; %bb.2335:
	v_mov_b32_e32 v12, 29
	v_cmp_eq_u16_sdwa s[0:1], v16, v12 src0_sel:BYTE_0 src1_sel:DWORD
	s_and_b64 vcc, exec, s[0:1]
	s_cbranch_vccz .LBB6_2337
; %bb.2336:
	global_load_dwordx2 v[12:13], v[14:15], off
	s_mov_b64 s[0:1], 0
	s_mov_b64 s[14:15], -1
	s_mov_b64 s[16:17], 0
	s_waitcnt vmcnt(0)
	v_cvt_f64_u32_e32 v[22:23], v13
	v_cvt_f64_u32_e32 v[12:13], v12
	v_ldexp_f64 v[22:23], v[22:23], 32
	v_add_f64 v[12:13], v[22:23], v[12:13]
	s_branch .LBB6_2339
.LBB6_2337:
	s_mov_b64 s[0:1], -1
                                        ; implicit-def: $vgpr12_vgpr13
.LBB6_2338:
	s_mov_b64 s[16:17], 0
.LBB6_2339:
	s_and_b64 vcc, exec, s[16:17]
	s_cbranch_vccz .LBB6_2357
; %bb.2340:
	v_mov_b32_e32 v12, 27
	v_cmp_lt_i16_sdwa s[14:15], v16, v12 src0_sel:BYTE_0 src1_sel:DWORD
	s_and_b64 vcc, exec, s[14:15]
	s_cbranch_vccnz .LBB6_2343
; %bb.2341:
	v_cmp_gt_i16_sdwa s[14:15], v16, v12 src0_sel:BYTE_0 src1_sel:DWORD
	s_and_b64 vcc, exec, s[14:15]
	s_cbranch_vccz .LBB6_2344
; %bb.2342:
	global_load_dword v12, v[14:15], off
	s_mov_b64 s[14:15], 0
	s_waitcnt vmcnt(0)
	v_cvt_f64_u32_e32 v[12:13], v12
	s_branch .LBB6_2345
.LBB6_2343:
	s_mov_b64 s[14:15], -1
                                        ; implicit-def: $vgpr12_vgpr13
	s_branch .LBB6_2348
.LBB6_2344:
	s_mov_b64 s[14:15], -1
                                        ; implicit-def: $vgpr12_vgpr13
.LBB6_2345:
	s_andn2_b64 vcc, exec, s[14:15]
	s_cbranch_vccnz .LBB6_2347
; %bb.2346:
	global_load_ushort v12, v[14:15], off
	s_waitcnt vmcnt(0)
	v_cvt_f64_u32_e32 v[12:13], v12
.LBB6_2347:
	s_mov_b64 s[14:15], 0
.LBB6_2348:
	s_andn2_b64 vcc, exec, s[14:15]
	s_cbranch_vccnz .LBB6_2356
; %bb.2349:
	global_load_ubyte v21, v[14:15], off
	s_movk_i32 s13, 0x7f
	s_mov_b64 s[14:15], 0
                                        ; implicit-def: $sgpr16_sgpr17
	s_waitcnt vmcnt(0)
	v_cmp_lt_i16_e32 vcc, s13, v21
	s_and_saveexec_b64 s[20:21], vcc
	s_xor_b64 s[20:21], exec, s[20:21]
	s_cbranch_execz .LBB6_2370
; %bb.2350:
	s_movk_i32 s13, 0x80
	v_cmp_eq_u16_e32 vcc, s13, v21
	s_mov_b64 s[22:23], -1
                                        ; implicit-def: $sgpr16_sgpr17
	s_and_saveexec_b64 s[14:15], vcc
; %bb.2351:
	s_mov_b32 s17, 0x7ff80000
	s_brev_b32 s16, 4
	s_xor_b64 s[22:23], exec, -1
; %bb.2352:
	s_or_b64 exec, exec, s[14:15]
	s_and_b64 s[14:15], s[22:23], exec
	s_or_saveexec_b64 s[20:21], s[20:21]
	v_pk_mov_b32 v[12:13], s[16:17], s[16:17] op_sel:[0,1]
	s_xor_b64 exec, exec, s[20:21]
	s_cbranch_execnz .LBB6_2371
.LBB6_2353:
	s_or_b64 exec, exec, s[20:21]
	s_and_saveexec_b64 s[16:17], s[14:15]
	s_cbranch_execz .LBB6_2355
.LBB6_2354:
	v_and_b32_e32 v13, 0xffff, v21
	v_lshlrev_b32_e32 v12, 24, v21
	v_and_b32_e32 v21, 7, v13
	v_ffbh_u32_e32 v23, v21
	v_min_u32_e32 v23, 32, v23
	v_subrev_u32_e32 v24, 28, v23
	v_bfe_u32 v22, v13, 3, 4
	v_lshlrev_b32_e32 v13, v24, v13
	v_sub_u32_e32 v23, 29, v23
	v_and_b32_e32 v13, 7, v13
	v_cmp_eq_u32_e32 vcc, 0, v22
	v_cndmask_b32_e32 v22, v22, v23, vcc
	v_cndmask_b32_e32 v13, v21, v13, vcc
	v_mov_b32_e32 v21, 0x3b800000
	v_lshlrev_b32_e32 v13, 20, v13
	v_and_b32_e32 v12, 0x80000000, v12
	v_lshl_add_u32 v21, v22, 23, v21
	v_or3_b32 v12, v12, v21, v13
	v_cvt_f64_f32_e32 v[12:13], v12
.LBB6_2355:
	s_or_b64 exec, exec, s[16:17]
.LBB6_2356:
	s_mov_b64 s[14:15], -1
.LBB6_2357:
	s_mov_b64 s[16:17], 0
.LBB6_2358:
	s_and_b64 vcc, exec, s[16:17]
	s_cbranch_vccz .LBB6_2391
; %bb.2359:
	v_mov_b32_e32 v12, 22
	v_cmp_gt_i16_sdwa s[10:11], v16, v12 src0_sel:BYTE_0 src1_sel:DWORD
	s_and_b64 vcc, exec, s[10:11]
	s_cbranch_vccz .LBB6_2369
; %bb.2360:
	v_mov_b32_e32 v12, 24
	v_cmp_lt_i16_sdwa s[10:11], v16, v12 src0_sel:BYTE_0 src1_sel:DWORD
	s_and_b64 vcc, exec, s[10:11]
	s_cbranch_vccnz .LBB6_2372
; %bb.2361:
	v_cmp_gt_i16_sdwa s[10:11], v16, v12 src0_sel:BYTE_0 src1_sel:DWORD
	s_and_b64 vcc, exec, s[10:11]
	s_cbranch_vccz .LBB6_2373
; %bb.2362:
	global_load_ubyte v21, v[14:15], off
	s_movk_i32 s10, 0x7f
                                        ; implicit-def: $sgpr14_sgpr15
	s_waitcnt vmcnt(0)
	v_cmp_lt_i16_e32 vcc, s10, v21
	s_mov_b64 s[10:11], 0
	s_and_saveexec_b64 s[16:17], vcc
	s_xor_b64 s[16:17], exec, s[16:17]
	s_cbranch_execz .LBB6_2385
; %bb.2363:
	s_movk_i32 s10, 0x80
	v_cmp_eq_u16_e32 vcc, s10, v21
	s_mov_b64 s[20:21], -1
                                        ; implicit-def: $sgpr14_sgpr15
	s_and_saveexec_b64 s[10:11], vcc
; %bb.2364:
	s_mov_b32 s15, 0x7ff80000
	s_brev_b32 s14, 4
	s_xor_b64 s[20:21], exec, -1
; %bb.2365:
	s_or_b64 exec, exec, s[10:11]
	s_and_b64 s[10:11], s[20:21], exec
	s_or_saveexec_b64 s[16:17], s[16:17]
	v_pk_mov_b32 v[12:13], s[14:15], s[14:15] op_sel:[0,1]
	s_xor_b64 exec, exec, s[16:17]
	s_cbranch_execnz .LBB6_2386
.LBB6_2366:
	s_or_b64 exec, exec, s[16:17]
	s_and_saveexec_b64 s[14:15], s[10:11]
	s_cbranch_execz .LBB6_2368
.LBB6_2367:
	v_and_b32_e32 v13, 0xffff, v21
	v_lshlrev_b32_e32 v12, 24, v21
	v_and_b32_e32 v21, 3, v13
	v_ffbh_u32_e32 v23, v21
	v_min_u32_e32 v23, 32, v23
	v_subrev_u32_e32 v24, 29, v23
	v_bfe_u32 v22, v13, 2, 5
	v_lshlrev_b32_e32 v13, v24, v13
	v_sub_u32_e32 v23, 30, v23
	v_and_b32_e32 v13, 3, v13
	v_cmp_eq_u32_e32 vcc, 0, v22
	v_cndmask_b32_e32 v22, v22, v23, vcc
	v_cndmask_b32_e32 v13, v21, v13, vcc
	v_mov_b32_e32 v21, 0x37800000
	v_lshlrev_b32_e32 v13, 21, v13
	v_and_b32_e32 v12, 0x80000000, v12
	v_lshl_add_u32 v21, v22, 23, v21
	v_or3_b32 v12, v12, v21, v13
	v_cvt_f64_f32_e32 v[12:13], v12
.LBB6_2368:
	s_or_b64 exec, exec, s[14:15]
	s_mov_b64 s[10:11], 0
	s_branch .LBB6_2374
.LBB6_2369:
	s_mov_b64 s[10:11], -1
                                        ; implicit-def: $vgpr12_vgpr13
	s_branch .LBB6_2380
.LBB6_2370:
	s_or_saveexec_b64 s[20:21], s[20:21]
	v_pk_mov_b32 v[12:13], s[16:17], s[16:17] op_sel:[0,1]
	s_xor_b64 exec, exec, s[20:21]
	s_cbranch_execz .LBB6_2353
.LBB6_2371:
	v_cmp_ne_u16_e32 vcc, 0, v21
	s_andn2_b64 s[14:15], s[14:15], exec
	s_and_b64 s[16:17], vcc, exec
	v_pk_mov_b32 v[12:13], 0, 0
	s_or_b64 s[14:15], s[14:15], s[16:17]
	s_or_b64 exec, exec, s[20:21]
	s_and_saveexec_b64 s[16:17], s[14:15]
	s_cbranch_execnz .LBB6_2354
	s_branch .LBB6_2355
.LBB6_2372:
	s_mov_b64 s[10:11], -1
                                        ; implicit-def: $vgpr12_vgpr13
	s_branch .LBB6_2377
.LBB6_2373:
	s_mov_b64 s[10:11], -1
                                        ; implicit-def: $vgpr12_vgpr13
.LBB6_2374:
	s_and_b64 vcc, exec, s[10:11]
	s_cbranch_vccz .LBB6_2376
; %bb.2375:
	global_load_ubyte v12, v[14:15], off
	s_mov_b32 s10, 0x7f800000
	s_waitcnt vmcnt(0)
	v_lshlrev_b32_e32 v12, 24, v12
	v_and_b32_e32 v13, 0x7f000000, v12
	v_ffbh_u32_e32 v21, v13
	v_min_u32_e32 v21, 32, v21
	v_sub_u32_e64 v21, v21, 4 clamp
	v_lshlrev_b32_e32 v23, v21, v13
	v_lshlrev_b32_e32 v21, 23, v21
	v_lshrrev_b32_e32 v23, 4, v23
	v_add_u32_e32 v22, 0x1000000, v13
	v_sub_u32_e32 v21, v23, v21
	v_ashrrev_i32_e32 v22, 8, v22
	v_add_u32_e32 v21, 0x3c000000, v21
	v_and_or_b32 v21, v22, s10, v21
	v_cmp_ne_u32_e32 vcc, 0, v13
	v_cndmask_b32_e32 v13, 0, v21, vcc
	s_brev_b32 s10, 1
	v_and_or_b32 v12, v12, s10, v13
	v_cvt_f64_f32_e32 v[12:13], v12
.LBB6_2376:
	s_mov_b64 s[10:11], 0
.LBB6_2377:
	s_andn2_b64 vcc, exec, s[10:11]
	s_cbranch_vccnz .LBB6_2379
; %bb.2378:
	global_load_ubyte v12, v[14:15], off
	s_movk_i32 s10, 0x7f00
	s_brev_b32 s11, 16
	s_waitcnt vmcnt(0)
	v_lshlrev_b16_e32 v13, 8, v12
	v_lshlrev_b32_e32 v12, 25, v12
	v_lshrrev_b32_e32 v21, 4, v12
	v_and_or_b32 v22, v13, s10, 0.5
	v_or_b32_e32 v21, 0x70000000, v21
	v_add_f32_e32 v22, -0.5, v22
	v_mul_f32_e32 v21, 0x7800000, v21
	v_cmp_gt_u32_e32 vcc, s11, v12
	v_bfe_i32 v13, v13, 0, 16
	v_cndmask_b32_e32 v12, v21, v22, vcc
	s_brev_b32 s10, 1
	v_and_or_b32 v12, v13, s10, v12
	v_cvt_f64_f32_e32 v[12:13], v12
.LBB6_2379:
	s_mov_b64 s[10:11], 0
	s_mov_b64 s[14:15], -1
.LBB6_2380:
	s_andn2_b64 vcc, exec, s[10:11]
	s_mov_b64 s[10:11], 0
	s_cbranch_vccnz .LBB6_2391
; %bb.2381:
	v_mov_b32_e32 v12, 14
	v_cmp_gt_i16_sdwa s[10:11], v16, v12 src0_sel:BYTE_0 src1_sel:DWORD
	s_and_b64 vcc, exec, s[10:11]
	s_cbranch_vccz .LBB6_2384
; %bb.2382:
	v_mov_b32_e32 v12, 15
	v_cmp_eq_u16_sdwa s[0:1], v16, v12 src0_sel:BYTE_0 src1_sel:DWORD
	s_and_b64 vcc, exec, s[0:1]
	s_cbranch_vccz .LBB6_2387
; %bb.2383:
	global_load_ushort v12, v[14:15], off
	s_mov_b64 s[0:1], 0
	s_mov_b64 s[14:15], -1
	s_waitcnt vmcnt(0)
	v_lshlrev_b32_e32 v12, 16, v12
	v_cvt_f64_f32_e32 v[12:13], v12
	s_branch .LBB6_2388
.LBB6_2384:
	s_mov_b64 s[16:17], -1
                                        ; implicit-def: $vgpr12_vgpr13
	s_branch .LBB6_2389
.LBB6_2385:
	s_or_saveexec_b64 s[16:17], s[16:17]
	v_pk_mov_b32 v[12:13], s[14:15], s[14:15] op_sel:[0,1]
	s_xor_b64 exec, exec, s[16:17]
	s_cbranch_execz .LBB6_2366
.LBB6_2386:
	v_cmp_ne_u16_e32 vcc, 0, v21
	s_andn2_b64 s[10:11], s[10:11], exec
	s_and_b64 s[14:15], vcc, exec
	v_pk_mov_b32 v[12:13], 0, 0
	s_or_b64 s[10:11], s[10:11], s[14:15]
	s_or_b64 exec, exec, s[16:17]
	s_and_saveexec_b64 s[14:15], s[10:11]
	s_cbranch_execnz .LBB6_2367
	s_branch .LBB6_2368
.LBB6_2387:
	s_mov_b64 s[0:1], -1
                                        ; implicit-def: $vgpr12_vgpr13
.LBB6_2388:
	s_mov_b64 s[16:17], 0
.LBB6_2389:
	s_mov_b64 s[10:11], 0
	s_and_b64 vcc, exec, s[16:17]
	s_cbranch_vccz .LBB6_2391
; %bb.2390:
	v_mov_b32_e32 v12, 11
	v_cmp_ne_u16_sdwa s[0:1], v16, v12 src0_sel:BYTE_0 src1_sel:DWORD
	s_mov_b64 s[10:11], -1
                                        ; implicit-def: $vgpr12_vgpr13
.LBB6_2391:
	s_and_b64 vcc, exec, s[0:1]
	s_cbranch_vccnz .LBB6_2456
; %bb.2392:
	s_andn2_b64 vcc, exec, s[10:11]
	s_cbranch_vccnz .LBB6_2394
.LBB6_2393:
	global_load_ubyte v13, v[14:15], off
	v_mov_b32_e32 v21, 0x3ff00000
	v_mov_b32_e32 v12, 0
	s_mov_b64 s[14:15], -1
	s_waitcnt vmcnt(0)
	v_cmp_ne_u16_e32 vcc, 0, v13
	v_cndmask_b32_e32 v13, 0, v21, vcc
.LBB6_2394:
	s_mov_b64 s[0:1], 0
.LBB6_2395:
	s_and_b64 vcc, exec, s[0:1]
	s_cbranch_vccz .LBB6_2444
; %bb.2396:
	v_mov_b32_e32 v12, 5
	v_cmp_lt_i16_sdwa s[0:1], v16, v12 src0_sel:BYTE_0 src1_sel:DWORD
	s_and_b64 vcc, exec, s[0:1]
	s_cbranch_vccnz .LBB6_2401
; %bb.2397:
	v_mov_b32_e32 v12, 8
	v_cmp_lt_i16_sdwa s[0:1], v16, v12 src0_sel:BYTE_0 src1_sel:DWORD
	s_and_b64 vcc, exec, s[0:1]
	s_cbranch_vccnz .LBB6_2402
	;; [unrolled: 5-line block ×3, first 2 shown]
; %bb.2399:
	v_cmp_gt_i16_sdwa s[0:1], v16, v12 src0_sel:BYTE_0 src1_sel:DWORD
	s_and_b64 vcc, exec, s[0:1]
	s_cbranch_vccz .LBB6_2404
; %bb.2400:
	global_load_dwordx2 v[12:13], v[14:15], off
	s_mov_b64 s[0:1], 0
	s_branch .LBB6_2405
.LBB6_2401:
	s_mov_b64 s[0:1], -1
                                        ; implicit-def: $vgpr12_vgpr13
	s_branch .LBB6_2423
.LBB6_2402:
	s_mov_b64 s[0:1], -1
                                        ; implicit-def: $vgpr12_vgpr13
	s_branch .LBB6_2411
.LBB6_2403:
	s_mov_b64 s[0:1], -1
                                        ; implicit-def: $vgpr12_vgpr13
	s_branch .LBB6_2408
.LBB6_2404:
	s_mov_b64 s[0:1], -1
                                        ; implicit-def: $vgpr12_vgpr13
.LBB6_2405:
	s_andn2_b64 vcc, exec, s[0:1]
	s_cbranch_vccnz .LBB6_2407
; %bb.2406:
	global_load_dword v12, v[14:15], off
	s_waitcnt vmcnt(0)
	v_cvt_f64_f32_e32 v[12:13], v12
.LBB6_2407:
	s_mov_b64 s[0:1], 0
.LBB6_2408:
	s_andn2_b64 vcc, exec, s[0:1]
	s_cbranch_vccnz .LBB6_2410
; %bb.2409:
	global_load_dword v12, v[14:15], off
	s_waitcnt vmcnt(0)
	v_cvt_f32_f16_e32 v12, v12
	v_cvt_f64_f32_e32 v[12:13], v12
.LBB6_2410:
	s_mov_b64 s[0:1], 0
.LBB6_2411:
	s_andn2_b64 vcc, exec, s[0:1]
	s_cbranch_vccnz .LBB6_2422
; %bb.2412:
	s_waitcnt vmcnt(0)
	v_mov_b32_e32 v12, 6
	v_cmp_lt_i16_sdwa s[0:1], v16, v12 src0_sel:BYTE_0 src1_sel:DWORD
	s_and_b64 vcc, exec, s[0:1]
	s_cbranch_vccnz .LBB6_2415
; %bb.2413:
	v_cmp_gt_i16_sdwa s[0:1], v16, v12 src0_sel:BYTE_0 src1_sel:DWORD
	s_and_b64 vcc, exec, s[0:1]
	s_cbranch_vccz .LBB6_2416
; %bb.2414:
	global_load_dwordx2 v[12:13], v[14:15], off
	s_mov_b64 s[0:1], 0
	s_branch .LBB6_2417
.LBB6_2415:
	s_mov_b64 s[0:1], -1
                                        ; implicit-def: $vgpr12_vgpr13
	s_branch .LBB6_2420
.LBB6_2416:
	s_mov_b64 s[0:1], -1
                                        ; implicit-def: $vgpr12_vgpr13
.LBB6_2417:
	s_andn2_b64 vcc, exec, s[0:1]
	s_cbranch_vccnz .LBB6_2419
; %bb.2418:
	global_load_dword v12, v[14:15], off
	s_waitcnt vmcnt(0)
	v_cvt_f64_f32_e32 v[12:13], v12
.LBB6_2419:
	s_mov_b64 s[0:1], 0
.LBB6_2420:
	s_andn2_b64 vcc, exec, s[0:1]
	s_cbranch_vccnz .LBB6_2422
; %bb.2421:
	global_load_ushort v12, v[14:15], off
	s_waitcnt vmcnt(0)
	v_cvt_f32_f16_e32 v12, v12
	v_cvt_f64_f32_e32 v[12:13], v12
.LBB6_2422:
	s_mov_b64 s[0:1], 0
.LBB6_2423:
	s_andn2_b64 vcc, exec, s[0:1]
	s_cbranch_vccnz .LBB6_2443
; %bb.2424:
	s_waitcnt vmcnt(0)
	v_mov_b32_e32 v12, 2
	v_cmp_lt_i16_sdwa s[0:1], v16, v12 src0_sel:BYTE_0 src1_sel:DWORD
	s_and_b64 vcc, exec, s[0:1]
	s_cbranch_vccnz .LBB6_2428
; %bb.2425:
	v_mov_b32_e32 v12, 3
	v_cmp_lt_i16_sdwa s[0:1], v16, v12 src0_sel:BYTE_0 src1_sel:DWORD
	s_and_b64 vcc, exec, s[0:1]
	s_cbranch_vccnz .LBB6_2429
; %bb.2426:
	v_cmp_gt_i16_sdwa s[0:1], v16, v12 src0_sel:BYTE_0 src1_sel:DWORD
	s_and_b64 vcc, exec, s[0:1]
	s_cbranch_vccz .LBB6_2430
; %bb.2427:
	global_load_dwordx2 v[12:13], v[14:15], off
	s_mov_b64 s[0:1], 0
	s_waitcnt vmcnt(0)
	v_cvt_f64_i32_e32 v[22:23], v13
	v_cvt_f64_u32_e32 v[12:13], v12
	v_ldexp_f64 v[22:23], v[22:23], 32
	v_add_f64 v[12:13], v[22:23], v[12:13]
	s_branch .LBB6_2431
.LBB6_2428:
	s_mov_b64 s[0:1], -1
                                        ; implicit-def: $vgpr12_vgpr13
	s_branch .LBB6_2437
.LBB6_2429:
	s_mov_b64 s[0:1], -1
                                        ; implicit-def: $vgpr12_vgpr13
	s_branch .LBB6_2434
.LBB6_2430:
	s_mov_b64 s[0:1], -1
                                        ; implicit-def: $vgpr12_vgpr13
.LBB6_2431:
	s_andn2_b64 vcc, exec, s[0:1]
	s_cbranch_vccnz .LBB6_2433
; %bb.2432:
	global_load_dword v12, v[14:15], off
	s_waitcnt vmcnt(0)
	v_cvt_f64_i32_e32 v[12:13], v12
.LBB6_2433:
	s_mov_b64 s[0:1], 0
.LBB6_2434:
	s_andn2_b64 vcc, exec, s[0:1]
	s_cbranch_vccnz .LBB6_2436
; %bb.2435:
	global_load_sshort v12, v[14:15], off
	s_waitcnt vmcnt(0)
	v_cvt_f64_i32_e32 v[12:13], v12
.LBB6_2436:
	s_mov_b64 s[0:1], 0
.LBB6_2437:
	s_andn2_b64 vcc, exec, s[0:1]
	s_cbranch_vccnz .LBB6_2443
; %bb.2438:
	v_mov_b32_e32 v12, 0
	v_cmp_gt_i16_sdwa s[0:1], v16, v12 src0_sel:BYTE_0 src1_sel:DWORD
	s_and_b64 vcc, exec, s[0:1]
	s_cbranch_vccz .LBB6_2440
; %bb.2439:
	global_load_sbyte v12, v[14:15], off
	s_mov_b64 s[0:1], 0
	s_waitcnt vmcnt(0)
	v_cvt_f64_i32_e32 v[12:13], v12
	s_branch .LBB6_2441
.LBB6_2440:
	s_mov_b64 s[0:1], -1
                                        ; implicit-def: $vgpr12_vgpr13
.LBB6_2441:
	s_andn2_b64 vcc, exec, s[0:1]
	s_cbranch_vccnz .LBB6_2443
; %bb.2442:
	global_load_ubyte v12, v[14:15], off
	s_waitcnt vmcnt(0)
	v_cvt_f64_u32_e32 v[12:13], v12
.LBB6_2443:
	s_mov_b64 s[14:15], -1
.LBB6_2444:
	s_andn2_b64 vcc, exec, s[14:15]
	s_cbranch_vccnz .LBB6_2869
; %bb.2445:
	v_add_u32_e32 v14, s26, v17
	v_ashrrev_i32_e32 v15, 31, v14
	v_mov_b32_e32 v17, s3
	v_add_co_u32_e32 v16, vcc, s2, v14
	v_mov_b32_e32 v14, 11
	v_addc_co_u32_e32 v17, vcc, v17, v15, vcc
	v_cmp_lt_i16_sdwa s[0:1], v20, v14 src0_sel:BYTE_0 src1_sel:DWORD
	s_and_b64 vcc, exec, s[0:1]
	s_cbranch_vccnz .LBB6_2452
; %bb.2446:
	v_mov_b32_e32 v14, 25
	v_cmp_gt_i16_sdwa s[0:1], v20, v14 src0_sel:BYTE_0 src1_sel:DWORD
	s_mov_b64 s[2:3], 0
	s_and_b64 vcc, exec, s[0:1]
	s_cbranch_vccz .LBB6_2453
; %bb.2447:
	v_mov_b32_e32 v14, 28
	v_cmp_gt_i16_sdwa s[0:1], v20, v14 src0_sel:BYTE_0 src1_sel:DWORD
	s_and_b64 vcc, exec, s[0:1]
	s_cbranch_vccz .LBB6_2454
; %bb.2448:
	v_mov_b32_e32 v14, 43
	v_cmp_gt_i16_sdwa s[0:1], v20, v14 src0_sel:BYTE_0 src1_sel:DWORD
	;; [unrolled: 5-line block ×3, first 2 shown]
	s_and_b64 vcc, exec, s[0:1]
	s_cbranch_vccz .LBB6_2457
; %bb.2450:
	v_mov_b32_e32 v14, 46
	v_cmp_eq_u16_sdwa s[0:1], v20, v14 src0_sel:BYTE_0 src1_sel:DWORD
	s_mov_b64 s[14:15], 0
	s_and_b64 vcc, exec, s[0:1]
	s_cbranch_vccz .LBB6_2458
; %bb.2451:
	global_load_dword v14, v[16:17], off
	s_mov_b64 s[0:1], 0
	s_mov_b64 s[10:11], -1
	s_waitcnt vmcnt(0)
	v_lshlrev_b32_e32 v14, 16, v14
	v_cvt_f64_f32_e32 v[14:15], v14
	s_branch .LBB6_2459
.LBB6_2452:
	s_mov_b64 s[0:1], -1
	s_mov_b64 s[10:11], 0
                                        ; implicit-def: $vgpr14_vgpr15
	s_branch .LBB6_2525
.LBB6_2453:
	s_mov_b64 s[14:15], -1
	s_mov_b64 s[10:11], 0
	s_mov_b64 s[0:1], 0
                                        ; implicit-def: $vgpr14_vgpr15
	s_branch .LBB6_2488
.LBB6_2454:
	s_mov_b64 s[14:15], -1
	s_mov_b64 s[10:11], 0
	s_mov_b64 s[0:1], 0
                                        ; implicit-def: $vgpr14_vgpr15
	s_branch .LBB6_2469
.LBB6_2455:
	s_mov_b64 s[14:15], -1
	s_mov_b64 s[10:11], 0
	s_mov_b64 s[0:1], 0
                                        ; implicit-def: $vgpr14_vgpr15
	s_branch .LBB6_2464
.LBB6_2456:
	s_trap 2
	s_or_b64 s[18:19], s[18:19], exec
                                        ; implicit-def: $vgpr12_vgpr13
	s_cbranch_execz .LBB6_2393
	s_branch .LBB6_2394
.LBB6_2457:
	s_mov_b64 s[14:15], -1
	s_mov_b64 s[10:11], 0
	s_mov_b64 s[0:1], 0
                                        ; implicit-def: $vgpr14_vgpr15
	s_branch .LBB6_2459
.LBB6_2458:
	s_mov_b64 s[0:1], -1
                                        ; implicit-def: $vgpr14_vgpr15
	s_mov_b64 s[10:11], 0
.LBB6_2459:
	s_and_b64 vcc, exec, s[14:15]
	s_cbranch_vccz .LBB6_2463
; %bb.2460:
	v_mov_b32_e32 v14, 44
	v_cmp_eq_u16_sdwa s[0:1], v20, v14 src0_sel:BYTE_0 src1_sel:DWORD
	s_and_b64 vcc, exec, s[0:1]
	s_cbranch_vccz .LBB6_2462
; %bb.2461:
	global_load_ubyte v21, v[16:17], off
	s_movk_i32 s10, 0xff
	v_bfrev_b32_e32 v22, 4
	v_mov_b32_e32 v23, 0x7ff80000
	v_bfrev_b32_e32 v24, 28
	s_mov_b64 s[0:1], 0
	s_waitcnt vmcnt(0)
	v_lshlrev_b32_e32 v14, 23, v21
	v_cvt_f64_f32_e32 v[14:15], v14
	v_cmp_ne_u32_e32 vcc, s10, v21
	v_cndmask_b32_e32 v14, v22, v14, vcc
	v_cndmask_b32_e32 v15, v23, v15, vcc
	v_cmp_ne_u32_e32 vcc, 0, v21
	v_cndmask_b32_e32 v15, v24, v15, vcc
	v_cndmask_b32_e32 v14, 0, v14, vcc
	s_mov_b64 s[10:11], -1
	s_branch .LBB6_2463
.LBB6_2462:
	s_mov_b64 s[0:1], -1
                                        ; implicit-def: $vgpr14_vgpr15
.LBB6_2463:
	s_mov_b64 s[14:15], 0
.LBB6_2464:
	s_and_b64 vcc, exec, s[14:15]
	s_cbranch_vccz .LBB6_2468
; %bb.2465:
	v_mov_b32_e32 v14, 29
	v_cmp_eq_u16_sdwa s[0:1], v20, v14 src0_sel:BYTE_0 src1_sel:DWORD
	s_and_b64 vcc, exec, s[0:1]
	s_cbranch_vccz .LBB6_2467
; %bb.2466:
	global_load_dwordx2 v[14:15], v[16:17], off
	s_mov_b64 s[0:1], 0
	s_mov_b64 s[10:11], -1
	s_mov_b64 s[14:15], 0
	s_waitcnt vmcnt(0)
	v_cvt_f64_u32_e32 v[22:23], v15
	v_cvt_f64_u32_e32 v[14:15], v14
	v_ldexp_f64 v[22:23], v[22:23], 32
	v_add_f64 v[14:15], v[22:23], v[14:15]
	s_branch .LBB6_2469
.LBB6_2467:
	s_mov_b64 s[0:1], -1
                                        ; implicit-def: $vgpr14_vgpr15
.LBB6_2468:
	s_mov_b64 s[14:15], 0
.LBB6_2469:
	s_and_b64 vcc, exec, s[14:15]
	s_cbranch_vccz .LBB6_2487
; %bb.2470:
	v_mov_b32_e32 v14, 27
	v_cmp_lt_i16_sdwa s[10:11], v20, v14 src0_sel:BYTE_0 src1_sel:DWORD
	s_and_b64 vcc, exec, s[10:11]
	s_cbranch_vccnz .LBB6_2473
; %bb.2471:
	v_cmp_gt_i16_sdwa s[10:11], v20, v14 src0_sel:BYTE_0 src1_sel:DWORD
	s_and_b64 vcc, exec, s[10:11]
	s_cbranch_vccz .LBB6_2474
; %bb.2472:
	global_load_dword v14, v[16:17], off
	s_mov_b64 s[10:11], 0
	s_waitcnt vmcnt(0)
	v_cvt_f64_u32_e32 v[14:15], v14
	s_branch .LBB6_2475
.LBB6_2473:
	s_mov_b64 s[10:11], -1
                                        ; implicit-def: $vgpr14_vgpr15
	s_branch .LBB6_2478
.LBB6_2474:
	s_mov_b64 s[10:11], -1
                                        ; implicit-def: $vgpr14_vgpr15
.LBB6_2475:
	s_andn2_b64 vcc, exec, s[10:11]
	s_cbranch_vccnz .LBB6_2477
; %bb.2476:
	global_load_ushort v14, v[16:17], off
	s_waitcnt vmcnt(0)
	v_cvt_f64_u32_e32 v[14:15], v14
.LBB6_2477:
	s_mov_b64 s[10:11], 0
.LBB6_2478:
	s_andn2_b64 vcc, exec, s[10:11]
	s_cbranch_vccnz .LBB6_2486
; %bb.2479:
	global_load_ubyte v21, v[16:17], off
	s_movk_i32 s10, 0x7f
                                        ; implicit-def: $sgpr14_sgpr15
	s_waitcnt vmcnt(0)
	v_cmp_lt_i16_e32 vcc, s10, v21
	s_mov_b64 s[10:11], 0
	s_and_saveexec_b64 s[16:17], vcc
	s_xor_b64 s[16:17], exec, s[16:17]
	s_cbranch_execz .LBB6_2500
; %bb.2480:
	s_movk_i32 s10, 0x80
	v_cmp_eq_u16_e32 vcc, s10, v21
	s_mov_b64 s[20:21], -1
                                        ; implicit-def: $sgpr14_sgpr15
	s_and_saveexec_b64 s[10:11], vcc
; %bb.2481:
	s_mov_b32 s15, 0x7ff80000
	s_brev_b32 s14, 4
	s_xor_b64 s[20:21], exec, -1
; %bb.2482:
	s_or_b64 exec, exec, s[10:11]
	s_and_b64 s[10:11], s[20:21], exec
	s_or_saveexec_b64 s[16:17], s[16:17]
	v_pk_mov_b32 v[14:15], s[14:15], s[14:15] op_sel:[0,1]
	s_xor_b64 exec, exec, s[16:17]
	s_cbranch_execnz .LBB6_2501
.LBB6_2483:
	s_or_b64 exec, exec, s[16:17]
	s_and_saveexec_b64 s[14:15], s[10:11]
	s_cbranch_execz .LBB6_2485
.LBB6_2484:
	v_and_b32_e32 v15, 0xffff, v21
	v_lshlrev_b32_e32 v14, 24, v21
	v_and_b32_e32 v21, 7, v15
	v_ffbh_u32_e32 v23, v21
	v_min_u32_e32 v23, 32, v23
	v_subrev_u32_e32 v24, 28, v23
	v_bfe_u32 v22, v15, 3, 4
	v_lshlrev_b32_e32 v15, v24, v15
	v_sub_u32_e32 v23, 29, v23
	v_and_b32_e32 v15, 7, v15
	v_cmp_eq_u32_e32 vcc, 0, v22
	v_cndmask_b32_e32 v22, v22, v23, vcc
	v_cndmask_b32_e32 v15, v21, v15, vcc
	v_mov_b32_e32 v21, 0x3b800000
	v_lshlrev_b32_e32 v15, 20, v15
	v_and_b32_e32 v14, 0x80000000, v14
	v_lshl_add_u32 v21, v22, 23, v21
	v_or3_b32 v14, v14, v21, v15
	v_cvt_f64_f32_e32 v[14:15], v14
.LBB6_2485:
	s_or_b64 exec, exec, s[14:15]
.LBB6_2486:
	s_mov_b64 s[10:11], -1
.LBB6_2487:
	s_mov_b64 s[14:15], 0
.LBB6_2488:
	s_and_b64 vcc, exec, s[14:15]
	s_cbranch_vccz .LBB6_2521
; %bb.2489:
	v_mov_b32_e32 v14, 22
	v_cmp_gt_i16_sdwa s[2:3], v20, v14 src0_sel:BYTE_0 src1_sel:DWORD
	s_and_b64 vcc, exec, s[2:3]
	s_cbranch_vccz .LBB6_2499
; %bb.2490:
	v_mov_b32_e32 v14, 24
	v_cmp_lt_i16_sdwa s[2:3], v20, v14 src0_sel:BYTE_0 src1_sel:DWORD
	s_and_b64 vcc, exec, s[2:3]
	s_cbranch_vccnz .LBB6_2502
; %bb.2491:
	v_cmp_gt_i16_sdwa s[2:3], v20, v14 src0_sel:BYTE_0 src1_sel:DWORD
	s_and_b64 vcc, exec, s[2:3]
	s_cbranch_vccz .LBB6_2503
; %bb.2492:
	global_load_ubyte v21, v[16:17], off
	s_movk_i32 s2, 0x7f
                                        ; implicit-def: $sgpr10_sgpr11
	s_waitcnt vmcnt(0)
	v_cmp_lt_i16_e32 vcc, s2, v21
	s_mov_b64 s[2:3], 0
	s_and_saveexec_b64 s[14:15], vcc
	s_xor_b64 s[14:15], exec, s[14:15]
	s_cbranch_execz .LBB6_2515
; %bb.2493:
	s_movk_i32 s2, 0x80
	v_cmp_eq_u16_e32 vcc, s2, v21
	s_mov_b64 s[16:17], -1
                                        ; implicit-def: $sgpr10_sgpr11
	s_and_saveexec_b64 s[2:3], vcc
; %bb.2494:
	s_mov_b32 s11, 0x7ff80000
	s_brev_b32 s10, 4
	s_xor_b64 s[16:17], exec, -1
; %bb.2495:
	s_or_b64 exec, exec, s[2:3]
	s_and_b64 s[2:3], s[16:17], exec
	s_or_saveexec_b64 s[14:15], s[14:15]
	v_pk_mov_b32 v[14:15], s[10:11], s[10:11] op_sel:[0,1]
	s_xor_b64 exec, exec, s[14:15]
	s_cbranch_execnz .LBB6_2516
.LBB6_2496:
	s_or_b64 exec, exec, s[14:15]
	s_and_saveexec_b64 s[10:11], s[2:3]
	s_cbranch_execz .LBB6_2498
.LBB6_2497:
	v_and_b32_e32 v15, 0xffff, v21
	v_lshlrev_b32_e32 v14, 24, v21
	v_and_b32_e32 v21, 3, v15
	v_ffbh_u32_e32 v23, v21
	v_min_u32_e32 v23, 32, v23
	v_subrev_u32_e32 v24, 29, v23
	v_bfe_u32 v22, v15, 2, 5
	v_lshlrev_b32_e32 v15, v24, v15
	v_sub_u32_e32 v23, 30, v23
	v_and_b32_e32 v15, 3, v15
	v_cmp_eq_u32_e32 vcc, 0, v22
	v_cndmask_b32_e32 v22, v22, v23, vcc
	v_cndmask_b32_e32 v15, v21, v15, vcc
	v_mov_b32_e32 v21, 0x37800000
	v_lshlrev_b32_e32 v15, 21, v15
	v_and_b32_e32 v14, 0x80000000, v14
	v_lshl_add_u32 v21, v22, 23, v21
	v_or3_b32 v14, v14, v21, v15
	v_cvt_f64_f32_e32 v[14:15], v14
.LBB6_2498:
	s_or_b64 exec, exec, s[10:11]
	s_mov_b64 s[2:3], 0
	s_branch .LBB6_2504
.LBB6_2499:
	s_mov_b64 s[2:3], -1
                                        ; implicit-def: $vgpr14_vgpr15
	s_branch .LBB6_2510
.LBB6_2500:
	s_or_saveexec_b64 s[16:17], s[16:17]
	v_pk_mov_b32 v[14:15], s[14:15], s[14:15] op_sel:[0,1]
	s_xor_b64 exec, exec, s[16:17]
	s_cbranch_execz .LBB6_2483
.LBB6_2501:
	v_cmp_ne_u16_e32 vcc, 0, v21
	s_andn2_b64 s[10:11], s[10:11], exec
	s_and_b64 s[14:15], vcc, exec
	v_pk_mov_b32 v[14:15], 0, 0
	s_or_b64 s[10:11], s[10:11], s[14:15]
	s_or_b64 exec, exec, s[16:17]
	s_and_saveexec_b64 s[14:15], s[10:11]
	s_cbranch_execnz .LBB6_2484
	s_branch .LBB6_2485
.LBB6_2502:
	s_mov_b64 s[2:3], -1
                                        ; implicit-def: $vgpr14_vgpr15
	s_branch .LBB6_2507
.LBB6_2503:
	s_mov_b64 s[2:3], -1
                                        ; implicit-def: $vgpr14_vgpr15
.LBB6_2504:
	s_and_b64 vcc, exec, s[2:3]
	s_cbranch_vccz .LBB6_2506
; %bb.2505:
	global_load_ubyte v14, v[16:17], off
	s_mov_b32 s2, 0x7f800000
	s_waitcnt vmcnt(0)
	v_lshlrev_b32_e32 v14, 24, v14
	v_and_b32_e32 v15, 0x7f000000, v14
	v_ffbh_u32_e32 v21, v15
	v_min_u32_e32 v21, 32, v21
	v_sub_u32_e64 v21, v21, 4 clamp
	v_lshlrev_b32_e32 v23, v21, v15
	v_lshlrev_b32_e32 v21, 23, v21
	v_lshrrev_b32_e32 v23, 4, v23
	v_add_u32_e32 v22, 0x1000000, v15
	v_sub_u32_e32 v21, v23, v21
	v_ashrrev_i32_e32 v22, 8, v22
	v_add_u32_e32 v21, 0x3c000000, v21
	v_and_or_b32 v21, v22, s2, v21
	v_cmp_ne_u32_e32 vcc, 0, v15
	v_cndmask_b32_e32 v15, 0, v21, vcc
	s_brev_b32 s2, 1
	v_and_or_b32 v14, v14, s2, v15
	v_cvt_f64_f32_e32 v[14:15], v14
.LBB6_2506:
	s_mov_b64 s[2:3], 0
.LBB6_2507:
	s_andn2_b64 vcc, exec, s[2:3]
	s_cbranch_vccnz .LBB6_2509
; %bb.2508:
	global_load_ubyte v14, v[16:17], off
	s_movk_i32 s2, 0x7f00
	s_brev_b32 s3, 16
	s_waitcnt vmcnt(0)
	v_lshlrev_b16_e32 v15, 8, v14
	v_lshlrev_b32_e32 v14, 25, v14
	v_lshrrev_b32_e32 v21, 4, v14
	v_and_or_b32 v22, v15, s2, 0.5
	v_or_b32_e32 v21, 0x70000000, v21
	v_add_f32_e32 v22, -0.5, v22
	v_mul_f32_e32 v21, 0x7800000, v21
	v_cmp_gt_u32_e32 vcc, s3, v14
	v_bfe_i32 v15, v15, 0, 16
	v_cndmask_b32_e32 v14, v21, v22, vcc
	s_brev_b32 s2, 1
	v_and_or_b32 v14, v15, s2, v14
	v_cvt_f64_f32_e32 v[14:15], v14
.LBB6_2509:
	s_mov_b64 s[2:3], 0
	s_mov_b64 s[10:11], -1
.LBB6_2510:
	s_andn2_b64 vcc, exec, s[2:3]
	s_mov_b64 s[2:3], 0
	s_cbranch_vccnz .LBB6_2521
; %bb.2511:
	v_mov_b32_e32 v14, 14
	v_cmp_gt_i16_sdwa s[2:3], v20, v14 src0_sel:BYTE_0 src1_sel:DWORD
	s_and_b64 vcc, exec, s[2:3]
	s_cbranch_vccz .LBB6_2514
; %bb.2512:
	v_mov_b32_e32 v14, 15
	v_cmp_eq_u16_sdwa s[0:1], v20, v14 src0_sel:BYTE_0 src1_sel:DWORD
	s_and_b64 vcc, exec, s[0:1]
	s_cbranch_vccz .LBB6_2517
; %bb.2513:
	global_load_ushort v14, v[16:17], off
	s_mov_b64 s[0:1], 0
	s_mov_b64 s[10:11], -1
	s_waitcnt vmcnt(0)
	v_lshlrev_b32_e32 v14, 16, v14
	v_cvt_f64_f32_e32 v[14:15], v14
	s_branch .LBB6_2518
.LBB6_2514:
	s_mov_b64 s[14:15], -1
                                        ; implicit-def: $vgpr14_vgpr15
	s_branch .LBB6_2519
.LBB6_2515:
	s_or_saveexec_b64 s[14:15], s[14:15]
	v_pk_mov_b32 v[14:15], s[10:11], s[10:11] op_sel:[0,1]
	s_xor_b64 exec, exec, s[14:15]
	s_cbranch_execz .LBB6_2496
.LBB6_2516:
	v_cmp_ne_u16_e32 vcc, 0, v21
	s_andn2_b64 s[2:3], s[2:3], exec
	s_and_b64 s[10:11], vcc, exec
	v_pk_mov_b32 v[14:15], 0, 0
	s_or_b64 s[2:3], s[2:3], s[10:11]
	s_or_b64 exec, exec, s[14:15]
	s_and_saveexec_b64 s[10:11], s[2:3]
	s_cbranch_execnz .LBB6_2497
	s_branch .LBB6_2498
.LBB6_2517:
	s_mov_b64 s[0:1], -1
                                        ; implicit-def: $vgpr14_vgpr15
.LBB6_2518:
	s_mov_b64 s[14:15], 0
.LBB6_2519:
	s_mov_b64 s[2:3], 0
	s_and_b64 vcc, exec, s[14:15]
	s_cbranch_vccz .LBB6_2521
; %bb.2520:
	v_mov_b32_e32 v14, 11
	v_cmp_ne_u16_sdwa s[0:1], v20, v14 src0_sel:BYTE_0 src1_sel:DWORD
	s_mov_b64 s[2:3], -1
                                        ; implicit-def: $vgpr14_vgpr15
.LBB6_2521:
	s_and_b64 vcc, exec, s[0:1]
	s_cbranch_vccnz .LBB6_2623
; %bb.2522:
	s_andn2_b64 vcc, exec, s[2:3]
	s_cbranch_vccnz .LBB6_2524
.LBB6_2523:
	global_load_ubyte v15, v[16:17], off
	v_mov_b32_e32 v21, 0x3ff00000
	v_mov_b32_e32 v14, 0
	s_mov_b64 s[10:11], -1
	s_waitcnt vmcnt(0)
	v_cmp_ne_u16_e32 vcc, 0, v15
	v_cndmask_b32_e32 v15, 0, v21, vcc
.LBB6_2524:
	s_mov_b64 s[0:1], 0
.LBB6_2525:
	s_and_b64 vcc, exec, s[0:1]
	s_cbranch_vccz .LBB6_2574
; %bb.2526:
	v_mov_b32_e32 v14, 5
	v_cmp_lt_i16_sdwa s[0:1], v20, v14 src0_sel:BYTE_0 src1_sel:DWORD
	s_and_b64 vcc, exec, s[0:1]
	s_cbranch_vccnz .LBB6_2531
; %bb.2527:
	v_mov_b32_e32 v14, 8
	v_cmp_lt_i16_sdwa s[0:1], v20, v14 src0_sel:BYTE_0 src1_sel:DWORD
	s_and_b64 vcc, exec, s[0:1]
	s_cbranch_vccnz .LBB6_2532
	;; [unrolled: 5-line block ×3, first 2 shown]
; %bb.2529:
	v_cmp_gt_i16_sdwa s[0:1], v20, v14 src0_sel:BYTE_0 src1_sel:DWORD
	s_and_b64 vcc, exec, s[0:1]
	s_cbranch_vccz .LBB6_2534
; %bb.2530:
	global_load_dwordx2 v[14:15], v[16:17], off
	s_mov_b64 s[0:1], 0
	s_branch .LBB6_2535
.LBB6_2531:
	s_mov_b64 s[0:1], -1
                                        ; implicit-def: $vgpr14_vgpr15
	s_branch .LBB6_2553
.LBB6_2532:
	s_mov_b64 s[0:1], -1
                                        ; implicit-def: $vgpr14_vgpr15
	s_branch .LBB6_2541
.LBB6_2533:
	s_mov_b64 s[0:1], -1
                                        ; implicit-def: $vgpr14_vgpr15
	s_branch .LBB6_2538
.LBB6_2534:
	s_mov_b64 s[0:1], -1
                                        ; implicit-def: $vgpr14_vgpr15
.LBB6_2535:
	s_andn2_b64 vcc, exec, s[0:1]
	s_cbranch_vccnz .LBB6_2537
; %bb.2536:
	global_load_dword v14, v[16:17], off
	s_waitcnt vmcnt(0)
	v_cvt_f64_f32_e32 v[14:15], v14
.LBB6_2537:
	s_mov_b64 s[0:1], 0
.LBB6_2538:
	s_andn2_b64 vcc, exec, s[0:1]
	s_cbranch_vccnz .LBB6_2540
; %bb.2539:
	global_load_dword v14, v[16:17], off
	s_waitcnt vmcnt(0)
	v_cvt_f32_f16_e32 v14, v14
	v_cvt_f64_f32_e32 v[14:15], v14
.LBB6_2540:
	s_mov_b64 s[0:1], 0
.LBB6_2541:
	s_andn2_b64 vcc, exec, s[0:1]
	s_cbranch_vccnz .LBB6_2552
; %bb.2542:
	s_waitcnt vmcnt(0)
	v_mov_b32_e32 v14, 6
	v_cmp_lt_i16_sdwa s[0:1], v20, v14 src0_sel:BYTE_0 src1_sel:DWORD
	s_and_b64 vcc, exec, s[0:1]
	s_cbranch_vccnz .LBB6_2545
; %bb.2543:
	v_cmp_gt_i16_sdwa s[0:1], v20, v14 src0_sel:BYTE_0 src1_sel:DWORD
	s_and_b64 vcc, exec, s[0:1]
	s_cbranch_vccz .LBB6_2546
; %bb.2544:
	global_load_dwordx2 v[14:15], v[16:17], off
	s_mov_b64 s[0:1], 0
	s_branch .LBB6_2547
.LBB6_2545:
	s_mov_b64 s[0:1], -1
                                        ; implicit-def: $vgpr14_vgpr15
	s_branch .LBB6_2550
.LBB6_2546:
	s_mov_b64 s[0:1], -1
                                        ; implicit-def: $vgpr14_vgpr15
.LBB6_2547:
	s_andn2_b64 vcc, exec, s[0:1]
	s_cbranch_vccnz .LBB6_2549
; %bb.2548:
	global_load_dword v14, v[16:17], off
	s_waitcnt vmcnt(0)
	v_cvt_f64_f32_e32 v[14:15], v14
.LBB6_2549:
	s_mov_b64 s[0:1], 0
.LBB6_2550:
	s_andn2_b64 vcc, exec, s[0:1]
	s_cbranch_vccnz .LBB6_2552
; %bb.2551:
	global_load_ushort v14, v[16:17], off
	s_waitcnt vmcnt(0)
	v_cvt_f32_f16_e32 v14, v14
	v_cvt_f64_f32_e32 v[14:15], v14
.LBB6_2552:
	s_mov_b64 s[0:1], 0
.LBB6_2553:
	s_andn2_b64 vcc, exec, s[0:1]
	s_cbranch_vccnz .LBB6_2573
; %bb.2554:
	s_waitcnt vmcnt(0)
	v_mov_b32_e32 v14, 2
	v_cmp_lt_i16_sdwa s[0:1], v20, v14 src0_sel:BYTE_0 src1_sel:DWORD
	s_and_b64 vcc, exec, s[0:1]
	s_cbranch_vccnz .LBB6_2558
; %bb.2555:
	v_mov_b32_e32 v14, 3
	v_cmp_lt_i16_sdwa s[0:1], v20, v14 src0_sel:BYTE_0 src1_sel:DWORD
	s_and_b64 vcc, exec, s[0:1]
	s_cbranch_vccnz .LBB6_2559
; %bb.2556:
	v_cmp_gt_i16_sdwa s[0:1], v20, v14 src0_sel:BYTE_0 src1_sel:DWORD
	s_and_b64 vcc, exec, s[0:1]
	s_cbranch_vccz .LBB6_2560
; %bb.2557:
	global_load_dwordx2 v[14:15], v[16:17], off
	s_mov_b64 s[0:1], 0
	s_waitcnt vmcnt(0)
	v_cvt_f64_i32_e32 v[22:23], v15
	v_cvt_f64_u32_e32 v[14:15], v14
	v_ldexp_f64 v[22:23], v[22:23], 32
	v_add_f64 v[14:15], v[22:23], v[14:15]
	s_branch .LBB6_2561
.LBB6_2558:
	s_mov_b64 s[0:1], -1
                                        ; implicit-def: $vgpr14_vgpr15
	s_branch .LBB6_2567
.LBB6_2559:
	s_mov_b64 s[0:1], -1
                                        ; implicit-def: $vgpr14_vgpr15
	s_branch .LBB6_2564
.LBB6_2560:
	s_mov_b64 s[0:1], -1
                                        ; implicit-def: $vgpr14_vgpr15
.LBB6_2561:
	s_andn2_b64 vcc, exec, s[0:1]
	s_cbranch_vccnz .LBB6_2563
; %bb.2562:
	global_load_dword v14, v[16:17], off
	s_waitcnt vmcnt(0)
	v_cvt_f64_i32_e32 v[14:15], v14
.LBB6_2563:
	s_mov_b64 s[0:1], 0
.LBB6_2564:
	s_andn2_b64 vcc, exec, s[0:1]
	s_cbranch_vccnz .LBB6_2566
; %bb.2565:
	global_load_sshort v14, v[16:17], off
	s_waitcnt vmcnt(0)
	v_cvt_f64_i32_e32 v[14:15], v14
.LBB6_2566:
	s_mov_b64 s[0:1], 0
.LBB6_2567:
	s_andn2_b64 vcc, exec, s[0:1]
	s_cbranch_vccnz .LBB6_2573
; %bb.2568:
	v_mov_b32_e32 v14, 0
	v_cmp_gt_i16_sdwa s[0:1], v20, v14 src0_sel:BYTE_0 src1_sel:DWORD
	s_and_b64 vcc, exec, s[0:1]
	s_cbranch_vccz .LBB6_2570
; %bb.2569:
	global_load_sbyte v14, v[16:17], off
	s_mov_b64 s[0:1], 0
	s_waitcnt vmcnt(0)
	v_cvt_f64_i32_e32 v[14:15], v14
	s_branch .LBB6_2571
.LBB6_2570:
	s_mov_b64 s[0:1], -1
                                        ; implicit-def: $vgpr14_vgpr15
.LBB6_2571:
	s_andn2_b64 vcc, exec, s[0:1]
	s_cbranch_vccnz .LBB6_2573
; %bb.2572:
	global_load_ubyte v14, v[16:17], off
	s_waitcnt vmcnt(0)
	v_cvt_f64_u32_e32 v[14:15], v14
.LBB6_2573:
	s_mov_b64 s[10:11], -1
.LBB6_2574:
	s_andn2_b64 vcc, exec, s[10:11]
	s_cbranch_vccnz .LBB6_2869
; %bb.2575:
	s_waitcnt vmcnt(0)
	v_mul_f64 v[2:3], v[0:1], v[2:3]
	v_cmp_lt_f64_e32 vcc, 0, v[0:1]
	v_mul_lo_u32 v19, s12, v19
	v_cndmask_b32_e32 v1, v3, v1, vcc
	v_cndmask_b32_e32 v0, v2, v0, vcc
	v_ashrrev_i32_e32 v2, 31, v19
	v_mov_b32_e32 v3, s9
	v_add_co_u32_e32 v16, vcc, s8, v19
	v_addc_co_u32_e32 v17, vcc, v3, v2, vcc
	v_mov_b32_e32 v2, 11
	v_cmp_lt_i16_sdwa s[2:3], v18, v2 src0_sel:BYTE_0 src1_sel:DWORD
	s_mov_b64 s[10:11], 0
	s_mov_b64 s[0:1], -1
	s_and_b64 vcc, exec, s[2:3]
	s_cbranch_vccnz .LBB6_2582
; %bb.2576:
	v_mov_b32_e32 v2, 25
	v_cmp_gt_i16_sdwa s[0:1], v18, v2 src0_sel:BYTE_0 src1_sel:DWORD
	s_mov_b64 s[14:15], -1
	s_mov_b64 s[2:3], 0
	s_and_b64 vcc, exec, s[0:1]
	s_mov_b64 s[0:1], 0
	s_cbranch_vccz .LBB6_2652
; %bb.2577:
	v_mov_b32_e32 v2, 28
	v_cmp_gt_i16_sdwa s[0:1], v18, v2 src0_sel:BYTE_0 src1_sel:DWORD
	s_and_b64 vcc, exec, s[0:1]
	s_cbranch_vccz .LBB6_2621
; %bb.2578:
	v_mov_b32_e32 v2, 43
	v_cmp_gt_i16_sdwa s[0:1], v18, v2 src0_sel:BYTE_0 src1_sel:DWORD
	s_and_b64 vcc, exec, s[0:1]
	;; [unrolled: 5-line block ×3, first 2 shown]
	s_cbranch_vccz .LBB6_2624
; %bb.2580:
	v_mov_b32_e32 v2, 46
	v_cmp_eq_u16_sdwa s[10:11], v18, v2 src0_sel:BYTE_0 src1_sel:DWORD
	s_mov_b64 s[0:1], -1
	s_mov_b64 s[14:15], 0
	s_and_b64 vcc, exec, s[10:11]
	s_mov_b64 s[10:11], 0
	s_cbranch_vccz .LBB6_2625
; %bb.2581:
	v_cvt_f32_f64_e32 v2, v[0:1]
	v_bfe_u32 v3, v2, 16, 1
	s_movk_i32 s0, 0x7fff
	v_add3_u32 v3, v2, v3, s0
	v_lshrrev_b32_e32 v3, 16, v3
	v_mov_b32_e32 v20, 0x7fc0
	v_cmp_o_f32_e32 vcc, v2, v2
	v_cndmask_b32_e32 v2, v20, v3, vcc
	global_store_dword v[16:17], v2, off
	s_mov_b64 s[0:1], 0
	s_mov_b64 s[10:11], -1
	s_branch .LBB6_2625
.LBB6_2582:
	s_and_b64 vcc, exec, s[0:1]
	s_cbranch_vccz .LBB6_2696
; %bb.2583:
	v_mov_b32_e32 v2, 5
	v_cmp_lt_i16_sdwa s[2:3], v18, v2 src0_sel:BYTE_0 src1_sel:DWORD
	s_mov_b64 s[0:1], -1
	s_and_b64 vcc, exec, s[2:3]
	s_cbranch_vccnz .LBB6_2604
; %bb.2584:
	v_mov_b32_e32 v2, 8
	v_cmp_lt_i16_sdwa s[2:3], v18, v2 src0_sel:BYTE_0 src1_sel:DWORD
	s_and_b64 vcc, exec, s[2:3]
	s_cbranch_vccnz .LBB6_2594
; %bb.2585:
	v_mov_b32_e32 v2, 9
	v_cmp_lt_i16_sdwa s[2:3], v18, v2 src0_sel:BYTE_0 src1_sel:DWORD
	s_and_b64 vcc, exec, s[2:3]
	s_cbranch_vccnz .LBB6_2591
; %bb.2586:
	v_cmp_gt_i16_sdwa s[2:3], v18, v2 src0_sel:BYTE_0 src1_sel:DWORD
	s_and_b64 vcc, exec, s[2:3]
	s_cbranch_vccz .LBB6_2588
; %bb.2587:
	v_mov_b32_e32 v2, 0
	v_mov_b32_e32 v3, v2
	global_store_dwordx4 v[16:17], v[0:3], off
	s_mov_b64 s[0:1], 0
.LBB6_2588:
	s_andn2_b64 vcc, exec, s[0:1]
	s_cbranch_vccnz .LBB6_2590
; %bb.2589:
	v_cvt_f32_f64_e32 v2, v[0:1]
	v_mov_b32_e32 v3, 0
	global_store_dwordx2 v[16:17], v[2:3], off
.LBB6_2590:
	s_mov_b64 s[0:1], 0
.LBB6_2591:
	s_andn2_b64 vcc, exec, s[0:1]
	s_cbranch_vccnz .LBB6_2593
; %bb.2592:
	v_cvt_f32_f64_e32 v2, v[0:1]
	v_cvt_f16_f32_e32 v2, v2
	global_store_dword v[16:17], v2, off
.LBB6_2593:
	s_mov_b64 s[0:1], 0
.LBB6_2594:
	s_andn2_b64 vcc, exec, s[0:1]
	s_cbranch_vccnz .LBB6_2603
; %bb.2595:
	v_mov_b32_e32 v2, 6
	v_cmp_lt_i16_sdwa s[2:3], v18, v2 src0_sel:BYTE_0 src1_sel:DWORD
	s_mov_b64 s[0:1], -1
	s_and_b64 vcc, exec, s[2:3]
	s_cbranch_vccnz .LBB6_2601
; %bb.2596:
	v_cmp_gt_i16_sdwa s[2:3], v18, v2 src0_sel:BYTE_0 src1_sel:DWORD
	s_and_b64 vcc, exec, s[2:3]
	s_cbranch_vccz .LBB6_2598
; %bb.2597:
	global_store_dwordx2 v[16:17], v[0:1], off
	s_mov_b64 s[0:1], 0
.LBB6_2598:
	s_andn2_b64 vcc, exec, s[0:1]
	s_cbranch_vccnz .LBB6_2600
; %bb.2599:
	v_cvt_f32_f64_e32 v2, v[0:1]
	global_store_dword v[16:17], v2, off
.LBB6_2600:
	s_mov_b64 s[0:1], 0
.LBB6_2601:
	s_andn2_b64 vcc, exec, s[0:1]
	s_cbranch_vccnz .LBB6_2603
; %bb.2602:
	v_cvt_f32_f64_e32 v2, v[0:1]
	v_cvt_f16_f32_e32 v2, v2
	global_store_short v[16:17], v2, off
.LBB6_2603:
	s_mov_b64 s[0:1], 0
.LBB6_2604:
	s_andn2_b64 vcc, exec, s[0:1]
	s_cbranch_vccnz .LBB6_2620
; %bb.2605:
	v_mov_b32_e32 v2, 2
	v_cmp_lt_i16_sdwa s[2:3], v18, v2 src0_sel:BYTE_0 src1_sel:DWORD
	s_mov_b64 s[0:1], -1
	s_and_b64 vcc, exec, s[2:3]
	s_cbranch_vccnz .LBB6_2615
; %bb.2606:
	v_mov_b32_e32 v2, 3
	v_cmp_lt_i16_sdwa s[2:3], v18, v2 src0_sel:BYTE_0 src1_sel:DWORD
	s_and_b64 vcc, exec, s[2:3]
	s_cbranch_vccnz .LBB6_2612
; %bb.2607:
	v_cmp_gt_i16_sdwa s[2:3], v18, v2 src0_sel:BYTE_0 src1_sel:DWORD
	s_and_b64 vcc, exec, s[2:3]
	s_cbranch_vccz .LBB6_2609
; %bb.2608:
	v_trunc_f64_e32 v[2:3], v[0:1]
	s_movk_i32 s0, 0xffe0
	v_ldexp_f64 v[20:21], v[2:3], s0
	v_floor_f64_e32 v[20:21], v[20:21]
	v_fmac_f64_e32 v[2:3], 0xc1f00000, v[20:21]
	v_cvt_i32_f64_e32 v23, v[20:21]
	v_cvt_u32_f64_e32 v22, v[2:3]
	global_store_dwordx2 v[16:17], v[22:23], off
	s_mov_b64 s[0:1], 0
.LBB6_2609:
	s_andn2_b64 vcc, exec, s[0:1]
	s_cbranch_vccnz .LBB6_2611
; %bb.2610:
	v_cvt_i32_f64_e32 v2, v[0:1]
	global_store_dword v[16:17], v2, off
.LBB6_2611:
	s_mov_b64 s[0:1], 0
.LBB6_2612:
	s_andn2_b64 vcc, exec, s[0:1]
	s_cbranch_vccnz .LBB6_2614
; %bb.2613:
	v_cvt_i32_f64_e32 v2, v[0:1]
	global_store_short v[16:17], v2, off
.LBB6_2614:
	s_mov_b64 s[0:1], 0
.LBB6_2615:
	s_andn2_b64 vcc, exec, s[0:1]
	s_cbranch_vccnz .LBB6_2620
; %bb.2616:
	v_mov_b32_e32 v2, 0
	v_cmp_gt_i16_sdwa s[2:3], v18, v2 src0_sel:BYTE_0 src1_sel:DWORD
	s_mov_b64 s[0:1], -1
	s_and_b64 vcc, exec, s[2:3]
	s_cbranch_vccz .LBB6_2618
; %bb.2617:
	v_cvt_i32_f64_e32 v2, v[0:1]
	global_store_byte v[16:17], v2, off
	s_mov_b64 s[0:1], 0
.LBB6_2618:
	s_andn2_b64 vcc, exec, s[0:1]
	s_cbranch_vccnz .LBB6_2620
; %bb.2619:
	v_trunc_f64_e32 v[0:1], v[0:1]
	s_movk_i32 s0, 0xffe0
	v_ldexp_f64 v[2:3], v[0:1], s0
	v_floor_f64_e32 v[2:3], v[2:3]
	v_fmac_f64_e32 v[0:1], 0xc1f00000, v[2:3]
	v_cvt_u32_f64_e32 v0, v[0:1]
	global_store_byte v[16:17], v0, off
.LBB6_2620:
	s_branch .LBB6_2697
.LBB6_2621:
	s_mov_b64 s[0:1], 0
	s_branch .LBB6_2635
.LBB6_2622:
	s_mov_b64 s[0:1], 0
	s_branch .LBB6_2631
.LBB6_2623:
	s_trap 2
	s_or_b64 s[18:19], s[18:19], exec
                                        ; implicit-def: $vgpr14_vgpr15
	s_cbranch_execz .LBB6_2523
	s_branch .LBB6_2524
.LBB6_2624:
	s_mov_b64 s[0:1], 0
.LBB6_2625:
	s_and_b64 vcc, exec, s[14:15]
	s_cbranch_vccz .LBB6_2630
; %bb.2626:
	v_mov_b32_e32 v2, 44
	v_cmp_eq_u16_sdwa s[14:15], v18, v2 src0_sel:BYTE_0 src1_sel:DWORD
	s_mov_b64 s[0:1], -1
	s_and_b64 vcc, exec, s[14:15]
	s_cbranch_vccz .LBB6_2630
; %bb.2627:
	v_cvt_f32_f64_e32 v2, v[0:1]
	v_bfe_u32 v3, v2, 23, 8
	s_movk_i32 s0, 0xff
	v_cmp_ne_u32_e32 vcc, s0, v3
	v_mov_b32_e32 v20, 0xff
	s_and_saveexec_b64 s[10:11], vcc
; %bb.2628:
	s_mov_b32 s0, 0x3fffff
	v_lshrrev_b32_e32 v20, 23, v2
	v_and_b32_e32 v21, 0x400000, v2
	v_and_or_b32 v2, v2, s0, v3
	v_cmp_ne_u32_e32 vcc, 0, v21
	v_cmp_ne_u32_e64 s[0:1], 0, v2
	s_and_b64 s[0:1], vcc, s[0:1]
	v_cndmask_b32_e64 v2, 0, 1, s[0:1]
	v_add_u32_e32 v20, v20, v2
; %bb.2629:
	s_or_b64 exec, exec, s[10:11]
	s_mov_b64 s[0:1], 0
	s_mov_b64 s[10:11], -1
	global_store_byte v[16:17], v20, off
.LBB6_2630:
	s_mov_b64 s[14:15], 0
.LBB6_2631:
	s_and_b64 vcc, exec, s[14:15]
	s_cbranch_vccz .LBB6_2634
; %bb.2632:
	v_mov_b32_e32 v2, 29
	v_cmp_eq_u16_sdwa s[14:15], v18, v2 src0_sel:BYTE_0 src1_sel:DWORD
	s_mov_b64 s[0:1], -1
	s_and_b64 vcc, exec, s[14:15]
	s_cbranch_vccz .LBB6_2634
; %bb.2633:
	v_trunc_f64_e32 v[2:3], v[0:1]
	s_movk_i32 s0, 0xffe0
	v_ldexp_f64 v[20:21], v[2:3], s0
	v_floor_f64_e32 v[20:21], v[20:21]
	v_fmac_f64_e32 v[2:3], 0xc1f00000, v[20:21]
	v_cvt_u32_f64_e32 v23, v[20:21]
	v_cvt_u32_f64_e32 v22, v[2:3]
	global_store_dwordx2 v[16:17], v[22:23], off
	s_mov_b64 s[0:1], 0
	s_mov_b64 s[10:11], -1
.LBB6_2634:
	s_mov_b64 s[14:15], 0
.LBB6_2635:
	s_and_b64 vcc, exec, s[14:15]
	s_cbranch_vccz .LBB6_2651
; %bb.2636:
	v_mov_b32_e32 v2, 27
	v_cmp_lt_i16_sdwa s[14:15], v18, v2 src0_sel:BYTE_0 src1_sel:DWORD
	s_mov_b64 s[10:11], -1
	s_and_b64 vcc, exec, s[14:15]
	s_cbranch_vccnz .LBB6_2642
; %bb.2637:
	v_cmp_gt_i16_sdwa s[14:15], v18, v2 src0_sel:BYTE_0 src1_sel:DWORD
	s_and_b64 vcc, exec, s[14:15]
	v_cvt_u32_f64_e32 v2, v[0:1]
	s_cbranch_vccz .LBB6_2639
; %bb.2638:
	s_mov_b64 s[10:11], 0
	global_store_dword v[16:17], v2, off
.LBB6_2639:
	s_andn2_b64 vcc, exec, s[10:11]
	s_cbranch_vccnz .LBB6_2641
; %bb.2640:
	global_store_short v[16:17], v2, off
.LBB6_2641:
	s_mov_b64 s[10:11], 0
.LBB6_2642:
	s_andn2_b64 vcc, exec, s[10:11]
	s_cbranch_vccnz .LBB6_2650
; %bb.2643:
	v_cvt_f32_f64_e32 v2, v[0:1]
	v_and_b32_e32 v3, 0x7fffffff, v2
	s_mov_b32 s10, 0x43800000
	v_cmp_gt_u32_e32 vcc, s10, v3
	v_mov_b32_e32 v20, 0x80
	s_and_saveexec_b64 s[10:11], vcc
	s_cbranch_execz .LBB6_2649
; %bb.2644:
	s_mov_b32 s13, 0x3bffffff
	v_cmp_lt_u32_e32 vcc, s13, v3
	s_mov_b64 s[14:15], 0
                                        ; implicit-def: $vgpr3
	s_and_saveexec_b64 s[16:17], vcc
	s_xor_b64 s[16:17], exec, s[16:17]
	s_cbranch_execz .LBB6_2744
; %bb.2645:
	v_bfe_u32 v3, v2, 20, 1
	s_mov_b32 s13, 0x487ffff
	v_add3_u32 v3, v2, v3, s13
	s_mov_b64 s[14:15], exec
	v_lshrrev_b32_e32 v3, 20, v3
	s_or_saveexec_b64 s[16:17], s[16:17]
                                        ; implicit-def: $sgpr13
	s_xor_b64 exec, exec, s[16:17]
	s_cbranch_execnz .LBB6_2745
.LBB6_2646:
	s_or_b64 exec, exec, s[16:17]
	v_mov_b32_e32 v20, s13
	s_and_saveexec_b64 s[16:17], s[14:15]
.LBB6_2647:
	v_lshrrev_b32_e32 v2, 24, v2
	s_movk_i32 s13, 0x80
	v_and_or_b32 v20, v2, s13, v3
.LBB6_2648:
	s_or_b64 exec, exec, s[16:17]
.LBB6_2649:
	s_or_b64 exec, exec, s[10:11]
	global_store_byte v[16:17], v20, off
.LBB6_2650:
	s_mov_b64 s[10:11], -1
.LBB6_2651:
	s_mov_b64 s[14:15], 0
.LBB6_2652:
	s_and_b64 vcc, exec, s[14:15]
	s_cbranch_vccz .LBB6_2692
; %bb.2653:
	v_mov_b32_e32 v2, 22
	v_cmp_gt_i16_sdwa s[14:15], v18, v2 src0_sel:BYTE_0 src1_sel:DWORD
	s_mov_b64 s[2:3], -1
	s_and_b64 vcc, exec, s[14:15]
	s_cbranch_vccz .LBB6_2685
; %bb.2654:
	v_mov_b32_e32 v2, 24
	v_cmp_lt_i16_sdwa s[10:11], v18, v2 src0_sel:BYTE_0 src1_sel:DWORD
	s_and_b64 vcc, exec, s[10:11]
	s_cbranch_vccnz .LBB6_2674
; %bb.2655:
	v_cmp_gt_i16_sdwa s[10:11], v18, v2 src0_sel:BYTE_0 src1_sel:DWORD
	s_and_b64 vcc, exec, s[10:11]
	s_cbranch_vccz .LBB6_2663
; %bb.2656:
	v_cvt_f32_f64_e32 v2, v[0:1]
	v_and_b32_e32 v3, 0x7fffffff, v2
	s_mov_b32 s2, 0x47800000
	v_cmp_gt_u32_e32 vcc, s2, v3
	v_mov_b32_e32 v20, 0x80
	s_and_saveexec_b64 s[2:3], vcc
	s_cbranch_execz .LBB6_2662
; %bb.2657:
	s_mov_b32 s10, 0x37ffffff
	v_cmp_lt_u32_e32 vcc, s10, v3
	s_mov_b64 s[10:11], 0
                                        ; implicit-def: $vgpr3
	s_and_saveexec_b64 s[14:15], vcc
	s_xor_b64 s[14:15], exec, s[14:15]
	s_cbranch_execz .LBB6_2748
; %bb.2658:
	v_bfe_u32 v3, v2, 21, 1
	s_mov_b32 s13, 0x88fffff
	v_add3_u32 v3, v2, v3, s13
	s_mov_b64 s[10:11], exec
	v_lshrrev_b32_e32 v3, 21, v3
	s_or_saveexec_b64 s[14:15], s[14:15]
                                        ; implicit-def: $sgpr13
	s_xor_b64 exec, exec, s[14:15]
	s_cbranch_execnz .LBB6_2749
.LBB6_2659:
	s_or_b64 exec, exec, s[14:15]
	v_mov_b32_e32 v20, s13
	s_and_saveexec_b64 s[14:15], s[10:11]
.LBB6_2660:
	v_lshrrev_b32_e32 v2, 24, v2
	s_movk_i32 s10, 0x80
	v_and_or_b32 v20, v2, s10, v3
.LBB6_2661:
	s_or_b64 exec, exec, s[14:15]
.LBB6_2662:
	s_or_b64 exec, exec, s[2:3]
	s_mov_b64 s[2:3], 0
	global_store_byte v[16:17], v20, off
.LBB6_2663:
	s_and_b64 vcc, exec, s[2:3]
	s_cbranch_vccz .LBB6_2673
; %bb.2664:
	v_cvt_f32_f64_e32 v2, v[0:1]
	v_and_b32_e32 v20, 0x7fffffff, v2
	s_mov_b32 s2, 0x43f00000
	v_cmp_gt_u32_e32 vcc, s2, v20
                                        ; implicit-def: $vgpr3
	s_and_saveexec_b64 s[2:3], vcc
	s_xor_b64 s[2:3], exec, s[2:3]
	s_cbranch_execz .LBB6_2670
; %bb.2665:
	s_mov_b32 s10, 0x3c7fffff
	v_cmp_lt_u32_e32 vcc, s10, v20
                                        ; implicit-def: $vgpr3
	s_and_saveexec_b64 s[10:11], vcc
	s_xor_b64 s[10:11], exec, s[10:11]
; %bb.2666:
	v_bfe_u32 v3, v2, 20, 1
	s_mov_b32 s13, 0x407ffff
	v_add3_u32 v3, v2, v3, s13
	v_lshrrev_b32_e32 v20, 20, v3
	v_and_b32_e32 v3, 0xff00000, v3
	s_mov_b32 s13, 0x7f00000
	v_mov_b32_e32 v21, 0x7e
	v_cmp_ne_u32_e32 vcc, s13, v3
	v_cndmask_b32_e32 v3, v21, v20, vcc
; %bb.2667:
	s_andn2_saveexec_b64 s[10:11], s[10:11]
; %bb.2668:
	s_mov_b32 s13, 0x46800000
	v_add_f32_e64 v3, |v2|, s13
; %bb.2669:
	s_or_b64 exec, exec, s[10:11]
                                        ; implicit-def: $vgpr20
.LBB6_2670:
	s_andn2_saveexec_b64 s[2:3], s[2:3]
; %bb.2671:
	s_mov_b32 s10, 0x7f800000
	v_mov_b32_e32 v3, 0x7e
	v_mov_b32_e32 v21, 0x7f
	v_cmp_lt_u32_e32 vcc, s10, v20
	v_cndmask_b32_e32 v3, v3, v21, vcc
; %bb.2672:
	s_or_b64 exec, exec, s[2:3]
	v_lshrrev_b32_e32 v2, 24, v2
	s_movk_i32 s2, 0x80
	v_and_or_b32 v2, v2, s2, v3
	global_store_byte v[16:17], v2, off
.LBB6_2673:
	s_mov_b64 s[2:3], 0
.LBB6_2674:
	s_andn2_b64 vcc, exec, s[2:3]
	s_cbranch_vccnz .LBB6_2684
; %bb.2675:
	v_cvt_f32_f64_e32 v2, v[0:1]
	v_and_b32_e32 v20, 0x7fffffff, v2
	s_mov_b32 s2, 0x47800000
	v_cmp_gt_u32_e32 vcc, s2, v20
                                        ; implicit-def: $vgpr3
	s_and_saveexec_b64 s[2:3], vcc
	s_xor_b64 s[2:3], exec, s[2:3]
	s_cbranch_execz .LBB6_2681
; %bb.2676:
	s_mov_b32 s10, 0x387fffff
	v_cmp_lt_u32_e32 vcc, s10, v20
                                        ; implicit-def: $vgpr3
	s_and_saveexec_b64 s[10:11], vcc
	s_xor_b64 s[10:11], exec, s[10:11]
; %bb.2677:
	v_bfe_u32 v3, v2, 21, 1
	s_mov_b32 s13, 0x80fffff
	v_add3_u32 v3, v2, v3, s13
	v_lshrrev_b32_e32 v3, 21, v3
; %bb.2678:
	s_andn2_saveexec_b64 s[10:11], s[10:11]
; %bb.2679:
	s_mov_b32 s13, 0x43000000
	v_add_f32_e64 v3, |v2|, s13
; %bb.2680:
	s_or_b64 exec, exec, s[10:11]
                                        ; implicit-def: $vgpr20
.LBB6_2681:
	s_andn2_saveexec_b64 s[2:3], s[2:3]
; %bb.2682:
	s_mov_b32 s10, 0x7f800000
	v_mov_b32_e32 v3, 0x7c
	v_mov_b32_e32 v21, 0x7f
	v_cmp_lt_u32_e32 vcc, s10, v20
	v_cndmask_b32_e32 v3, v3, v21, vcc
; %bb.2683:
	s_or_b64 exec, exec, s[2:3]
	v_lshrrev_b32_e32 v2, 24, v2
	s_movk_i32 s2, 0x80
	v_and_or_b32 v2, v2, s2, v3
	global_store_byte v[16:17], v2, off
.LBB6_2684:
	s_mov_b64 s[2:3], 0
	s_mov_b64 s[10:11], -1
.LBB6_2685:
	s_andn2_b64 vcc, exec, s[2:3]
	s_mov_b64 s[2:3], 0
	s_cbranch_vccnz .LBB6_2692
; %bb.2686:
	v_mov_b32_e32 v2, 14
	v_cmp_gt_i16_sdwa s[2:3], v18, v2 src0_sel:BYTE_0 src1_sel:DWORD
	s_mov_b64 s[14:15], -1
	s_and_b64 vcc, exec, s[2:3]
	s_cbranch_vccz .LBB6_2690
; %bb.2687:
	v_mov_b32_e32 v2, 15
	v_cmp_eq_u16_sdwa s[2:3], v18, v2 src0_sel:BYTE_0 src1_sel:DWORD
	s_mov_b64 s[0:1], -1
	s_and_b64 vcc, exec, s[2:3]
	s_cbranch_vccz .LBB6_2689
; %bb.2688:
	v_cvt_f32_f64_e32 v2, v[0:1]
	v_bfe_u32 v3, v2, 16, 1
	s_movk_i32 s0, 0x7fff
	v_add3_u32 v3, v2, v3, s0
	v_lshrrev_b32_e32 v3, 16, v3
	v_mov_b32_e32 v20, 0x7fc0
	v_cmp_o_f32_e32 vcc, v2, v2
	v_cndmask_b32_e32 v2, v20, v3, vcc
	global_store_short v[16:17], v2, off
	s_mov_b64 s[0:1], 0
	s_mov_b64 s[10:11], -1
.LBB6_2689:
	s_mov_b64 s[14:15], 0
.LBB6_2690:
	s_mov_b64 s[2:3], 0
	s_and_b64 vcc, exec, s[14:15]
	s_cbranch_vccz .LBB6_2692
; %bb.2691:
	v_mov_b32_e32 v2, 11
	v_cmp_ne_u16_sdwa s[0:1], v18, v2 src0_sel:BYTE_0 src1_sel:DWORD
	s_mov_b64 s[2:3], -1
.LBB6_2692:
	s_and_b64 vcc, exec, s[0:1]
	s_cbranch_vccnz .LBB6_2747
; %bb.2693:
	s_andn2_b64 vcc, exec, s[2:3]
	s_cbranch_vccnz .LBB6_2695
.LBB6_2694:
	v_cmp_neq_f64_e32 vcc, 0, v[0:1]
	v_cndmask_b32_e64 v2, 0, 1, vcc
	s_mov_b64 s[10:11], -1
	global_store_byte v[16:17], v2, off
.LBB6_2695:
.LBB6_2696:
	s_andn2_b64 vcc, exec, s[10:11]
	s_cbranch_vccnz .LBB6_2869
.LBB6_2697:
	s_lshl_b32 s16, s12, 7
	v_mul_f64 v[0:1], v[4:5], v[6:7]
	v_cmp_lt_f64_e32 vcc, 0, v[4:5]
	v_add_u32_e32 v6, s16, v19
	v_cndmask_b32_e32 v1, v1, v5, vcc
	v_cndmask_b32_e32 v0, v0, v4, vcc
	v_ashrrev_i32_e32 v2, 31, v6
	v_mov_b32_e32 v3, s9
	v_add_co_u32_e32 v4, vcc, s8, v6
	v_addc_co_u32_e32 v5, vcc, v3, v2, vcc
	v_mov_b32_e32 v2, 11
	v_cmp_lt_i16_sdwa s[2:3], v18, v2 src0_sel:BYTE_0 src1_sel:DWORD
	s_mov_b64 s[10:11], 0
	s_mov_b64 s[0:1], -1
	s_and_b64 vcc, exec, s[2:3]
	s_cbranch_vccnz .LBB6_2704
; %bb.2698:
	v_mov_b32_e32 v2, 25
	v_cmp_gt_i16_sdwa s[0:1], v18, v2 src0_sel:BYTE_0 src1_sel:DWORD
	s_mov_b64 s[12:13], -1
	s_mov_b64 s[2:3], 0
	s_and_b64 vcc, exec, s[0:1]
	s_mov_b64 s[0:1], 0
	s_cbranch_vccz .LBB6_2778
; %bb.2699:
	v_mov_b32_e32 v2, 28
	v_cmp_gt_i16_sdwa s[0:1], v18, v2 src0_sel:BYTE_0 src1_sel:DWORD
	s_and_b64 vcc, exec, s[0:1]
	s_cbranch_vccz .LBB6_2743
; %bb.2700:
	v_mov_b32_e32 v2, 43
	v_cmp_gt_i16_sdwa s[0:1], v18, v2 src0_sel:BYTE_0 src1_sel:DWORD
	s_and_b64 vcc, exec, s[0:1]
	;; [unrolled: 5-line block ×3, first 2 shown]
	s_cbranch_vccz .LBB6_2750
; %bb.2702:
	v_mov_b32_e32 v2, 46
	v_cmp_eq_u16_sdwa s[10:11], v18, v2 src0_sel:BYTE_0 src1_sel:DWORD
	s_mov_b64 s[0:1], -1
	s_mov_b64 s[12:13], 0
	s_and_b64 vcc, exec, s[10:11]
	s_mov_b64 s[10:11], 0
	s_cbranch_vccz .LBB6_2751
; %bb.2703:
	v_cvt_f32_f64_e32 v2, v[0:1]
	v_bfe_u32 v3, v2, 16, 1
	s_movk_i32 s0, 0x7fff
	v_add3_u32 v3, v2, v3, s0
	v_lshrrev_b32_e32 v3, 16, v3
	v_mov_b32_e32 v7, 0x7fc0
	v_cmp_o_f32_e32 vcc, v2, v2
	v_cndmask_b32_e32 v2, v7, v3, vcc
	global_store_dword v[4:5], v2, off
	s_mov_b64 s[0:1], 0
	s_mov_b64 s[10:11], -1
	s_branch .LBB6_2751
.LBB6_2704:
	s_and_b64 vcc, exec, s[0:1]
	s_cbranch_vccz .LBB6_2822
; %bb.2705:
	v_mov_b32_e32 v2, 5
	v_cmp_lt_i16_sdwa s[2:3], v18, v2 src0_sel:BYTE_0 src1_sel:DWORD
	s_mov_b64 s[0:1], -1
	s_and_b64 vcc, exec, s[2:3]
	s_cbranch_vccnz .LBB6_2726
; %bb.2706:
	v_mov_b32_e32 v2, 8
	v_cmp_lt_i16_sdwa s[2:3], v18, v2 src0_sel:BYTE_0 src1_sel:DWORD
	s_and_b64 vcc, exec, s[2:3]
	s_cbranch_vccnz .LBB6_2716
; %bb.2707:
	v_mov_b32_e32 v2, 9
	v_cmp_lt_i16_sdwa s[2:3], v18, v2 src0_sel:BYTE_0 src1_sel:DWORD
	s_and_b64 vcc, exec, s[2:3]
	s_cbranch_vccnz .LBB6_2713
; %bb.2708:
	v_cmp_gt_i16_sdwa s[2:3], v18, v2 src0_sel:BYTE_0 src1_sel:DWORD
	s_and_b64 vcc, exec, s[2:3]
	s_cbranch_vccz .LBB6_2710
; %bb.2709:
	v_mov_b32_e32 v2, 0
	v_mov_b32_e32 v3, v2
	global_store_dwordx4 v[4:5], v[0:3], off
	s_mov_b64 s[0:1], 0
.LBB6_2710:
	s_andn2_b64 vcc, exec, s[0:1]
	s_cbranch_vccnz .LBB6_2712
; %bb.2711:
	v_cvt_f32_f64_e32 v2, v[0:1]
	v_mov_b32_e32 v3, 0
	global_store_dwordx2 v[4:5], v[2:3], off
.LBB6_2712:
	s_mov_b64 s[0:1], 0
.LBB6_2713:
	s_andn2_b64 vcc, exec, s[0:1]
	s_cbranch_vccnz .LBB6_2715
; %bb.2714:
	v_cvt_f32_f64_e32 v2, v[0:1]
	v_cvt_f16_f32_e32 v2, v2
	global_store_dword v[4:5], v2, off
.LBB6_2715:
	s_mov_b64 s[0:1], 0
.LBB6_2716:
	s_andn2_b64 vcc, exec, s[0:1]
	s_cbranch_vccnz .LBB6_2725
; %bb.2717:
	v_mov_b32_e32 v2, 6
	v_cmp_lt_i16_sdwa s[2:3], v18, v2 src0_sel:BYTE_0 src1_sel:DWORD
	s_mov_b64 s[0:1], -1
	s_and_b64 vcc, exec, s[2:3]
	s_cbranch_vccnz .LBB6_2723
; %bb.2718:
	v_cmp_gt_i16_sdwa s[2:3], v18, v2 src0_sel:BYTE_0 src1_sel:DWORD
	s_and_b64 vcc, exec, s[2:3]
	s_cbranch_vccz .LBB6_2720
; %bb.2719:
	global_store_dwordx2 v[4:5], v[0:1], off
	s_mov_b64 s[0:1], 0
.LBB6_2720:
	s_andn2_b64 vcc, exec, s[0:1]
	s_cbranch_vccnz .LBB6_2722
; %bb.2721:
	v_cvt_f32_f64_e32 v2, v[0:1]
	global_store_dword v[4:5], v2, off
.LBB6_2722:
	s_mov_b64 s[0:1], 0
.LBB6_2723:
	s_andn2_b64 vcc, exec, s[0:1]
	s_cbranch_vccnz .LBB6_2725
; %bb.2724:
	v_cvt_f32_f64_e32 v2, v[0:1]
	v_cvt_f16_f32_e32 v2, v2
	global_store_short v[4:5], v2, off
.LBB6_2725:
	s_mov_b64 s[0:1], 0
.LBB6_2726:
	s_andn2_b64 vcc, exec, s[0:1]
	s_cbranch_vccnz .LBB6_2742
; %bb.2727:
	v_mov_b32_e32 v2, 2
	v_cmp_lt_i16_sdwa s[2:3], v18, v2 src0_sel:BYTE_0 src1_sel:DWORD
	s_mov_b64 s[0:1], -1
	s_and_b64 vcc, exec, s[2:3]
	s_cbranch_vccnz .LBB6_2737
; %bb.2728:
	v_mov_b32_e32 v2, 3
	v_cmp_lt_i16_sdwa s[2:3], v18, v2 src0_sel:BYTE_0 src1_sel:DWORD
	s_and_b64 vcc, exec, s[2:3]
	s_cbranch_vccnz .LBB6_2734
; %bb.2729:
	v_cmp_gt_i16_sdwa s[2:3], v18, v2 src0_sel:BYTE_0 src1_sel:DWORD
	s_and_b64 vcc, exec, s[2:3]
	s_cbranch_vccz .LBB6_2731
; %bb.2730:
	v_trunc_f64_e32 v[2:3], v[0:1]
	s_movk_i32 s0, 0xffe0
	v_ldexp_f64 v[16:17], v[2:3], s0
	v_floor_f64_e32 v[16:17], v[16:17]
	v_fmac_f64_e32 v[2:3], 0xc1f00000, v[16:17]
	v_cvt_i32_f64_e32 v21, v[16:17]
	v_cvt_u32_f64_e32 v20, v[2:3]
	global_store_dwordx2 v[4:5], v[20:21], off
	s_mov_b64 s[0:1], 0
.LBB6_2731:
	s_andn2_b64 vcc, exec, s[0:1]
	s_cbranch_vccnz .LBB6_2733
; %bb.2732:
	v_cvt_i32_f64_e32 v2, v[0:1]
	global_store_dword v[4:5], v2, off
.LBB6_2733:
	s_mov_b64 s[0:1], 0
.LBB6_2734:
	s_andn2_b64 vcc, exec, s[0:1]
	s_cbranch_vccnz .LBB6_2736
; %bb.2735:
	v_cvt_i32_f64_e32 v2, v[0:1]
	global_store_short v[4:5], v2, off
.LBB6_2736:
	s_mov_b64 s[0:1], 0
.LBB6_2737:
	s_andn2_b64 vcc, exec, s[0:1]
	s_cbranch_vccnz .LBB6_2742
; %bb.2738:
	v_mov_b32_e32 v2, 0
	v_cmp_gt_i16_sdwa s[2:3], v18, v2 src0_sel:BYTE_0 src1_sel:DWORD
	s_mov_b64 s[0:1], -1
	s_and_b64 vcc, exec, s[2:3]
	s_cbranch_vccz .LBB6_2740
; %bb.2739:
	v_cvt_i32_f64_e32 v2, v[0:1]
	global_store_byte v[4:5], v2, off
	s_mov_b64 s[0:1], 0
.LBB6_2740:
	s_andn2_b64 vcc, exec, s[0:1]
	s_cbranch_vccnz .LBB6_2742
; %bb.2741:
	v_trunc_f64_e32 v[0:1], v[0:1]
	s_movk_i32 s0, 0xffe0
	v_ldexp_f64 v[2:3], v[0:1], s0
	v_floor_f64_e32 v[2:3], v[2:3]
	v_fmac_f64_e32 v[0:1], 0xc1f00000, v[2:3]
	v_cvt_u32_f64_e32 v0, v[0:1]
	global_store_byte v[4:5], v0, off
.LBB6_2742:
	s_branch .LBB6_2823
.LBB6_2743:
	s_mov_b64 s[0:1], 0
	s_branch .LBB6_2761
.LBB6_2744:
	s_or_saveexec_b64 s[16:17], s[16:17]
                                        ; implicit-def: $sgpr13
	s_xor_b64 exec, exec, s[16:17]
	s_cbranch_execz .LBB6_2646
.LBB6_2745:
	s_mov_b32 s13, 0x46000000
	v_add_f32_e64 v3, |v2|, s13
	v_and_b32_e32 v3, 0xff, v3
	v_cmp_ne_u32_e32 vcc, 0, v3
	s_andn2_b64 s[14:15], s[14:15], exec
	s_and_b64 s[20:21], vcc, exec
	s_mov_b32 s13, 0
	s_or_b64 s[14:15], s[14:15], s[20:21]
	s_or_b64 exec, exec, s[16:17]
	v_mov_b32_e32 v20, s13
	s_and_saveexec_b64 s[16:17], s[14:15]
	s_cbranch_execnz .LBB6_2647
	s_branch .LBB6_2648
.LBB6_2746:
	s_mov_b64 s[0:1], 0
	s_branch .LBB6_2757
.LBB6_2747:
	s_trap 2
	s_or_b64 s[18:19], s[18:19], exec
	s_cbranch_execz .LBB6_2694
	s_branch .LBB6_2695
.LBB6_2748:
	s_or_saveexec_b64 s[14:15], s[14:15]
                                        ; implicit-def: $sgpr13
	s_xor_b64 exec, exec, s[14:15]
	s_cbranch_execz .LBB6_2659
.LBB6_2749:
	s_mov_b32 s13, 0x42800000
	v_add_f32_e64 v3, |v2|, s13
	v_and_b32_e32 v3, 0xff, v3
	v_cmp_ne_u32_e32 vcc, 0, v3
	s_andn2_b64 s[10:11], s[10:11], exec
	s_and_b64 s[16:17], vcc, exec
	s_mov_b32 s13, 0
	s_or_b64 s[10:11], s[10:11], s[16:17]
	s_or_b64 exec, exec, s[14:15]
	v_mov_b32_e32 v20, s13
	s_and_saveexec_b64 s[14:15], s[10:11]
	s_cbranch_execnz .LBB6_2660
	s_branch .LBB6_2661
.LBB6_2750:
	s_mov_b64 s[0:1], 0
.LBB6_2751:
	s_and_b64 vcc, exec, s[12:13]
	s_cbranch_vccz .LBB6_2756
; %bb.2752:
	v_mov_b32_e32 v2, 44
	v_cmp_eq_u16_sdwa s[12:13], v18, v2 src0_sel:BYTE_0 src1_sel:DWORD
	s_mov_b64 s[0:1], -1
	s_and_b64 vcc, exec, s[12:13]
	s_cbranch_vccz .LBB6_2756
; %bb.2753:
	v_cvt_f32_f64_e32 v2, v[0:1]
	v_bfe_u32 v3, v2, 23, 8
	s_movk_i32 s0, 0xff
	v_cmp_ne_u32_e32 vcc, s0, v3
	v_mov_b32_e32 v7, 0xff
	s_and_saveexec_b64 s[10:11], vcc
; %bb.2754:
	s_mov_b32 s0, 0x3fffff
	v_lshrrev_b32_e32 v7, 23, v2
	v_and_b32_e32 v16, 0x400000, v2
	v_and_or_b32 v2, v2, s0, v3
	v_cmp_ne_u32_e32 vcc, 0, v16
	v_cmp_ne_u32_e64 s[0:1], 0, v2
	s_and_b64 s[0:1], vcc, s[0:1]
	v_cndmask_b32_e64 v2, 0, 1, s[0:1]
	v_add_u32_e32 v7, v7, v2
; %bb.2755:
	s_or_b64 exec, exec, s[10:11]
	s_mov_b64 s[0:1], 0
	s_mov_b64 s[10:11], -1
	global_store_byte v[4:5], v7, off
.LBB6_2756:
	s_mov_b64 s[12:13], 0
.LBB6_2757:
	s_and_b64 vcc, exec, s[12:13]
	s_cbranch_vccz .LBB6_2760
; %bb.2758:
	v_mov_b32_e32 v2, 29
	v_cmp_eq_u16_sdwa s[12:13], v18, v2 src0_sel:BYTE_0 src1_sel:DWORD
	s_mov_b64 s[0:1], -1
	s_and_b64 vcc, exec, s[12:13]
	s_cbranch_vccz .LBB6_2760
; %bb.2759:
	v_trunc_f64_e32 v[2:3], v[0:1]
	s_movk_i32 s0, 0xffe0
	v_ldexp_f64 v[16:17], v[2:3], s0
	v_floor_f64_e32 v[16:17], v[16:17]
	v_fmac_f64_e32 v[2:3], 0xc1f00000, v[16:17]
	v_cvt_u32_f64_e32 v21, v[16:17]
	v_cvt_u32_f64_e32 v20, v[2:3]
	global_store_dwordx2 v[4:5], v[20:21], off
	s_mov_b64 s[0:1], 0
	s_mov_b64 s[10:11], -1
.LBB6_2760:
	s_mov_b64 s[12:13], 0
.LBB6_2761:
	s_and_b64 vcc, exec, s[12:13]
	s_cbranch_vccz .LBB6_2777
; %bb.2762:
	v_mov_b32_e32 v2, 27
	v_cmp_lt_i16_sdwa s[12:13], v18, v2 src0_sel:BYTE_0 src1_sel:DWORD
	s_mov_b64 s[10:11], -1
	s_and_b64 vcc, exec, s[12:13]
	s_cbranch_vccnz .LBB6_2768
; %bb.2763:
	v_cmp_gt_i16_sdwa s[12:13], v18, v2 src0_sel:BYTE_0 src1_sel:DWORD
	s_and_b64 vcc, exec, s[12:13]
	v_cvt_u32_f64_e32 v2, v[0:1]
	s_cbranch_vccz .LBB6_2765
; %bb.2764:
	s_mov_b64 s[10:11], 0
	global_store_dword v[4:5], v2, off
.LBB6_2765:
	s_andn2_b64 vcc, exec, s[10:11]
	s_cbranch_vccnz .LBB6_2767
; %bb.2766:
	global_store_short v[4:5], v2, off
.LBB6_2767:
	s_mov_b64 s[10:11], 0
.LBB6_2768:
	s_andn2_b64 vcc, exec, s[10:11]
	s_cbranch_vccnz .LBB6_2776
; %bb.2769:
	v_cvt_f32_f64_e32 v2, v[0:1]
	v_and_b32_e32 v3, 0x7fffffff, v2
	s_mov_b32 s10, 0x43800000
	v_cmp_gt_u32_e32 vcc, s10, v3
	v_mov_b32_e32 v7, 0x80
	s_and_saveexec_b64 s[10:11], vcc
	s_cbranch_execz .LBB6_2775
; %bb.2770:
	s_mov_b32 s12, 0x3bffffff
	v_cmp_lt_u32_e32 vcc, s12, v3
	s_mov_b64 s[12:13], 0
                                        ; implicit-def: $vgpr3
	s_and_saveexec_b64 s[14:15], vcc
	s_xor_b64 s[14:15], exec, s[14:15]
	s_cbranch_execz .LBB6_2915
; %bb.2771:
	v_bfe_u32 v3, v2, 20, 1
	s_mov_b32 s17, 0x487ffff
	v_add3_u32 v3, v2, v3, s17
	s_mov_b64 s[12:13], exec
	v_lshrrev_b32_e32 v3, 20, v3
	s_or_saveexec_b64 s[14:15], s[14:15]
                                        ; implicit-def: $sgpr17
	s_xor_b64 exec, exec, s[14:15]
	s_cbranch_execnz .LBB6_2916
.LBB6_2772:
	s_or_b64 exec, exec, s[14:15]
	v_mov_b32_e32 v7, s17
	s_and_saveexec_b64 s[14:15], s[12:13]
.LBB6_2773:
	v_lshrrev_b32_e32 v2, 24, v2
	s_movk_i32 s12, 0x80
	v_and_or_b32 v7, v2, s12, v3
.LBB6_2774:
	s_or_b64 exec, exec, s[14:15]
.LBB6_2775:
	s_or_b64 exec, exec, s[10:11]
	global_store_byte v[4:5], v7, off
.LBB6_2776:
	s_mov_b64 s[10:11], -1
.LBB6_2777:
	s_mov_b64 s[12:13], 0
.LBB6_2778:
	s_and_b64 vcc, exec, s[12:13]
	s_cbranch_vccz .LBB6_2818
; %bb.2779:
	v_mov_b32_e32 v2, 22
	v_cmp_gt_i16_sdwa s[12:13], v18, v2 src0_sel:BYTE_0 src1_sel:DWORD
	s_mov_b64 s[2:3], -1
	s_and_b64 vcc, exec, s[12:13]
	s_cbranch_vccz .LBB6_2811
; %bb.2780:
	v_mov_b32_e32 v2, 24
	v_cmp_lt_i16_sdwa s[10:11], v18, v2 src0_sel:BYTE_0 src1_sel:DWORD
	s_and_b64 vcc, exec, s[10:11]
	s_cbranch_vccnz .LBB6_2800
; %bb.2781:
	v_cmp_gt_i16_sdwa s[10:11], v18, v2 src0_sel:BYTE_0 src1_sel:DWORD
	s_and_b64 vcc, exec, s[10:11]
	s_cbranch_vccz .LBB6_2789
; %bb.2782:
	v_cvt_f32_f64_e32 v2, v[0:1]
	v_and_b32_e32 v3, 0x7fffffff, v2
	s_mov_b32 s2, 0x47800000
	v_cmp_gt_u32_e32 vcc, s2, v3
	v_mov_b32_e32 v7, 0x80
	s_and_saveexec_b64 s[2:3], vcc
	s_cbranch_execz .LBB6_2788
; %bb.2783:
	s_mov_b32 s10, 0x37ffffff
	v_cmp_lt_u32_e32 vcc, s10, v3
	s_mov_b64 s[10:11], 0
                                        ; implicit-def: $vgpr3
	s_and_saveexec_b64 s[12:13], vcc
	s_xor_b64 s[12:13], exec, s[12:13]
	s_cbranch_execz .LBB6_2919
; %bb.2784:
	v_bfe_u32 v3, v2, 21, 1
	s_mov_b32 s14, 0x88fffff
	v_add3_u32 v3, v2, v3, s14
	s_mov_b64 s[10:11], exec
	v_lshrrev_b32_e32 v3, 21, v3
	s_or_saveexec_b64 s[12:13], s[12:13]
                                        ; implicit-def: $sgpr14
	s_xor_b64 exec, exec, s[12:13]
	s_cbranch_execnz .LBB6_2920
.LBB6_2785:
	s_or_b64 exec, exec, s[12:13]
	v_mov_b32_e32 v7, s14
	s_and_saveexec_b64 s[12:13], s[10:11]
.LBB6_2786:
	v_lshrrev_b32_e32 v2, 24, v2
	s_movk_i32 s10, 0x80
	v_and_or_b32 v7, v2, s10, v3
.LBB6_2787:
	s_or_b64 exec, exec, s[12:13]
.LBB6_2788:
	s_or_b64 exec, exec, s[2:3]
	s_mov_b64 s[2:3], 0
	global_store_byte v[4:5], v7, off
.LBB6_2789:
	s_and_b64 vcc, exec, s[2:3]
	s_cbranch_vccz .LBB6_2799
; %bb.2790:
	v_cvt_f32_f64_e32 v2, v[0:1]
	v_and_b32_e32 v7, 0x7fffffff, v2
	s_mov_b32 s2, 0x43f00000
	v_cmp_gt_u32_e32 vcc, s2, v7
                                        ; implicit-def: $vgpr3
	s_and_saveexec_b64 s[2:3], vcc
	s_xor_b64 s[2:3], exec, s[2:3]
	s_cbranch_execz .LBB6_2796
; %bb.2791:
	s_mov_b32 s10, 0x3c7fffff
	v_cmp_lt_u32_e32 vcc, s10, v7
                                        ; implicit-def: $vgpr3
	s_and_saveexec_b64 s[10:11], vcc
	s_xor_b64 s[10:11], exec, s[10:11]
; %bb.2792:
	v_bfe_u32 v3, v2, 20, 1
	s_mov_b32 s12, 0x407ffff
	v_add3_u32 v3, v2, v3, s12
	v_lshrrev_b32_e32 v7, 20, v3
	v_and_b32_e32 v3, 0xff00000, v3
	s_mov_b32 s12, 0x7f00000
	v_mov_b32_e32 v16, 0x7e
	v_cmp_ne_u32_e32 vcc, s12, v3
	v_cndmask_b32_e32 v3, v16, v7, vcc
; %bb.2793:
	s_andn2_saveexec_b64 s[10:11], s[10:11]
; %bb.2794:
	s_mov_b32 s12, 0x46800000
	v_add_f32_e64 v3, |v2|, s12
; %bb.2795:
	s_or_b64 exec, exec, s[10:11]
                                        ; implicit-def: $vgpr7
.LBB6_2796:
	s_andn2_saveexec_b64 s[2:3], s[2:3]
; %bb.2797:
	s_mov_b32 s10, 0x7f800000
	v_mov_b32_e32 v3, 0x7e
	v_mov_b32_e32 v16, 0x7f
	v_cmp_lt_u32_e32 vcc, s10, v7
	v_cndmask_b32_e32 v3, v3, v16, vcc
; %bb.2798:
	s_or_b64 exec, exec, s[2:3]
	v_lshrrev_b32_e32 v2, 24, v2
	s_movk_i32 s2, 0x80
	v_and_or_b32 v2, v2, s2, v3
	global_store_byte v[4:5], v2, off
.LBB6_2799:
	s_mov_b64 s[2:3], 0
.LBB6_2800:
	s_andn2_b64 vcc, exec, s[2:3]
	s_cbranch_vccnz .LBB6_2810
; %bb.2801:
	v_cvt_f32_f64_e32 v2, v[0:1]
	v_and_b32_e32 v7, 0x7fffffff, v2
	s_mov_b32 s2, 0x47800000
	v_cmp_gt_u32_e32 vcc, s2, v7
                                        ; implicit-def: $vgpr3
	s_and_saveexec_b64 s[2:3], vcc
	s_xor_b64 s[2:3], exec, s[2:3]
	s_cbranch_execz .LBB6_2807
; %bb.2802:
	s_mov_b32 s10, 0x387fffff
	v_cmp_lt_u32_e32 vcc, s10, v7
                                        ; implicit-def: $vgpr3
	s_and_saveexec_b64 s[10:11], vcc
	s_xor_b64 s[10:11], exec, s[10:11]
; %bb.2803:
	v_bfe_u32 v3, v2, 21, 1
	s_mov_b32 s12, 0x80fffff
	v_add3_u32 v3, v2, v3, s12
	v_lshrrev_b32_e32 v3, 21, v3
; %bb.2804:
	s_andn2_saveexec_b64 s[10:11], s[10:11]
; %bb.2805:
	s_mov_b32 s12, 0x43000000
	v_add_f32_e64 v3, |v2|, s12
; %bb.2806:
	s_or_b64 exec, exec, s[10:11]
                                        ; implicit-def: $vgpr7
.LBB6_2807:
	s_andn2_saveexec_b64 s[2:3], s[2:3]
; %bb.2808:
	s_mov_b32 s10, 0x7f800000
	v_mov_b32_e32 v3, 0x7c
	v_mov_b32_e32 v16, 0x7f
	v_cmp_lt_u32_e32 vcc, s10, v7
	v_cndmask_b32_e32 v3, v3, v16, vcc
; %bb.2809:
	s_or_b64 exec, exec, s[2:3]
	v_lshrrev_b32_e32 v2, 24, v2
	s_movk_i32 s2, 0x80
	v_and_or_b32 v2, v2, s2, v3
	global_store_byte v[4:5], v2, off
.LBB6_2810:
	s_mov_b64 s[2:3], 0
	s_mov_b64 s[10:11], -1
.LBB6_2811:
	s_andn2_b64 vcc, exec, s[2:3]
	s_mov_b64 s[2:3], 0
	s_cbranch_vccnz .LBB6_2818
; %bb.2812:
	v_mov_b32_e32 v2, 14
	v_cmp_gt_i16_sdwa s[2:3], v18, v2 src0_sel:BYTE_0 src1_sel:DWORD
	s_mov_b64 s[12:13], -1
	s_and_b64 vcc, exec, s[2:3]
	s_cbranch_vccz .LBB6_2816
; %bb.2813:
	v_mov_b32_e32 v2, 15
	v_cmp_eq_u16_sdwa s[2:3], v18, v2 src0_sel:BYTE_0 src1_sel:DWORD
	s_mov_b64 s[0:1], -1
	s_and_b64 vcc, exec, s[2:3]
	s_cbranch_vccz .LBB6_2815
; %bb.2814:
	v_cvt_f32_f64_e32 v2, v[0:1]
	v_bfe_u32 v3, v2, 16, 1
	s_movk_i32 s0, 0x7fff
	v_add3_u32 v3, v2, v3, s0
	v_lshrrev_b32_e32 v3, 16, v3
	v_mov_b32_e32 v7, 0x7fc0
	v_cmp_o_f32_e32 vcc, v2, v2
	v_cndmask_b32_e32 v2, v7, v3, vcc
	global_store_short v[4:5], v2, off
	s_mov_b64 s[0:1], 0
	s_mov_b64 s[10:11], -1
.LBB6_2815:
	s_mov_b64 s[12:13], 0
.LBB6_2816:
	s_mov_b64 s[2:3], 0
	s_and_b64 vcc, exec, s[12:13]
	s_cbranch_vccz .LBB6_2818
; %bb.2817:
	v_mov_b32_e32 v2, 11
	v_cmp_ne_u16_sdwa s[0:1], v18, v2 src0_sel:BYTE_0 src1_sel:DWORD
	s_mov_b64 s[2:3], -1
.LBB6_2818:
	s_and_b64 vcc, exec, s[0:1]
	s_cbranch_vccnz .LBB6_2918
; %bb.2819:
	s_andn2_b64 vcc, exec, s[2:3]
	s_cbranch_vccnz .LBB6_2821
.LBB6_2820:
	v_cmp_neq_f64_e32 vcc, 0, v[0:1]
	v_cndmask_b32_e64 v2, 0, 1, vcc
	s_mov_b64 s[10:11], -1
	global_store_byte v[4:5], v2, off
.LBB6_2821:
.LBB6_2822:
	s_andn2_b64 vcc, exec, s[10:11]
	s_cbranch_vccnz .LBB6_2869
.LBB6_2823:
	v_mul_f64 v[0:1], v[8:9], v[10:11]
	v_cmp_lt_f64_e32 vcc, 0, v[8:9]
	v_add_u32_e32 v6, s16, v6
	v_cndmask_b32_e32 v1, v1, v9, vcc
	v_cndmask_b32_e32 v0, v0, v8, vcc
	v_ashrrev_i32_e32 v2, 31, v6
	v_mov_b32_e32 v3, s9
	v_add_co_u32_e32 v4, vcc, s8, v6
	v_addc_co_u32_e32 v5, vcc, v3, v2, vcc
	v_mov_b32_e32 v2, 11
	v_cmp_lt_i16_sdwa s[2:3], v18, v2 src0_sel:BYTE_0 src1_sel:DWORD
	s_mov_b64 s[10:11], 0
	s_mov_b64 s[0:1], -1
	s_and_b64 vcc, exec, s[2:3]
	s_cbranch_vccnz .LBB6_2830
; %bb.2824:
	v_mov_b32_e32 v2, 25
	v_cmp_gt_i16_sdwa s[0:1], v18, v2 src0_sel:BYTE_0 src1_sel:DWORD
	s_mov_b64 s[12:13], -1
	s_mov_b64 s[2:3], 0
	s_and_b64 vcc, exec, s[0:1]
	s_mov_b64 s[0:1], 0
	s_cbranch_vccz .LBB6_2949
; %bb.2825:
	v_mov_b32_e32 v2, 28
	v_cmp_gt_i16_sdwa s[0:1], v18, v2 src0_sel:BYTE_0 src1_sel:DWORD
	s_and_b64 vcc, exec, s[0:1]
	s_cbranch_vccz .LBB6_2914
; %bb.2826:
	v_mov_b32_e32 v2, 43
	v_cmp_gt_i16_sdwa s[0:1], v18, v2 src0_sel:BYTE_0 src1_sel:DWORD
	s_and_b64 vcc, exec, s[0:1]
	;; [unrolled: 5-line block ×3, first 2 shown]
	s_cbranch_vccz .LBB6_2921
; %bb.2828:
	v_mov_b32_e32 v2, 46
	v_cmp_eq_u16_sdwa s[10:11], v18, v2 src0_sel:BYTE_0 src1_sel:DWORD
	s_mov_b64 s[0:1], -1
	s_mov_b64 s[12:13], 0
	s_and_b64 vcc, exec, s[10:11]
	s_mov_b64 s[10:11], 0
	s_cbranch_vccz .LBB6_2922
; %bb.2829:
	v_cvt_f32_f64_e32 v2, v[0:1]
	v_bfe_u32 v3, v2, 16, 1
	s_movk_i32 s0, 0x7fff
	v_add3_u32 v3, v2, v3, s0
	v_lshrrev_b32_e32 v3, 16, v3
	v_mov_b32_e32 v7, 0x7fc0
	v_cmp_o_f32_e32 vcc, v2, v2
	v_cndmask_b32_e32 v2, v7, v3, vcc
	global_store_dword v[4:5], v2, off
	s_mov_b64 s[0:1], 0
	s_mov_b64 s[10:11], -1
	s_branch .LBB6_2922
.LBB6_2830:
	s_and_b64 vcc, exec, s[0:1]
	s_cbranch_vccz .LBB6_2993
; %bb.2831:
	v_mov_b32_e32 v2, 5
	v_cmp_lt_i16_sdwa s[2:3], v18, v2 src0_sel:BYTE_0 src1_sel:DWORD
	s_mov_b64 s[0:1], -1
	s_and_b64 vcc, exec, s[2:3]
	s_cbranch_vccnz .LBB6_2852
; %bb.2832:
	v_mov_b32_e32 v2, 8
	v_cmp_lt_i16_sdwa s[2:3], v18, v2 src0_sel:BYTE_0 src1_sel:DWORD
	s_and_b64 vcc, exec, s[2:3]
	s_cbranch_vccnz .LBB6_2842
; %bb.2833:
	v_mov_b32_e32 v2, 9
	v_cmp_lt_i16_sdwa s[2:3], v18, v2 src0_sel:BYTE_0 src1_sel:DWORD
	s_and_b64 vcc, exec, s[2:3]
	s_cbranch_vccnz .LBB6_2839
; %bb.2834:
	v_cmp_gt_i16_sdwa s[2:3], v18, v2 src0_sel:BYTE_0 src1_sel:DWORD
	s_and_b64 vcc, exec, s[2:3]
	s_cbranch_vccz .LBB6_2836
; %bb.2835:
	v_mov_b32_e32 v2, 0
	v_mov_b32_e32 v3, v2
	global_store_dwordx4 v[4:5], v[0:3], off
	s_mov_b64 s[0:1], 0
.LBB6_2836:
	s_andn2_b64 vcc, exec, s[0:1]
	s_cbranch_vccnz .LBB6_2838
; %bb.2837:
	v_cvt_f32_f64_e32 v2, v[0:1]
	v_mov_b32_e32 v3, 0
	global_store_dwordx2 v[4:5], v[2:3], off
.LBB6_2838:
	s_mov_b64 s[0:1], 0
.LBB6_2839:
	s_andn2_b64 vcc, exec, s[0:1]
	s_cbranch_vccnz .LBB6_2841
; %bb.2840:
	v_cvt_f32_f64_e32 v2, v[0:1]
	v_cvt_f16_f32_e32 v2, v2
	global_store_dword v[4:5], v2, off
.LBB6_2841:
	s_mov_b64 s[0:1], 0
.LBB6_2842:
	s_andn2_b64 vcc, exec, s[0:1]
	s_cbranch_vccnz .LBB6_2851
; %bb.2843:
	v_mov_b32_e32 v2, 6
	v_cmp_lt_i16_sdwa s[2:3], v18, v2 src0_sel:BYTE_0 src1_sel:DWORD
	s_mov_b64 s[0:1], -1
	s_and_b64 vcc, exec, s[2:3]
	s_cbranch_vccnz .LBB6_2849
; %bb.2844:
	v_cmp_gt_i16_sdwa s[2:3], v18, v2 src0_sel:BYTE_0 src1_sel:DWORD
	s_and_b64 vcc, exec, s[2:3]
	s_cbranch_vccz .LBB6_2846
; %bb.2845:
	global_store_dwordx2 v[4:5], v[0:1], off
	s_mov_b64 s[0:1], 0
.LBB6_2846:
	s_andn2_b64 vcc, exec, s[0:1]
	s_cbranch_vccnz .LBB6_2848
; %bb.2847:
	v_cvt_f32_f64_e32 v2, v[0:1]
	global_store_dword v[4:5], v2, off
.LBB6_2848:
	s_mov_b64 s[0:1], 0
.LBB6_2849:
	s_andn2_b64 vcc, exec, s[0:1]
	s_cbranch_vccnz .LBB6_2851
; %bb.2850:
	v_cvt_f32_f64_e32 v2, v[0:1]
	v_cvt_f16_f32_e32 v2, v2
	global_store_short v[4:5], v2, off
.LBB6_2851:
	s_mov_b64 s[0:1], 0
.LBB6_2852:
	s_andn2_b64 vcc, exec, s[0:1]
	s_cbranch_vccnz .LBB6_2868
; %bb.2853:
	v_mov_b32_e32 v2, 2
	v_cmp_lt_i16_sdwa s[2:3], v18, v2 src0_sel:BYTE_0 src1_sel:DWORD
	s_mov_b64 s[0:1], -1
	s_and_b64 vcc, exec, s[2:3]
	s_cbranch_vccnz .LBB6_2863
; %bb.2854:
	v_mov_b32_e32 v2, 3
	v_cmp_lt_i16_sdwa s[2:3], v18, v2 src0_sel:BYTE_0 src1_sel:DWORD
	s_and_b64 vcc, exec, s[2:3]
	s_cbranch_vccnz .LBB6_2860
; %bb.2855:
	v_cmp_gt_i16_sdwa s[2:3], v18, v2 src0_sel:BYTE_0 src1_sel:DWORD
	s_and_b64 vcc, exec, s[2:3]
	s_cbranch_vccz .LBB6_2857
; %bb.2856:
	v_trunc_f64_e32 v[2:3], v[0:1]
	s_movk_i32 s0, 0xffe0
	v_ldexp_f64 v[8:9], v[2:3], s0
	v_floor_f64_e32 v[8:9], v[8:9]
	v_fmac_f64_e32 v[2:3], 0xc1f00000, v[8:9]
	v_cvt_i32_f64_e32 v11, v[8:9]
	v_cvt_u32_f64_e32 v10, v[2:3]
	global_store_dwordx2 v[4:5], v[10:11], off
	s_mov_b64 s[0:1], 0
.LBB6_2857:
	s_andn2_b64 vcc, exec, s[0:1]
	s_cbranch_vccnz .LBB6_2859
; %bb.2858:
	v_cvt_i32_f64_e32 v2, v[0:1]
	global_store_dword v[4:5], v2, off
.LBB6_2859:
	s_mov_b64 s[0:1], 0
.LBB6_2860:
	s_andn2_b64 vcc, exec, s[0:1]
	s_cbranch_vccnz .LBB6_2862
; %bb.2861:
	v_cvt_i32_f64_e32 v2, v[0:1]
	global_store_short v[4:5], v2, off
.LBB6_2862:
	s_mov_b64 s[0:1], 0
.LBB6_2863:
	s_andn2_b64 vcc, exec, s[0:1]
	s_cbranch_vccnz .LBB6_2868
; %bb.2864:
	v_mov_b32_e32 v2, 0
	v_cmp_gt_i16_sdwa s[2:3], v18, v2 src0_sel:BYTE_0 src1_sel:DWORD
	s_mov_b64 s[0:1], -1
	s_and_b64 vcc, exec, s[2:3]
	s_cbranch_vccz .LBB6_2866
; %bb.2865:
	v_cvt_i32_f64_e32 v2, v[0:1]
	global_store_byte v[4:5], v2, off
	s_mov_b64 s[0:1], 0
.LBB6_2866:
	s_andn2_b64 vcc, exec, s[0:1]
	s_cbranch_vccnz .LBB6_2868
; %bb.2867:
	v_trunc_f64_e32 v[0:1], v[0:1]
	s_movk_i32 s0, 0xffe0
	v_ldexp_f64 v[2:3], v[0:1], s0
	v_floor_f64_e32 v[2:3], v[2:3]
	v_fmac_f64_e32 v[0:1], 0xc1f00000, v[2:3]
	v_cvt_u32_f64_e32 v0, v[0:1]
	global_store_byte v[4:5], v0, off
.LBB6_2868:
	s_branch .LBB6_2994
.LBB6_2869:
	s_mov_b64 s[0:1], 0
	s_mov_b64 s[2:3], 0
                                        ; implicit-def: $vgpr6
                                        ; implicit-def: $vgpr4_vgpr5
                                        ; implicit-def: $vgpr0_vgpr1
.LBB6_2870:
	s_and_b64 s[16:17], s[2:3], exec
	s_andn2_b64 s[2:3], s[6:7], exec
	s_and_b64 s[6:7], s[18:19], exec
	s_and_b64 s[0:1], s[0:1], exec
	s_or_b64 s[6:7], s[2:3], s[6:7]
.LBB6_2871:
	s_or_b64 exec, exec, s[4:5]
	s_and_saveexec_b64 s[2:3], s[6:7]
	s_cbranch_execz .LBB6_2874
; %bb.2872:
	; divergent unreachable
	s_or_b64 exec, exec, s[2:3]
	s_and_saveexec_b64 s[2:3], s[16:17]
	s_xor_b64 s[2:3], exec, s[2:3]
	s_cbranch_execnz .LBB6_2875
.LBB6_2873:
	s_or_b64 exec, exec, s[2:3]
	s_and_saveexec_b64 s[2:3], s[0:1]
	s_cbranch_execnz .LBB6_2876
	s_branch .LBB6_2913
.LBB6_2874:
	s_or_b64 exec, exec, s[2:3]
	s_and_saveexec_b64 s[2:3], s[16:17]
	s_xor_b64 s[2:3], exec, s[2:3]
	s_cbranch_execz .LBB6_2873
.LBB6_2875:
	s_waitcnt vmcnt(0)
	v_cmp_neq_f64_e32 vcc, 0, v[0:1]
	v_cndmask_b32_e64 v2, 0, 1, vcc
	global_store_byte v[4:5], v2, off
	s_or_b64 exec, exec, s[2:3]
	s_and_saveexec_b64 s[2:3], s[0:1]
	s_cbranch_execz .LBB6_2913
.LBB6_2876:
	s_waitcnt vmcnt(0)
	v_cmp_gt_i16_e32 vcc, 5, v6
	s_mov_b64 s[0:1], -1
	s_cbranch_vccnz .LBB6_2897
; %bb.2877:
	v_cmp_gt_i16_e32 vcc, 8, v6
	s_cbranch_vccnz .LBB6_2887
; %bb.2878:
	v_cmp_gt_i16_e32 vcc, 9, v6
	s_cbranch_vccnz .LBB6_2884
; %bb.2879:
	v_cmp_lt_i16_e32 vcc, 9, v6
	s_cbranch_vccz .LBB6_2881
; %bb.2880:
	v_mov_b32_e32 v2, 0
	v_mov_b32_e32 v3, v2
	global_store_dwordx4 v[4:5], v[0:3], off
	s_mov_b64 s[0:1], 0
.LBB6_2881:
	s_andn2_b64 vcc, exec, s[0:1]
	s_cbranch_vccnz .LBB6_2883
; %bb.2882:
	v_cvt_f32_f64_e32 v2, v[0:1]
	v_mov_b32_e32 v3, 0
	global_store_dwordx2 v[4:5], v[2:3], off
.LBB6_2883:
	s_mov_b64 s[0:1], 0
.LBB6_2884:
	s_andn2_b64 vcc, exec, s[0:1]
	s_cbranch_vccnz .LBB6_2886
; %bb.2885:
	v_cvt_f32_f64_e32 v2, v[0:1]
	v_cvt_f16_f32_e32 v2, v2
	global_store_dword v[4:5], v2, off
.LBB6_2886:
	s_mov_b64 s[0:1], 0
.LBB6_2887:
	s_andn2_b64 vcc, exec, s[0:1]
	s_cbranch_vccnz .LBB6_2896
; %bb.2888:
	v_cmp_gt_i16_e32 vcc, 6, v6
	s_mov_b64 s[0:1], -1
	s_cbranch_vccnz .LBB6_2894
; %bb.2889:
	v_cmp_lt_i16_e32 vcc, 6, v6
	s_cbranch_vccz .LBB6_2891
; %bb.2890:
	global_store_dwordx2 v[4:5], v[0:1], off
	s_mov_b64 s[0:1], 0
.LBB6_2891:
	s_andn2_b64 vcc, exec, s[0:1]
	s_cbranch_vccnz .LBB6_2893
; %bb.2892:
	v_cvt_f32_f64_e32 v2, v[0:1]
	global_store_dword v[4:5], v2, off
.LBB6_2893:
	s_mov_b64 s[0:1], 0
.LBB6_2894:
	s_andn2_b64 vcc, exec, s[0:1]
	s_cbranch_vccnz .LBB6_2896
; %bb.2895:
	v_cvt_f32_f64_e32 v2, v[0:1]
	v_cvt_f16_f32_e32 v2, v2
	global_store_short v[4:5], v2, off
.LBB6_2896:
	s_mov_b64 s[0:1], 0
.LBB6_2897:
	s_andn2_b64 vcc, exec, s[0:1]
	s_cbranch_vccnz .LBB6_2913
; %bb.2898:
	v_cmp_gt_i16_e32 vcc, 2, v6
	s_mov_b64 s[0:1], -1
	s_cbranch_vccnz .LBB6_2908
; %bb.2899:
	v_cmp_gt_i16_e32 vcc, 3, v6
	s_cbranch_vccnz .LBB6_2905
; %bb.2900:
	v_cmp_lt_i16_e32 vcc, 3, v6
	s_cbranch_vccz .LBB6_2902
; %bb.2901:
	v_trunc_f64_e32 v[2:3], v[0:1]
	s_movk_i32 s0, 0xffe0
	v_ldexp_f64 v[8:9], v[2:3], s0
	v_floor_f64_e32 v[8:9], v[8:9]
	v_fmac_f64_e32 v[2:3], 0xc1f00000, v[8:9]
	v_cvt_i32_f64_e32 v11, v[8:9]
	v_cvt_u32_f64_e32 v10, v[2:3]
	global_store_dwordx2 v[4:5], v[10:11], off
	s_mov_b64 s[0:1], 0
.LBB6_2902:
	s_andn2_b64 vcc, exec, s[0:1]
	s_cbranch_vccnz .LBB6_2904
; %bb.2903:
	v_cvt_i32_f64_e32 v2, v[0:1]
	global_store_dword v[4:5], v2, off
.LBB6_2904:
	s_mov_b64 s[0:1], 0
.LBB6_2905:
	s_andn2_b64 vcc, exec, s[0:1]
	s_cbranch_vccnz .LBB6_2907
; %bb.2906:
	v_cvt_i32_f64_e32 v2, v[0:1]
	global_store_short v[4:5], v2, off
.LBB6_2907:
	s_mov_b64 s[0:1], 0
.LBB6_2908:
	s_andn2_b64 vcc, exec, s[0:1]
	s_cbranch_vccnz .LBB6_2913
; %bb.2909:
	v_cmp_lt_i16_e32 vcc, 0, v6
	s_mov_b64 s[0:1], -1
	s_cbranch_vccz .LBB6_2911
; %bb.2910:
	v_cvt_i32_f64_e32 v2, v[0:1]
	global_store_byte v[4:5], v2, off
	s_mov_b64 s[0:1], 0
.LBB6_2911:
	s_andn2_b64 vcc, exec, s[0:1]
	s_cbranch_vccnz .LBB6_2913
; %bb.2912:
	v_trunc_f64_e32 v[0:1], v[0:1]
	s_movk_i32 s0, 0xffe0
	v_ldexp_f64 v[2:3], v[0:1], s0
	v_floor_f64_e32 v[2:3], v[2:3]
	v_fmac_f64_e32 v[0:1], 0xc1f00000, v[2:3]
	v_cvt_u32_f64_e32 v0, v[0:1]
	global_store_byte v[4:5], v0, off
	s_endpgm
.LBB6_2913:
	s_endpgm
.LBB6_2914:
	s_mov_b64 s[0:1], 0
	s_branch .LBB6_2932
.LBB6_2915:
	s_or_saveexec_b64 s[14:15], s[14:15]
                                        ; implicit-def: $sgpr17
	s_xor_b64 exec, exec, s[14:15]
	s_cbranch_execz .LBB6_2772
.LBB6_2916:
	s_mov_b32 s17, 0x46000000
	v_add_f32_e64 v3, |v2|, s17
	v_and_b32_e32 v3, 0xff, v3
	v_cmp_ne_u32_e32 vcc, 0, v3
	s_andn2_b64 s[12:13], s[12:13], exec
	s_and_b64 s[20:21], vcc, exec
	s_mov_b32 s17, 0
	s_or_b64 s[12:13], s[12:13], s[20:21]
	s_or_b64 exec, exec, s[14:15]
	v_mov_b32_e32 v7, s17
	s_and_saveexec_b64 s[14:15], s[12:13]
	s_cbranch_execnz .LBB6_2773
	s_branch .LBB6_2774
.LBB6_2917:
	s_mov_b64 s[0:1], 0
	s_branch .LBB6_2928
.LBB6_2918:
	s_trap 2
	s_or_b64 s[18:19], s[18:19], exec
	s_cbranch_execz .LBB6_2820
	s_branch .LBB6_2821
.LBB6_2919:
	s_or_saveexec_b64 s[12:13], s[12:13]
                                        ; implicit-def: $sgpr14
	s_xor_b64 exec, exec, s[12:13]
	s_cbranch_execz .LBB6_2785
.LBB6_2920:
	s_mov_b32 s14, 0x42800000
	v_add_f32_e64 v3, |v2|, s14
	v_and_b32_e32 v3, 0xff, v3
	v_cmp_ne_u32_e32 vcc, 0, v3
	s_andn2_b64 s[10:11], s[10:11], exec
	s_and_b64 s[20:21], vcc, exec
	s_mov_b32 s14, 0
	s_or_b64 s[10:11], s[10:11], s[20:21]
	s_or_b64 exec, exec, s[12:13]
	v_mov_b32_e32 v7, s14
	s_and_saveexec_b64 s[12:13], s[10:11]
	s_cbranch_execnz .LBB6_2786
	s_branch .LBB6_2787
.LBB6_2921:
	s_mov_b64 s[0:1], 0
.LBB6_2922:
	s_and_b64 vcc, exec, s[12:13]
	s_cbranch_vccz .LBB6_2927
; %bb.2923:
	v_mov_b32_e32 v2, 44
	v_cmp_eq_u16_sdwa s[12:13], v18, v2 src0_sel:BYTE_0 src1_sel:DWORD
	s_mov_b64 s[0:1], -1
	s_and_b64 vcc, exec, s[12:13]
	s_cbranch_vccz .LBB6_2927
; %bb.2924:
	v_cvt_f32_f64_e32 v2, v[0:1]
	v_bfe_u32 v3, v2, 23, 8
	s_movk_i32 s0, 0xff
	v_cmp_ne_u32_e32 vcc, s0, v3
	v_mov_b32_e32 v7, 0xff
	s_and_saveexec_b64 s[10:11], vcc
; %bb.2925:
	s_mov_b32 s0, 0x3fffff
	v_lshrrev_b32_e32 v7, 23, v2
	v_and_b32_e32 v8, 0x400000, v2
	v_and_or_b32 v2, v2, s0, v3
	v_cmp_ne_u32_e32 vcc, 0, v8
	v_cmp_ne_u32_e64 s[0:1], 0, v2
	s_and_b64 s[0:1], vcc, s[0:1]
	v_cndmask_b32_e64 v2, 0, 1, s[0:1]
	v_add_u32_e32 v7, v7, v2
; %bb.2926:
	s_or_b64 exec, exec, s[10:11]
	s_mov_b64 s[0:1], 0
	s_mov_b64 s[10:11], -1
	global_store_byte v[4:5], v7, off
.LBB6_2927:
	s_mov_b64 s[12:13], 0
.LBB6_2928:
	s_and_b64 vcc, exec, s[12:13]
	s_cbranch_vccz .LBB6_2931
; %bb.2929:
	v_mov_b32_e32 v2, 29
	v_cmp_eq_u16_sdwa s[12:13], v18, v2 src0_sel:BYTE_0 src1_sel:DWORD
	s_mov_b64 s[0:1], -1
	s_and_b64 vcc, exec, s[12:13]
	s_cbranch_vccz .LBB6_2931
; %bb.2930:
	v_trunc_f64_e32 v[2:3], v[0:1]
	s_movk_i32 s0, 0xffe0
	v_ldexp_f64 v[8:9], v[2:3], s0
	v_floor_f64_e32 v[8:9], v[8:9]
	v_fmac_f64_e32 v[2:3], 0xc1f00000, v[8:9]
	v_cvt_u32_f64_e32 v11, v[8:9]
	v_cvt_u32_f64_e32 v10, v[2:3]
	global_store_dwordx2 v[4:5], v[10:11], off
	s_mov_b64 s[0:1], 0
	s_mov_b64 s[10:11], -1
.LBB6_2931:
	s_mov_b64 s[12:13], 0
.LBB6_2932:
	s_and_b64 vcc, exec, s[12:13]
	s_cbranch_vccz .LBB6_2948
; %bb.2933:
	v_mov_b32_e32 v2, 27
	v_cmp_lt_i16_sdwa s[12:13], v18, v2 src0_sel:BYTE_0 src1_sel:DWORD
	s_mov_b64 s[10:11], -1
	s_and_b64 vcc, exec, s[12:13]
	s_cbranch_vccnz .LBB6_2939
; %bb.2934:
	v_cmp_gt_i16_sdwa s[12:13], v18, v2 src0_sel:BYTE_0 src1_sel:DWORD
	s_and_b64 vcc, exec, s[12:13]
	v_cvt_u32_f64_e32 v2, v[0:1]
	s_cbranch_vccz .LBB6_2936
; %bb.2935:
	s_mov_b64 s[10:11], 0
	global_store_dword v[4:5], v2, off
.LBB6_2936:
	s_andn2_b64 vcc, exec, s[10:11]
	s_cbranch_vccnz .LBB6_2938
; %bb.2937:
	global_store_short v[4:5], v2, off
.LBB6_2938:
	s_mov_b64 s[10:11], 0
.LBB6_2939:
	s_andn2_b64 vcc, exec, s[10:11]
	s_cbranch_vccnz .LBB6_2947
; %bb.2940:
	v_cvt_f32_f64_e32 v2, v[0:1]
	v_and_b32_e32 v3, 0x7fffffff, v2
	s_mov_b32 s10, 0x43800000
	v_cmp_gt_u32_e32 vcc, s10, v3
	v_mov_b32_e32 v7, 0x80
	s_and_saveexec_b64 s[10:11], vcc
	s_cbranch_execz .LBB6_2946
; %bb.2941:
	s_mov_b32 s12, 0x3bffffff
	v_cmp_lt_u32_e32 vcc, s12, v3
	s_mov_b64 s[12:13], 0
                                        ; implicit-def: $vgpr3
	s_and_saveexec_b64 s[14:15], vcc
	s_xor_b64 s[14:15], exec, s[14:15]
	s_cbranch_execz .LBB6_3070
; %bb.2942:
	v_bfe_u32 v3, v2, 20, 1
	s_mov_b32 s17, 0x487ffff
	v_add3_u32 v3, v2, v3, s17
	s_mov_b64 s[12:13], exec
	v_lshrrev_b32_e32 v3, 20, v3
	s_or_saveexec_b64 s[14:15], s[14:15]
                                        ; implicit-def: $sgpr17
	s_xor_b64 exec, exec, s[14:15]
	s_cbranch_execnz .LBB6_3071
.LBB6_2943:
	s_or_b64 exec, exec, s[14:15]
	v_mov_b32_e32 v7, s17
	s_and_saveexec_b64 s[14:15], s[12:13]
.LBB6_2944:
	v_lshrrev_b32_e32 v2, 24, v2
	s_movk_i32 s12, 0x80
	v_and_or_b32 v7, v2, s12, v3
.LBB6_2945:
	s_or_b64 exec, exec, s[14:15]
.LBB6_2946:
	s_or_b64 exec, exec, s[10:11]
	global_store_byte v[4:5], v7, off
.LBB6_2947:
	s_mov_b64 s[10:11], -1
.LBB6_2948:
	s_mov_b64 s[12:13], 0
.LBB6_2949:
	s_and_b64 vcc, exec, s[12:13]
	s_cbranch_vccz .LBB6_2989
; %bb.2950:
	v_mov_b32_e32 v2, 22
	v_cmp_gt_i16_sdwa s[12:13], v18, v2 src0_sel:BYTE_0 src1_sel:DWORD
	s_mov_b64 s[2:3], -1
	s_and_b64 vcc, exec, s[12:13]
	s_cbranch_vccz .LBB6_2982
; %bb.2951:
	v_mov_b32_e32 v2, 24
	v_cmp_lt_i16_sdwa s[10:11], v18, v2 src0_sel:BYTE_0 src1_sel:DWORD
	s_and_b64 vcc, exec, s[10:11]
	s_cbranch_vccnz .LBB6_2971
; %bb.2952:
	v_cmp_gt_i16_sdwa s[10:11], v18, v2 src0_sel:BYTE_0 src1_sel:DWORD
	s_and_b64 vcc, exec, s[10:11]
	s_cbranch_vccz .LBB6_2960
; %bb.2953:
	v_cvt_f32_f64_e32 v2, v[0:1]
	v_and_b32_e32 v3, 0x7fffffff, v2
	s_mov_b32 s2, 0x47800000
	v_cmp_gt_u32_e32 vcc, s2, v3
	v_mov_b32_e32 v7, 0x80
	s_and_saveexec_b64 s[2:3], vcc
	s_cbranch_execz .LBB6_2959
; %bb.2954:
	s_mov_b32 s10, 0x37ffffff
	v_cmp_lt_u32_e32 vcc, s10, v3
	s_mov_b64 s[10:11], 0
                                        ; implicit-def: $vgpr3
	s_and_saveexec_b64 s[12:13], vcc
	s_xor_b64 s[12:13], exec, s[12:13]
	s_cbranch_execz .LBB6_3073
; %bb.2955:
	v_bfe_u32 v3, v2, 21, 1
	s_mov_b32 s14, 0x88fffff
	v_add3_u32 v3, v2, v3, s14
	s_mov_b64 s[10:11], exec
	v_lshrrev_b32_e32 v3, 21, v3
	s_or_saveexec_b64 s[12:13], s[12:13]
                                        ; implicit-def: $sgpr14
	s_xor_b64 exec, exec, s[12:13]
	s_cbranch_execnz .LBB6_3074
.LBB6_2956:
	s_or_b64 exec, exec, s[12:13]
	v_mov_b32_e32 v7, s14
	s_and_saveexec_b64 s[12:13], s[10:11]
.LBB6_2957:
	v_lshrrev_b32_e32 v2, 24, v2
	s_movk_i32 s10, 0x80
	v_and_or_b32 v7, v2, s10, v3
.LBB6_2958:
	s_or_b64 exec, exec, s[12:13]
.LBB6_2959:
	s_or_b64 exec, exec, s[2:3]
	s_mov_b64 s[2:3], 0
	global_store_byte v[4:5], v7, off
.LBB6_2960:
	s_and_b64 vcc, exec, s[2:3]
	s_cbranch_vccz .LBB6_2970
; %bb.2961:
	v_cvt_f32_f64_e32 v2, v[0:1]
	v_and_b32_e32 v7, 0x7fffffff, v2
	s_mov_b32 s2, 0x43f00000
	v_cmp_gt_u32_e32 vcc, s2, v7
                                        ; implicit-def: $vgpr3
	s_and_saveexec_b64 s[2:3], vcc
	s_xor_b64 s[2:3], exec, s[2:3]
	s_cbranch_execz .LBB6_2967
; %bb.2962:
	s_mov_b32 s10, 0x3c7fffff
	v_cmp_lt_u32_e32 vcc, s10, v7
                                        ; implicit-def: $vgpr3
	s_and_saveexec_b64 s[10:11], vcc
	s_xor_b64 s[10:11], exec, s[10:11]
; %bb.2963:
	v_bfe_u32 v3, v2, 20, 1
	s_mov_b32 s12, 0x407ffff
	v_add3_u32 v3, v2, v3, s12
	v_lshrrev_b32_e32 v7, 20, v3
	v_and_b32_e32 v3, 0xff00000, v3
	s_mov_b32 s12, 0x7f00000
	v_mov_b32_e32 v8, 0x7e
	v_cmp_ne_u32_e32 vcc, s12, v3
	v_cndmask_b32_e32 v3, v8, v7, vcc
; %bb.2964:
	s_andn2_saveexec_b64 s[10:11], s[10:11]
; %bb.2965:
	s_mov_b32 s12, 0x46800000
	v_add_f32_e64 v3, |v2|, s12
; %bb.2966:
	s_or_b64 exec, exec, s[10:11]
                                        ; implicit-def: $vgpr7
.LBB6_2967:
	s_andn2_saveexec_b64 s[2:3], s[2:3]
; %bb.2968:
	s_mov_b32 s10, 0x7f800000
	v_mov_b32_e32 v3, 0x7e
	v_mov_b32_e32 v8, 0x7f
	v_cmp_lt_u32_e32 vcc, s10, v7
	v_cndmask_b32_e32 v3, v3, v8, vcc
; %bb.2969:
	s_or_b64 exec, exec, s[2:3]
	v_lshrrev_b32_e32 v2, 24, v2
	s_movk_i32 s2, 0x80
	v_and_or_b32 v2, v2, s2, v3
	global_store_byte v[4:5], v2, off
.LBB6_2970:
	s_mov_b64 s[2:3], 0
.LBB6_2971:
	s_andn2_b64 vcc, exec, s[2:3]
	s_cbranch_vccnz .LBB6_2981
; %bb.2972:
	v_cvt_f32_f64_e32 v2, v[0:1]
	v_and_b32_e32 v7, 0x7fffffff, v2
	s_mov_b32 s2, 0x47800000
	v_cmp_gt_u32_e32 vcc, s2, v7
                                        ; implicit-def: $vgpr3
	s_and_saveexec_b64 s[2:3], vcc
	s_xor_b64 s[2:3], exec, s[2:3]
	s_cbranch_execz .LBB6_2978
; %bb.2973:
	s_mov_b32 s10, 0x387fffff
	v_cmp_lt_u32_e32 vcc, s10, v7
                                        ; implicit-def: $vgpr3
	s_and_saveexec_b64 s[10:11], vcc
	s_xor_b64 s[10:11], exec, s[10:11]
; %bb.2974:
	v_bfe_u32 v3, v2, 21, 1
	s_mov_b32 s12, 0x80fffff
	v_add3_u32 v3, v2, v3, s12
	v_lshrrev_b32_e32 v3, 21, v3
; %bb.2975:
	s_andn2_saveexec_b64 s[10:11], s[10:11]
; %bb.2976:
	s_mov_b32 s12, 0x43000000
	v_add_f32_e64 v3, |v2|, s12
; %bb.2977:
	s_or_b64 exec, exec, s[10:11]
                                        ; implicit-def: $vgpr7
.LBB6_2978:
	s_andn2_saveexec_b64 s[2:3], s[2:3]
; %bb.2979:
	s_mov_b32 s10, 0x7f800000
	v_mov_b32_e32 v3, 0x7c
	v_mov_b32_e32 v8, 0x7f
	v_cmp_lt_u32_e32 vcc, s10, v7
	v_cndmask_b32_e32 v3, v3, v8, vcc
; %bb.2980:
	s_or_b64 exec, exec, s[2:3]
	v_lshrrev_b32_e32 v2, 24, v2
	s_movk_i32 s2, 0x80
	v_and_or_b32 v2, v2, s2, v3
	global_store_byte v[4:5], v2, off
.LBB6_2981:
	s_mov_b64 s[2:3], 0
	s_mov_b64 s[10:11], -1
.LBB6_2982:
	s_andn2_b64 vcc, exec, s[2:3]
	s_mov_b64 s[2:3], 0
	s_cbranch_vccnz .LBB6_2989
; %bb.2983:
	v_mov_b32_e32 v2, 14
	v_cmp_gt_i16_sdwa s[2:3], v18, v2 src0_sel:BYTE_0 src1_sel:DWORD
	s_mov_b64 s[12:13], -1
	s_and_b64 vcc, exec, s[2:3]
	s_cbranch_vccz .LBB6_2987
; %bb.2984:
	v_mov_b32_e32 v2, 15
	v_cmp_eq_u16_sdwa s[2:3], v18, v2 src0_sel:BYTE_0 src1_sel:DWORD
	s_mov_b64 s[0:1], -1
	s_and_b64 vcc, exec, s[2:3]
	s_cbranch_vccz .LBB6_2986
; %bb.2985:
	v_cvt_f32_f64_e32 v2, v[0:1]
	v_bfe_u32 v3, v2, 16, 1
	s_movk_i32 s0, 0x7fff
	v_add3_u32 v3, v2, v3, s0
	v_lshrrev_b32_e32 v3, 16, v3
	v_mov_b32_e32 v7, 0x7fc0
	v_cmp_o_f32_e32 vcc, v2, v2
	v_cndmask_b32_e32 v2, v7, v3, vcc
	global_store_short v[4:5], v2, off
	s_mov_b64 s[0:1], 0
	s_mov_b64 s[10:11], -1
.LBB6_2986:
	s_mov_b64 s[12:13], 0
.LBB6_2987:
	s_mov_b64 s[2:3], 0
	s_and_b64 vcc, exec, s[12:13]
	s_cbranch_vccz .LBB6_2989
; %bb.2988:
	v_mov_b32_e32 v2, 11
	v_cmp_ne_u16_sdwa s[0:1], v18, v2 src0_sel:BYTE_0 src1_sel:DWORD
	s_mov_b64 s[2:3], -1
.LBB6_2989:
	s_and_b64 vcc, exec, s[0:1]
	s_cbranch_vccnz .LBB6_3072
; %bb.2990:
	s_andn2_b64 vcc, exec, s[2:3]
	s_cbranch_vccnz .LBB6_2992
.LBB6_2991:
	v_cmp_neq_f64_e32 vcc, 0, v[0:1]
	v_cndmask_b32_e64 v2, 0, 1, vcc
	s_mov_b64 s[10:11], -1
	global_store_byte v[4:5], v2, off
.LBB6_2992:
.LBB6_2993:
	s_andn2_b64 vcc, exec, s[10:11]
	s_cbranch_vccnz .LBB6_2869
.LBB6_2994:
	v_mul_f64 v[0:1], v[12:13], v[14:15]
	v_cmp_lt_f64_e32 vcc, 0, v[12:13]
	v_add_u32_e32 v2, s16, v6
	v_cndmask_b32_e32 v1, v1, v13, vcc
	v_cndmask_b32_e32 v0, v0, v12, vcc
	v_ashrrev_i32_e32 v3, 31, v2
	v_mov_b32_e32 v5, s9
	v_add_co_u32_e32 v4, vcc, s8, v2
	v_addc_co_u32_e32 v5, vcc, v5, v3, vcc
	v_and_b32_e32 v6, 0xff, v18
	v_cmp_gt_i16_e32 vcc, 11, v6
	s_mov_b64 s[2:3], 0
	s_mov_b64 s[0:1], -1
	s_cbranch_vccnz .LBB6_2870
; %bb.2995:
	v_cmp_lt_i16_e32 vcc, 25, v6
	s_mov_b64 s[8:9], -1
	s_mov_b64 s[0:1], 0
	s_cbranch_vccz .LBB6_3028
; %bb.2996:
	v_cmp_lt_i16_e32 vcc, 28, v6
	s_cbranch_vccz .LBB6_3012
; %bb.2997:
	v_cmp_lt_i16_e32 vcc, 43, v6
	;; [unrolled: 3-line block ×3, first 2 shown]
	s_cbranch_vccz .LBB6_3002
; %bb.2999:
	v_cmp_eq_u16_e32 vcc, 46, v6
	s_mov_b64 s[0:1], -1
	s_cbranch_vccz .LBB6_3001
; %bb.3000:
	v_cvt_f32_f64_e32 v2, v[0:1]
	v_bfe_u32 v3, v2, 16, 1
	s_movk_i32 s0, 0x7fff
	v_add3_u32 v3, v2, v3, s0
	v_lshrrev_b32_e32 v3, 16, v3
	v_mov_b32_e32 v7, 0x7fc0
	v_cmp_o_f32_e32 vcc, v2, v2
	v_cndmask_b32_e32 v2, v7, v3, vcc
	global_store_dword v[4:5], v2, off
	s_mov_b64 s[0:1], 0
.LBB6_3001:
	s_mov_b64 s[8:9], 0
.LBB6_3002:
	s_and_b64 vcc, exec, s[8:9]
	s_cbranch_vccz .LBB6_3007
; %bb.3003:
	v_cmp_eq_u16_e32 vcc, 44, v6
	s_mov_b64 s[0:1], -1
	s_cbranch_vccz .LBB6_3007
; %bb.3004:
	v_cvt_f32_f64_e32 v2, v[0:1]
	v_bfe_u32 v3, v2, 23, 8
	s_movk_i32 s0, 0xff
	v_cmp_ne_u32_e32 vcc, s0, v3
	v_mov_b32_e32 v7, 0xff
	s_and_saveexec_b64 s[8:9], vcc
; %bb.3005:
	s_mov_b32 s0, 0x3fffff
	v_lshrrev_b32_e32 v7, 23, v2
	v_and_b32_e32 v8, 0x400000, v2
	v_and_or_b32 v2, v2, s0, v3
	v_cmp_ne_u32_e32 vcc, 0, v8
	v_cmp_ne_u32_e64 s[0:1], 0, v2
	s_and_b64 s[0:1], vcc, s[0:1]
	v_cndmask_b32_e64 v2, 0, 1, s[0:1]
	v_add_u32_e32 v7, v7, v2
; %bb.3006:
	s_or_b64 exec, exec, s[8:9]
	s_mov_b64 s[0:1], 0
	global_store_byte v[4:5], v7, off
.LBB6_3007:
	s_mov_b64 s[8:9], 0
.LBB6_3008:
	s_and_b64 vcc, exec, s[8:9]
	s_cbranch_vccz .LBB6_3011
; %bb.3009:
	v_cmp_eq_u16_e32 vcc, 29, v6
	s_mov_b64 s[0:1], -1
	s_cbranch_vccz .LBB6_3011
; %bb.3010:
	v_trunc_f64_e32 v[2:3], v[0:1]
	s_movk_i32 s0, 0xffe0
	v_ldexp_f64 v[8:9], v[2:3], s0
	v_floor_f64_e32 v[8:9], v[8:9]
	v_fmac_f64_e32 v[2:3], 0xc1f00000, v[8:9]
	v_cvt_u32_f64_e32 v11, v[8:9]
	v_cvt_u32_f64_e32 v10, v[2:3]
	global_store_dwordx2 v[4:5], v[10:11], off
	s_mov_b64 s[0:1], 0
.LBB6_3011:
	s_mov_b64 s[8:9], 0
.LBB6_3012:
	s_and_b64 vcc, exec, s[8:9]
	s_cbranch_vccz .LBB6_3027
; %bb.3013:
	v_cmp_gt_i16_e32 vcc, 27, v6
	s_mov_b64 s[8:9], -1
	s_cbranch_vccnz .LBB6_3019
; %bb.3014:
	v_cmp_lt_i16_e32 vcc, 27, v6
	v_cvt_u32_f64_e32 v2, v[0:1]
	s_cbranch_vccz .LBB6_3016
; %bb.3015:
	global_store_dword v[4:5], v2, off
	s_mov_b64 s[8:9], 0
.LBB6_3016:
	s_andn2_b64 vcc, exec, s[8:9]
	s_cbranch_vccnz .LBB6_3018
; %bb.3017:
	global_store_short v[4:5], v2, off
.LBB6_3018:
	s_mov_b64 s[8:9], 0
.LBB6_3019:
	s_andn2_b64 vcc, exec, s[8:9]
	s_cbranch_vccnz .LBB6_3027
; %bb.3020:
	v_cvt_f32_f64_e32 v2, v[0:1]
	v_and_b32_e32 v3, 0x7fffffff, v2
	s_mov_b32 s8, 0x43800000
	v_cmp_gt_u32_e32 vcc, s8, v3
	v_mov_b32_e32 v7, 0x80
	s_and_saveexec_b64 s[8:9], vcc
	s_cbranch_execz .LBB6_3026
; %bb.3021:
	s_mov_b32 s10, 0x3bffffff
	v_cmp_lt_u32_e32 vcc, s10, v3
	s_mov_b64 s[10:11], 0
                                        ; implicit-def: $vgpr3
	s_and_saveexec_b64 s[12:13], vcc
	s_xor_b64 s[12:13], exec, s[12:13]
	s_cbranch_execz .LBB6_3075
; %bb.3022:
	v_bfe_u32 v3, v2, 20, 1
	s_mov_b32 s14, 0x487ffff
	v_add3_u32 v3, v2, v3, s14
	s_mov_b64 s[10:11], exec
	v_lshrrev_b32_e32 v3, 20, v3
	s_or_saveexec_b64 s[12:13], s[12:13]
                                        ; implicit-def: $sgpr14
	s_xor_b64 exec, exec, s[12:13]
	s_cbranch_execnz .LBB6_3076
.LBB6_3023:
	s_or_b64 exec, exec, s[12:13]
	v_mov_b32_e32 v7, s14
	s_and_saveexec_b64 s[12:13], s[10:11]
.LBB6_3024:
	v_lshrrev_b32_e32 v2, 24, v2
	s_movk_i32 s10, 0x80
	v_and_or_b32 v7, v2, s10, v3
.LBB6_3025:
	s_or_b64 exec, exec, s[12:13]
.LBB6_3026:
	s_or_b64 exec, exec, s[8:9]
	global_store_byte v[4:5], v7, off
.LBB6_3027:
	s_mov_b64 s[8:9], 0
.LBB6_3028:
	s_and_b64 vcc, exec, s[8:9]
	s_cbranch_vccz .LBB6_3068
; %bb.3029:
	v_cmp_lt_i16_e32 vcc, 22, v6
	s_mov_b64 s[2:3], -1
	s_cbranch_vccz .LBB6_3061
; %bb.3030:
	v_cmp_gt_i16_e32 vcc, 24, v6
	s_cbranch_vccnz .LBB6_3050
; %bb.3031:
	v_cmp_lt_i16_e32 vcc, 24, v6
	s_cbranch_vccz .LBB6_3039
; %bb.3032:
	v_cvt_f32_f64_e32 v2, v[0:1]
	v_and_b32_e32 v3, 0x7fffffff, v2
	s_mov_b32 s2, 0x47800000
	v_cmp_gt_u32_e32 vcc, s2, v3
	v_mov_b32_e32 v7, 0x80
	s_and_saveexec_b64 s[2:3], vcc
	s_cbranch_execz .LBB6_3038
; %bb.3033:
	s_mov_b32 s8, 0x37ffffff
	v_cmp_lt_u32_e32 vcc, s8, v3
	s_mov_b64 s[8:9], 0
                                        ; implicit-def: $vgpr3
	s_and_saveexec_b64 s[10:11], vcc
	s_xor_b64 s[10:11], exec, s[10:11]
	s_cbranch_execz .LBB6_3078
; %bb.3034:
	v_bfe_u32 v3, v2, 21, 1
	s_mov_b32 s12, 0x88fffff
	v_add3_u32 v3, v2, v3, s12
	s_mov_b64 s[8:9], exec
	v_lshrrev_b32_e32 v3, 21, v3
	s_or_saveexec_b64 s[10:11], s[10:11]
                                        ; implicit-def: $sgpr12
	s_xor_b64 exec, exec, s[10:11]
	s_cbranch_execnz .LBB6_3079
.LBB6_3035:
	s_or_b64 exec, exec, s[10:11]
	v_mov_b32_e32 v7, s12
	s_and_saveexec_b64 s[10:11], s[8:9]
.LBB6_3036:
	v_lshrrev_b32_e32 v2, 24, v2
	s_movk_i32 s8, 0x80
	v_and_or_b32 v7, v2, s8, v3
.LBB6_3037:
	s_or_b64 exec, exec, s[10:11]
.LBB6_3038:
	s_or_b64 exec, exec, s[2:3]
	s_mov_b64 s[2:3], 0
	global_store_byte v[4:5], v7, off
.LBB6_3039:
	s_and_b64 vcc, exec, s[2:3]
	s_cbranch_vccz .LBB6_3049
; %bb.3040:
	v_cvt_f32_f64_e32 v2, v[0:1]
	v_and_b32_e32 v7, 0x7fffffff, v2
	s_mov_b32 s2, 0x43f00000
	v_cmp_gt_u32_e32 vcc, s2, v7
                                        ; implicit-def: $vgpr3
	s_and_saveexec_b64 s[2:3], vcc
	s_xor_b64 s[2:3], exec, s[2:3]
	s_cbranch_execz .LBB6_3046
; %bb.3041:
	s_mov_b32 s8, 0x3c7fffff
	v_cmp_lt_u32_e32 vcc, s8, v7
                                        ; implicit-def: $vgpr3
	s_and_saveexec_b64 s[8:9], vcc
	s_xor_b64 s[8:9], exec, s[8:9]
; %bb.3042:
	v_bfe_u32 v3, v2, 20, 1
	s_mov_b32 s10, 0x407ffff
	v_add3_u32 v3, v2, v3, s10
	v_lshrrev_b32_e32 v7, 20, v3
	v_and_b32_e32 v3, 0xff00000, v3
	s_mov_b32 s10, 0x7f00000
	v_mov_b32_e32 v8, 0x7e
	v_cmp_ne_u32_e32 vcc, s10, v3
	v_cndmask_b32_e32 v3, v8, v7, vcc
; %bb.3043:
	s_andn2_saveexec_b64 s[8:9], s[8:9]
; %bb.3044:
	s_mov_b32 s10, 0x46800000
	v_add_f32_e64 v3, |v2|, s10
; %bb.3045:
	s_or_b64 exec, exec, s[8:9]
                                        ; implicit-def: $vgpr7
.LBB6_3046:
	s_andn2_saveexec_b64 s[2:3], s[2:3]
; %bb.3047:
	s_mov_b32 s8, 0x7f800000
	v_mov_b32_e32 v3, 0x7e
	v_mov_b32_e32 v8, 0x7f
	v_cmp_lt_u32_e32 vcc, s8, v7
	v_cndmask_b32_e32 v3, v3, v8, vcc
; %bb.3048:
	s_or_b64 exec, exec, s[2:3]
	v_lshrrev_b32_e32 v2, 24, v2
	s_movk_i32 s2, 0x80
	v_and_or_b32 v2, v2, s2, v3
	global_store_byte v[4:5], v2, off
.LBB6_3049:
	s_mov_b64 s[2:3], 0
.LBB6_3050:
	s_andn2_b64 vcc, exec, s[2:3]
	s_cbranch_vccnz .LBB6_3060
; %bb.3051:
	v_cvt_f32_f64_e32 v2, v[0:1]
	v_and_b32_e32 v7, 0x7fffffff, v2
	s_mov_b32 s2, 0x47800000
	v_cmp_gt_u32_e32 vcc, s2, v7
                                        ; implicit-def: $vgpr3
	s_and_saveexec_b64 s[2:3], vcc
	s_xor_b64 s[2:3], exec, s[2:3]
	s_cbranch_execz .LBB6_3057
; %bb.3052:
	s_mov_b32 s8, 0x387fffff
	v_cmp_lt_u32_e32 vcc, s8, v7
                                        ; implicit-def: $vgpr3
	s_and_saveexec_b64 s[8:9], vcc
	s_xor_b64 s[8:9], exec, s[8:9]
; %bb.3053:
	v_bfe_u32 v3, v2, 21, 1
	s_mov_b32 s10, 0x80fffff
	v_add3_u32 v3, v2, v3, s10
	v_lshrrev_b32_e32 v3, 21, v3
; %bb.3054:
	s_andn2_saveexec_b64 s[8:9], s[8:9]
; %bb.3055:
	s_mov_b32 s10, 0x43000000
	v_add_f32_e64 v3, |v2|, s10
; %bb.3056:
	s_or_b64 exec, exec, s[8:9]
                                        ; implicit-def: $vgpr7
.LBB6_3057:
	s_andn2_saveexec_b64 s[2:3], s[2:3]
; %bb.3058:
	s_mov_b32 s8, 0x7f800000
	v_mov_b32_e32 v3, 0x7c
	v_mov_b32_e32 v8, 0x7f
	v_cmp_lt_u32_e32 vcc, s8, v7
	v_cndmask_b32_e32 v3, v3, v8, vcc
; %bb.3059:
	s_or_b64 exec, exec, s[2:3]
	v_lshrrev_b32_e32 v2, 24, v2
	s_movk_i32 s2, 0x80
	v_and_or_b32 v2, v2, s2, v3
	global_store_byte v[4:5], v2, off
.LBB6_3060:
	s_mov_b64 s[2:3], 0
.LBB6_3061:
	s_andn2_b64 vcc, exec, s[2:3]
	s_mov_b64 s[2:3], 0
	s_cbranch_vccnz .LBB6_3068
; %bb.3062:
	v_cmp_lt_i16_e32 vcc, 14, v6
	s_mov_b64 s[8:9], -1
	s_cbranch_vccz .LBB6_3066
; %bb.3063:
	v_cmp_eq_u16_e32 vcc, 15, v6
	s_mov_b64 s[0:1], -1
	s_cbranch_vccz .LBB6_3065
; %bb.3064:
	v_cvt_f32_f64_e32 v2, v[0:1]
	v_bfe_u32 v3, v2, 16, 1
	s_movk_i32 s0, 0x7fff
	v_add3_u32 v3, v2, v3, s0
	v_lshrrev_b32_e32 v3, 16, v3
	v_mov_b32_e32 v7, 0x7fc0
	v_cmp_o_f32_e32 vcc, v2, v2
	v_cndmask_b32_e32 v2, v7, v3, vcc
	global_store_short v[4:5], v2, off
	s_mov_b64 s[0:1], 0
.LBB6_3065:
	s_mov_b64 s[8:9], 0
.LBB6_3066:
	s_and_b64 vcc, exec, s[8:9]
	s_cbranch_vccz .LBB6_3068
; %bb.3067:
	v_cmp_ne_u16_e64 s[0:1], 11, v6
	s_mov_b64 s[2:3], -1
.LBB6_3068:
	s_and_b64 vcc, exec, s[0:1]
	s_cbranch_vccnz .LBB6_3077
.LBB6_3069:
	s_mov_b64 s[0:1], 0
	s_branch .LBB6_2870
.LBB6_3070:
	s_or_saveexec_b64 s[14:15], s[14:15]
                                        ; implicit-def: $sgpr17
	s_xor_b64 exec, exec, s[14:15]
	s_cbranch_execz .LBB6_2943
.LBB6_3071:
	s_mov_b32 s17, 0x46000000
	v_add_f32_e64 v3, |v2|, s17
	v_and_b32_e32 v3, 0xff, v3
	v_cmp_ne_u32_e32 vcc, 0, v3
	s_andn2_b64 s[12:13], s[12:13], exec
	s_and_b64 s[20:21], vcc, exec
	s_mov_b32 s17, 0
	s_or_b64 s[12:13], s[12:13], s[20:21]
	s_or_b64 exec, exec, s[14:15]
	v_mov_b32_e32 v7, s17
	s_and_saveexec_b64 s[14:15], s[12:13]
	s_cbranch_execnz .LBB6_2944
	s_branch .LBB6_2945
.LBB6_3072:
	s_trap 2
	s_or_b64 s[18:19], s[18:19], exec
	s_cbranch_execz .LBB6_2991
	s_branch .LBB6_2992
.LBB6_3073:
	s_or_saveexec_b64 s[12:13], s[12:13]
                                        ; implicit-def: $sgpr14
	s_xor_b64 exec, exec, s[12:13]
	s_cbranch_execz .LBB6_2956
.LBB6_3074:
	s_mov_b32 s14, 0x42800000
	v_add_f32_e64 v3, |v2|, s14
	v_and_b32_e32 v3, 0xff, v3
	v_cmp_ne_u32_e32 vcc, 0, v3
	s_andn2_b64 s[10:11], s[10:11], exec
	s_and_b64 s[20:21], vcc, exec
	s_mov_b32 s14, 0
	s_or_b64 s[10:11], s[10:11], s[20:21]
	s_or_b64 exec, exec, s[12:13]
	v_mov_b32_e32 v7, s14
	s_and_saveexec_b64 s[12:13], s[10:11]
	s_cbranch_execnz .LBB6_2957
	s_branch .LBB6_2958
.LBB6_3075:
	s_or_saveexec_b64 s[12:13], s[12:13]
                                        ; implicit-def: $sgpr14
	s_xor_b64 exec, exec, s[12:13]
	s_cbranch_execz .LBB6_3023
.LBB6_3076:
	s_mov_b32 s14, 0x46000000
	v_add_f32_e64 v3, |v2|, s14
	v_and_b32_e32 v3, 0xff, v3
	v_cmp_ne_u32_e32 vcc, 0, v3
	s_andn2_b64 s[10:11], s[10:11], exec
	s_and_b64 s[16:17], vcc, exec
	s_mov_b32 s14, 0
	s_or_b64 s[10:11], s[10:11], s[16:17]
	s_or_b64 exec, exec, s[12:13]
	v_mov_b32_e32 v7, s14
	s_and_saveexec_b64 s[12:13], s[10:11]
	s_cbranch_execnz .LBB6_3024
	s_branch .LBB6_3025
.LBB6_3077:
	s_mov_b64 s[2:3], 0
	s_or_b64 s[18:19], s[18:19], exec
	s_trap 2
	s_branch .LBB6_3069
.LBB6_3078:
	s_or_saveexec_b64 s[10:11], s[10:11]
                                        ; implicit-def: $sgpr12
	s_xor_b64 exec, exec, s[10:11]
	s_cbranch_execz .LBB6_3035
.LBB6_3079:
	s_mov_b32 s12, 0x42800000
	v_add_f32_e64 v3, |v2|, s12
	v_and_b32_e32 v3, 0xff, v3
	v_cmp_ne_u32_e32 vcc, 0, v3
	s_andn2_b64 s[8:9], s[8:9], exec
	s_and_b64 s[14:15], vcc, exec
	s_mov_b32 s12, 0
	s_or_b64 s[8:9], s[8:9], s[14:15]
	s_or_b64 exec, exec, s[10:11]
	v_mov_b32_e32 v7, s12
	s_and_saveexec_b64 s[10:11], s[8:9]
	s_cbranch_execnz .LBB6_3036
	s_branch .LBB6_3037
	.section	.rodata,"a",@progbits
	.p2align	6, 0x0
	.amdhsa_kernel _ZN2at6native32elementwise_kernel_manual_unrollILi128ELi4EZNS0_15gpu_kernel_implIZZZNS0_12prelu_kernelERNS_14TensorIteratorEENKUlvE_clEvENKUlvE_clEvEUlddE_EEvRNS_18TensorIteratorBaseERKT_EUlibE_EEviT1_
		.amdhsa_group_segment_fixed_size 0
		.amdhsa_private_segment_fixed_size 0
		.amdhsa_kernarg_size 48
		.amdhsa_user_sgpr_count 6
		.amdhsa_user_sgpr_private_segment_buffer 1
		.amdhsa_user_sgpr_dispatch_ptr 0
		.amdhsa_user_sgpr_queue_ptr 0
		.amdhsa_user_sgpr_kernarg_segment_ptr 1
		.amdhsa_user_sgpr_dispatch_id 0
		.amdhsa_user_sgpr_flat_scratch_init 0
		.amdhsa_user_sgpr_kernarg_preload_length 0
		.amdhsa_user_sgpr_kernarg_preload_offset 0
		.amdhsa_user_sgpr_private_segment_size 0
		.amdhsa_uses_dynamic_stack 0
		.amdhsa_system_sgpr_private_segment_wavefront_offset 0
		.amdhsa_system_sgpr_workgroup_id_x 1
		.amdhsa_system_sgpr_workgroup_id_y 0
		.amdhsa_system_sgpr_workgroup_id_z 0
		.amdhsa_system_sgpr_workgroup_info 0
		.amdhsa_system_vgpr_workitem_id 0
		.amdhsa_next_free_vgpr 25
		.amdhsa_next_free_sgpr 54
		.amdhsa_accum_offset 28
		.amdhsa_reserve_vcc 1
		.amdhsa_reserve_flat_scratch 0
		.amdhsa_float_round_mode_32 0
		.amdhsa_float_round_mode_16_64 0
		.amdhsa_float_denorm_mode_32 3
		.amdhsa_float_denorm_mode_16_64 3
		.amdhsa_dx10_clamp 1
		.amdhsa_ieee_mode 1
		.amdhsa_fp16_overflow 0
		.amdhsa_tg_split 0
		.amdhsa_exception_fp_ieee_invalid_op 0
		.amdhsa_exception_fp_denorm_src 0
		.amdhsa_exception_fp_ieee_div_zero 0
		.amdhsa_exception_fp_ieee_overflow 0
		.amdhsa_exception_fp_ieee_underflow 0
		.amdhsa_exception_fp_ieee_inexact 0
		.amdhsa_exception_int_div_zero 0
	.end_amdhsa_kernel
	.section	.text._ZN2at6native32elementwise_kernel_manual_unrollILi128ELi4EZNS0_15gpu_kernel_implIZZZNS0_12prelu_kernelERNS_14TensorIteratorEENKUlvE_clEvENKUlvE_clEvEUlddE_EEvRNS_18TensorIteratorBaseERKT_EUlibE_EEviT1_,"axG",@progbits,_ZN2at6native32elementwise_kernel_manual_unrollILi128ELi4EZNS0_15gpu_kernel_implIZZZNS0_12prelu_kernelERNS_14TensorIteratorEENKUlvE_clEvENKUlvE_clEvEUlddE_EEvRNS_18TensorIteratorBaseERKT_EUlibE_EEviT1_,comdat
.Lfunc_end6:
	.size	_ZN2at6native32elementwise_kernel_manual_unrollILi128ELi4EZNS0_15gpu_kernel_implIZZZNS0_12prelu_kernelERNS_14TensorIteratorEENKUlvE_clEvENKUlvE_clEvEUlddE_EEvRNS_18TensorIteratorBaseERKT_EUlibE_EEviT1_, .Lfunc_end6-_ZN2at6native32elementwise_kernel_manual_unrollILi128ELi4EZNS0_15gpu_kernel_implIZZZNS0_12prelu_kernelERNS_14TensorIteratorEENKUlvE_clEvENKUlvE_clEvEUlddE_EEvRNS_18TensorIteratorBaseERKT_EUlibE_EEviT1_
                                        ; -- End function
	.section	.AMDGPU.csdata,"",@progbits
; Kernel info:
; codeLenInByte = 54096
; NumSgprs: 58
; NumVgprs: 25
; NumAgprs: 0
; TotalNumVgprs: 25
; ScratchSize: 0
; MemoryBound: 1
; FloatMode: 240
; IeeeMode: 1
; LDSByteSize: 0 bytes/workgroup (compile time only)
; SGPRBlocks: 7
; VGPRBlocks: 3
; NumSGPRsForWavesPerEU: 58
; NumVGPRsForWavesPerEU: 25
; AccumOffset: 28
; Occupancy: 8
; WaveLimiterHint : 0
; COMPUTE_PGM_RSRC2:SCRATCH_EN: 0
; COMPUTE_PGM_RSRC2:USER_SGPR: 6
; COMPUTE_PGM_RSRC2:TRAP_HANDLER: 0
; COMPUTE_PGM_RSRC2:TGID_X_EN: 1
; COMPUTE_PGM_RSRC2:TGID_Y_EN: 0
; COMPUTE_PGM_RSRC2:TGID_Z_EN: 0
; COMPUTE_PGM_RSRC2:TIDIG_COMP_CNT: 0
; COMPUTE_PGM_RSRC3_GFX90A:ACCUM_OFFSET: 6
; COMPUTE_PGM_RSRC3_GFX90A:TG_SPLIT: 0
	.section	.text._ZN2at6native32elementwise_kernel_manual_unrollILi128ELi4EZNS0_15gpu_kernel_implIZZZNS0_12prelu_kernelERNS_14TensorIteratorEENKUlvE_clEvENKUlvE_clEvEUlddE_EEvRNS_18TensorIteratorBaseERKT_EUlibE0_EEviT1_,"axG",@progbits,_ZN2at6native32elementwise_kernel_manual_unrollILi128ELi4EZNS0_15gpu_kernel_implIZZZNS0_12prelu_kernelERNS_14TensorIteratorEENKUlvE_clEvENKUlvE_clEvEUlddE_EEvRNS_18TensorIteratorBaseERKT_EUlibE0_EEviT1_,comdat
	.globl	_ZN2at6native32elementwise_kernel_manual_unrollILi128ELi4EZNS0_15gpu_kernel_implIZZZNS0_12prelu_kernelERNS_14TensorIteratorEENKUlvE_clEvENKUlvE_clEvEUlddE_EEvRNS_18TensorIteratorBaseERKT_EUlibE0_EEviT1_ ; -- Begin function _ZN2at6native32elementwise_kernel_manual_unrollILi128ELi4EZNS0_15gpu_kernel_implIZZZNS0_12prelu_kernelERNS_14TensorIteratorEENKUlvE_clEvENKUlvE_clEvEUlddE_EEvRNS_18TensorIteratorBaseERKT_EUlibE0_EEviT1_
	.p2align	8
	.type	_ZN2at6native32elementwise_kernel_manual_unrollILi128ELi4EZNS0_15gpu_kernel_implIZZZNS0_12prelu_kernelERNS_14TensorIteratorEENKUlvE_clEvENKUlvE_clEvEUlddE_EEvRNS_18TensorIteratorBaseERKT_EUlibE0_EEviT1_,@function
_ZN2at6native32elementwise_kernel_manual_unrollILi128ELi4EZNS0_15gpu_kernel_implIZZZNS0_12prelu_kernelERNS_14TensorIteratorEENKUlvE_clEvENKUlvE_clEvEUlddE_EEvRNS_18TensorIteratorBaseERKT_EUlibE0_EEviT1_: ; @_ZN2at6native32elementwise_kernel_manual_unrollILi128ELi4EZNS0_15gpu_kernel_implIZZZNS0_12prelu_kernelERNS_14TensorIteratorEENKUlvE_clEvENKUlvE_clEvEUlddE_EEvRNS_18TensorIteratorBaseERKT_EUlibE0_EEviT1_
; %bb.0:
	s_load_dword s66, s[4:5], 0x0
	s_load_dword s33, s[4:5], 0x8
	s_or_b32 s2, s4, 8
	v_lshl_or_b32 v16, s6, 9, v0
	v_or_b32_e32 v24, 0x180, v16
	s_mov_b32 s3, s5
	s_waitcnt lgkmcnt(0)
	s_add_i32 s68, s33, -1
	s_cmp_gt_u32 s68, 1
	v_cmp_le_i32_e32 vcc, s66, v24
	s_cselect_b64 s[20:21], -1, 0
	s_mov_b64 s[6:7], 0
	s_mov_b64 s[12:13], 0
	s_and_saveexec_b64 s[0:1], vcc
	s_xor_b64 s[22:23], exec, s[0:1]
	s_cbranch_execz .LBB7_1581
; %bb.1:
	v_mov_b32_e32 v0, 0
	global_load_ushort v10, v0, s[2:3] offset:417
	global_load_sbyte v11, v0, s[2:3] offset:419
	s_load_dwordx4 s[16:19], s[2:3], 0x4
	s_load_dwordx2 s[28:29], s[2:3], 0x14
	s_load_dwordx4 s[12:15], s[2:3], 0xc4
	s_load_dwordx2 s[26:27], s[2:3], 0xd4
	s_load_dwordx2 s[24:25], s[2:3], 0x198
	s_load_dwordx4 s[8:11], s[2:3], 0x188
	s_cmp_lg_u32 s33, 0
	s_cselect_b64 s[34:35], -1, 0
	s_min_u32 s69, s68, 15
	s_cmp_gt_u32 s33, 1
	v_cmp_gt_i32_e32 vcc, s66, v16
	s_mov_b64 s[0:1], -1
	s_mov_b64 s[46:47], 0
	s_mov_b64 s[40:41], 0
	;; [unrolled: 1-line block ×3, first 2 shown]
	s_cselect_b64 s[30:31], -1, 0
	s_mov_b64 s[36:37], 0
	s_waitcnt vmcnt(1)
	v_lshrrev_b32_e32 v8, 8, v10
	s_and_saveexec_b64 s[42:43], vcc
	s_cbranch_execz .LBB7_394
; %bb.2:
	s_andn2_b64 vcc, exec, s[20:21]
	s_cbranch_vccnz .LBB7_9
; %bb.3:
	s_andn2_b64 vcc, exec, s[34:35]
	v_mov_b32_e32 v4, 0
	v_mov_b32_e32 v0, 0
	;; [unrolled: 1-line block ×3, first 2 shown]
	s_cbranch_vccnz .LBB7_8
; %bb.4:
	s_add_i32 s0, s69, 1
	s_and_b32 s36, s0, 30
	s_add_u32 s0, s2, 0xffffffec
	s_addc_u32 s1, s3, -1
	v_mov_b32_e32 v2, 0
	v_mov_b32_e32 v1, v16
	;; [unrolled: 1-line block ×4, first 2 shown]
.LBB7_5:                                ; =>This Inner Loop Header: Depth=1
	s_mov_b64 s[38:39], s[0:1]
	s_load_dwordx4 s[48:51], s[38:39], 0x18
	s_load_dwordx2 s[40:41], s[38:39], 0x28
	s_load_dwordx2 s[44:45], s[38:39], 0xe8
	s_load_dwordx4 s[52:55], s[38:39], 0xd8
	s_add_u32 s0, s38, 24
	s_waitcnt lgkmcnt(0)
	v_mul_hi_u32 v3, s49, v1
	v_add_u32_e32 v3, v1, v3
	v_lshrrev_b32_e32 v3, s50, v3
	v_mul_lo_u32 v5, v3, s48
	v_mul_hi_u32 v6, s40, v3
	v_sub_u32_e32 v1, v1, v5
	v_add_u32_e32 v5, v3, v6
	v_mul_lo_u32 v6, v1, s52
	v_mul_lo_u32 v7, v1, s53
	;; [unrolled: 1-line block ×3, first 2 shown]
	v_lshrrev_b32_e32 v1, s41, v5
	v_mul_lo_u32 v5, v1, s51
	v_sub_u32_e32 v3, v3, v5
	s_addc_u32 s1, s39, 0
	s_add_i32 s36, s36, -2
	v_mul_lo_u32 v5, v3, s55
	v_mul_lo_u32 v12, v3, s44
	v_mul_lo_u32 v3, v3, s45
	s_cmp_lg_u32 s36, 0
	v_add3_u32 v2, v6, v2, v5
	v_add3_u32 v4, v9, v4, v3
	;; [unrolled: 1-line block ×3, first 2 shown]
	s_cbranch_scc1 .LBB7_5
; %bb.6:
	s_bitcmp1_b32 s69, 0
	s_cselect_b64 s[36:37], -1, 0
	s_and_b64 vcc, exec, s[36:37]
	s_cbranch_vccnz .LBB7_8
; %bb.7:
	s_load_dwordx2 s[36:37], s[0:1], 0x18
	s_load_dword s38, s[0:1], 0x20
	s_load_dword s39, s[0:1], 0xe0
	s_nop 0
	s_load_dwordx2 s[0:1], s[0:1], 0xd8
	s_waitcnt lgkmcnt(0)
	v_mul_hi_u32 v3, s37, v1
	v_add_u32_e32 v3, v1, v3
	v_lshrrev_b32_e32 v3, s38, v3
	v_mul_lo_u32 v3, v3, s36
	v_sub_u32_e32 v5, v1, v3
	v_mad_u64_u32 v[2:3], s[36:37], v5, s0, v[2:3]
	v_mad_u64_u32 v[0:1], s[0:1], v5, s1, v[0:1]
	;; [unrolled: 1-line block ×3, first 2 shown]
.LBB7_8:
	s_cbranch_execz .LBB7_10
	s_branch .LBB7_12
.LBB7_9:
                                        ; implicit-def: $vgpr4
                                        ; implicit-def: $vgpr0
                                        ; implicit-def: $vgpr2
	s_andn2_b64 vcc, exec, s[0:1]
	s_cbranch_vccnz .LBB7_12
.LBB7_10:
	s_waitcnt lgkmcnt(0)
	v_mul_hi_u32 v0, s17, v16
	v_add_u32_e32 v0, v16, v0
	v_lshrrev_b32_e32 v1, s18, v0
	v_mul_lo_u32 v0, v1, s16
	v_sub_u32_e32 v0, v16, v0
	v_mul_lo_u32 v2, v0, s12
	v_mul_lo_u32 v4, v0, s14
	s_andn2_b64 vcc, exec, s[30:31]
	v_mul_lo_u32 v0, v0, s13
	s_cbranch_vccnz .LBB7_12
; %bb.11:
	v_mul_hi_u32 v3, s28, v1
	v_add_u32_e32 v3, v1, v3
	v_lshrrev_b32_e32 v3, s29, v3
	v_mul_lo_u32 v3, v3, s19
	v_sub_u32_e32 v5, v1, v3
	v_mad_u64_u32 v[2:3], s[0:1], v5, s15, v[2:3]
	v_mad_u64_u32 v[0:1], s[0:1], v5, s26, v[0:1]
	;; [unrolled: 1-line block ×3, first 2 shown]
.LBB7_12:
	s_waitcnt lgkmcnt(0)
	v_mov_b32_e32 v1, s11
	v_add_co_u32_e32 v6, vcc, s10, v0
	v_mov_b32_e32 v0, 11
	v_addc_co_u32_e32 v7, vcc, 0, v1, vcc
	v_cmp_lt_i16_sdwa s[0:1], v8, v0 src0_sel:BYTE_0 src1_sel:DWORD
	s_and_b64 vcc, exec, s[0:1]
	s_cbranch_vccnz .LBB7_19
; %bb.13:
	v_mov_b32_e32 v0, 25
	v_cmp_gt_i16_sdwa s[0:1], v8, v0 src0_sel:BYTE_0 src1_sel:DWORD
	s_and_b64 vcc, exec, s[0:1]
	s_cbranch_vccz .LBB7_28
; %bb.14:
	v_mov_b32_e32 v0, 28
	v_cmp_gt_i16_sdwa s[0:1], v8, v0 src0_sel:BYTE_0 src1_sel:DWORD
	s_and_b64 vcc, exec, s[0:1]
	s_cbranch_vccz .LBB7_85
	;; [unrolled: 5-line block ×4, first 2 shown]
; %bb.17:
	v_mov_b32_e32 v0, 46
	v_cmp_eq_u16_sdwa s[0:1], v8, v0 src0_sel:BYTE_0 src1_sel:DWORD
	s_mov_b64 s[36:37], 0
	s_and_b64 vcc, exec, s[0:1]
	s_cbranch_vccz .LBB7_93
; %bb.18:
	global_load_dword v0, v[6:7], off
	s_mov_b64 s[0:1], -1
	s_mov_b64 s[40:41], 0
	s_waitcnt vmcnt(0)
	v_lshlrev_b32_e32 v0, 16, v0
	v_cvt_f64_f32_e32 v[0:1], v0
	s_branch .LBB7_95
.LBB7_19:
	s_mov_b64 s[40:41], 0
                                        ; implicit-def: $vgpr0_vgpr1
	s_mov_b64 s[0:1], 0
	s_cbranch_execnz .LBB7_226
.LBB7_20:
	s_andn2_b64 vcc, exec, s[0:1]
	s_cbranch_vccnz .LBB7_273
.LBB7_21:
	v_mov_b32_e32 v3, s25
	v_add_co_u32_e32 v4, vcc, s24, v4
	v_addc_co_u32_e32 v5, vcc, 0, v3, vcc
	v_mov_b32_e32 v3, 11
	s_waitcnt vmcnt(0)
	v_cmp_lt_i16_sdwa s[0:1], v11, v3 src0_sel:BYTE_0 src1_sel:DWORD
	s_and_b64 vcc, exec, s[0:1]
	s_cbranch_vccnz .LBB7_29
; %bb.22:
	v_mov_b32_e32 v3, 25
	v_cmp_gt_i16_sdwa s[0:1], v11, v3 src0_sel:BYTE_0 src1_sel:DWORD
	s_and_b64 vcc, exec, s[0:1]
	s_cbranch_vccz .LBB7_86
; %bb.23:
	v_mov_b32_e32 v3, 28
	v_cmp_gt_i16_sdwa s[0:1], v11, v3 src0_sel:BYTE_0 src1_sel:DWORD
	s_and_b64 vcc, exec, s[0:1]
	s_cbranch_vccz .LBB7_88
	;; [unrolled: 5-line block ×4, first 2 shown]
; %bb.26:
	v_mov_b32_e32 v3, 46
	v_cmp_eq_u16_sdwa s[0:1], v11, v3 src0_sel:BYTE_0 src1_sel:DWORD
	s_mov_b64 s[36:37], 0
	s_and_b64 vcc, exec, s[0:1]
	s_cbranch_vccz .LBB7_274
; %bb.27:
	global_load_dword v3, v[4:5], off
	s_mov_b64 s[0:1], -1
	s_mov_b64 s[38:39], 0
	s_waitcnt vmcnt(0)
	v_lshlrev_b32_e32 v3, 16, v3
	v_cvt_f64_f32_e32 v[6:7], v3
	s_branch .LBB7_276
.LBB7_28:
	s_mov_b64 s[40:41], 0
	s_mov_b64 s[0:1], 0
                                        ; implicit-def: $vgpr0_vgpr1
	s_cbranch_execnz .LBB7_191
	s_branch .LBB7_225
.LBB7_29:
	s_mov_b64 s[38:39], 0
                                        ; implicit-def: $vgpr6_vgpr7
	s_mov_b64 s[0:1], 0
	s_cbranch_execnz .LBB7_343
.LBB7_30:
	s_andn2_b64 vcc, exec, s[0:1]
	s_cbranch_vccnz .LBB7_391
.LBB7_31:
	s_waitcnt vmcnt(0)
	v_mul_f64 v[4:5], v[0:1], v[6:7]
	v_cmp_lt_f64_e32 vcc, 0, v[0:1]
	v_cndmask_b32_e32 v1, v5, v1, vcc
	v_cndmask_b32_e32 v0, v4, v0, vcc
	v_mov_b32_e32 v3, s9
	v_add_co_u32_e32 v4, vcc, s8, v2
	v_mov_b32_e32 v2, 11
	v_addc_co_u32_e32 v5, vcc, 0, v3, vcc
	v_cmp_lt_i16_sdwa s[36:37], v10, v2 src0_sel:BYTE_0 src1_sel:DWORD
	s_mov_b64 s[0:1], 0
	s_mov_b64 s[44:45], -1
	s_and_b64 vcc, exec, s[36:37]
	s_mov_b64 s[36:37], 0
	s_cbranch_vccnz .LBB7_45
; %bb.32:
	v_mov_b32_e32 v2, 25
	v_cmp_gt_i16_sdwa s[0:1], v10, v2 src0_sel:BYTE_0 src1_sel:DWORD
	s_and_b64 vcc, exec, s[0:1]
	s_cbranch_vccz .LBB7_89
; %bb.33:
	v_mov_b32_e32 v2, 28
	v_cmp_gt_i16_sdwa s[0:1], v10, v2 src0_sel:BYTE_0 src1_sel:DWORD
	s_and_b64 vcc, exec, s[0:1]
	s_cbranch_vccz .LBB7_92
	;; [unrolled: 5-line block ×4, first 2 shown]
; %bb.36:
	v_mov_b32_e32 v2, 46
	v_cmp_eq_u16_sdwa s[36:37], v10, v2 src0_sel:BYTE_0 src1_sel:DWORD
	s_mov_b64 s[44:45], 0
	s_mov_b64 s[0:1], -1
	s_and_b64 vcc, exec, s[36:37]
	s_mov_b64 s[36:37], 0
	s_cbranch_vccz .LBB7_39
; %bb.37:
	v_cvt_f32_f64_e32 v2, v[0:1]
	v_bfe_u32 v3, v2, 16, 1
	s_movk_i32 s0, 0x7fff
	v_add3_u32 v3, v2, v3, s0
	v_lshrrev_b32_e32 v3, 16, v3
	v_mov_b32_e32 v6, 0x7fc0
	v_cmp_o_f32_e32 vcc, v2, v2
	v_cndmask_b32_e32 v2, v6, v3, vcc
	global_store_dword v[4:5], v2, off
	s_mov_b64 s[36:37], -1
.LBB7_38:
	s_mov_b64 s[0:1], 0
.LBB7_39:
	s_and_b64 vcc, exec, s[44:45]
	s_cbranch_vccz .LBB7_44
; %bb.40:
	v_mov_b32_e32 v2, 44
	v_cmp_eq_u16_sdwa s[44:45], v10, v2 src0_sel:BYTE_0 src1_sel:DWORD
	s_mov_b64 s[0:1], -1
	s_and_b64 vcc, exec, s[44:45]
	s_cbranch_vccz .LBB7_44
; %bb.41:
	v_cvt_f32_f64_e32 v2, v[0:1]
	v_bfe_u32 v3, v2, 23, 8
	s_movk_i32 s0, 0xff
	v_cmp_ne_u32_e32 vcc, s0, v3
	v_mov_b32_e32 v6, 0xff
	s_and_saveexec_b64 s[36:37], vcc
; %bb.42:
	s_mov_b32 s0, 0x3fffff
	v_lshrrev_b32_e32 v6, 23, v2
	v_and_b32_e32 v7, 0x400000, v2
	v_and_or_b32 v2, v2, s0, v3
	v_cmp_ne_u32_e32 vcc, 0, v7
	v_cmp_ne_u32_e64 s[0:1], 0, v2
	s_and_b64 s[0:1], vcc, s[0:1]
	v_cndmask_b32_e64 v2, 0, 1, s[0:1]
	v_add_u32_e32 v6, v6, v2
; %bb.43:
	s_or_b64 exec, exec, s[36:37]
	s_mov_b64 s[36:37], -1
	s_mov_b64 s[0:1], 0
	global_store_byte v[4:5], v6, off
.LBB7_44:
	s_mov_b64 s[44:45], 0
	s_branch .LBB7_100
.LBB7_45:
	s_and_b64 vcc, exec, s[44:45]
	s_cbranch_vccz .LBB7_163
; %bb.46:
	v_mov_b32_e32 v2, 5
	v_cmp_lt_i16_sdwa s[44:45], v10, v2 src0_sel:BYTE_0 src1_sel:DWORD
	s_mov_b64 s[36:37], -1
	s_and_b64 vcc, exec, s[44:45]
	s_cbranch_vccnz .LBB7_67
; %bb.47:
	v_mov_b32_e32 v2, 8
	v_cmp_lt_i16_sdwa s[44:45], v10, v2 src0_sel:BYTE_0 src1_sel:DWORD
	s_and_b64 vcc, exec, s[44:45]
	s_cbranch_vccnz .LBB7_57
; %bb.48:
	v_mov_b32_e32 v2, 9
	v_cmp_lt_i16_sdwa s[44:45], v10, v2 src0_sel:BYTE_0 src1_sel:DWORD
	s_and_b64 vcc, exec, s[44:45]
	s_cbranch_vccnz .LBB7_54
; %bb.49:
	v_cmp_gt_i16_sdwa s[44:45], v10, v2 src0_sel:BYTE_0 src1_sel:DWORD
	s_and_b64 vcc, exec, s[44:45]
	s_cbranch_vccz .LBB7_51
; %bb.50:
	v_mov_b32_e32 v2, 0
	v_mov_b32_e32 v3, v2
	global_store_dwordx4 v[4:5], v[0:3], off
	s_mov_b64 s[36:37], 0
.LBB7_51:
	s_andn2_b64 vcc, exec, s[36:37]
	s_cbranch_vccnz .LBB7_53
; %bb.52:
	v_cvt_f32_f64_e32 v2, v[0:1]
	v_mov_b32_e32 v3, 0
	global_store_dwordx2 v[4:5], v[2:3], off
.LBB7_53:
	s_mov_b64 s[36:37], 0
.LBB7_54:
	s_andn2_b64 vcc, exec, s[36:37]
	s_cbranch_vccnz .LBB7_56
; %bb.55:
	v_cvt_f32_f64_e32 v2, v[0:1]
	v_cvt_f16_f32_e32 v2, v2
	global_store_dword v[4:5], v2, off
.LBB7_56:
	s_mov_b64 s[36:37], 0
.LBB7_57:
	s_andn2_b64 vcc, exec, s[36:37]
	s_cbranch_vccnz .LBB7_66
; %bb.58:
	v_mov_b32_e32 v2, 6
	v_cmp_lt_i16_sdwa s[44:45], v10, v2 src0_sel:BYTE_0 src1_sel:DWORD
	s_mov_b64 s[36:37], -1
	s_and_b64 vcc, exec, s[44:45]
	s_cbranch_vccnz .LBB7_64
; %bb.59:
	v_cmp_gt_i16_sdwa s[44:45], v10, v2 src0_sel:BYTE_0 src1_sel:DWORD
	s_and_b64 vcc, exec, s[44:45]
	s_cbranch_vccz .LBB7_61
; %bb.60:
	global_store_dwordx2 v[4:5], v[0:1], off
	s_mov_b64 s[36:37], 0
.LBB7_61:
	s_andn2_b64 vcc, exec, s[36:37]
	s_cbranch_vccnz .LBB7_63
; %bb.62:
	v_cvt_f32_f64_e32 v2, v[0:1]
	global_store_dword v[4:5], v2, off
.LBB7_63:
	s_mov_b64 s[36:37], 0
.LBB7_64:
	s_andn2_b64 vcc, exec, s[36:37]
	s_cbranch_vccnz .LBB7_66
; %bb.65:
	v_cvt_f32_f64_e32 v2, v[0:1]
	v_cvt_f16_f32_e32 v2, v2
	global_store_short v[4:5], v2, off
.LBB7_66:
	s_mov_b64 s[36:37], 0
.LBB7_67:
	s_andn2_b64 vcc, exec, s[36:37]
	s_cbranch_vccnz .LBB7_83
; %bb.68:
	v_mov_b32_e32 v2, 2
	v_cmp_lt_i16_sdwa s[44:45], v10, v2 src0_sel:BYTE_0 src1_sel:DWORD
	s_mov_b64 s[36:37], -1
	s_and_b64 vcc, exec, s[44:45]
	s_cbranch_vccnz .LBB7_78
; %bb.69:
	v_mov_b32_e32 v2, 3
	v_cmp_lt_i16_sdwa s[44:45], v10, v2 src0_sel:BYTE_0 src1_sel:DWORD
	s_and_b64 vcc, exec, s[44:45]
	s_cbranch_vccnz .LBB7_75
; %bb.70:
	v_cmp_gt_i16_sdwa s[44:45], v10, v2 src0_sel:BYTE_0 src1_sel:DWORD
	s_and_b64 vcc, exec, s[44:45]
	s_cbranch_vccz .LBB7_72
; %bb.71:
	v_trunc_f64_e32 v[2:3], v[0:1]
	s_movk_i32 s36, 0xffe0
	v_ldexp_f64 v[6:7], v[2:3], s36
	v_floor_f64_e32 v[6:7], v[6:7]
	v_fmac_f64_e32 v[2:3], 0xc1f00000, v[6:7]
	v_cvt_i32_f64_e32 v13, v[6:7]
	v_cvt_u32_f64_e32 v12, v[2:3]
	global_store_dwordx2 v[4:5], v[12:13], off
	s_mov_b64 s[36:37], 0
.LBB7_72:
	s_andn2_b64 vcc, exec, s[36:37]
	s_cbranch_vccnz .LBB7_74
; %bb.73:
	v_cvt_i32_f64_e32 v2, v[0:1]
	global_store_dword v[4:5], v2, off
.LBB7_74:
	s_mov_b64 s[36:37], 0
.LBB7_75:
	s_andn2_b64 vcc, exec, s[36:37]
	s_cbranch_vccnz .LBB7_77
; %bb.76:
	v_cvt_i32_f64_e32 v2, v[0:1]
	global_store_short v[4:5], v2, off
.LBB7_77:
	s_mov_b64 s[36:37], 0
.LBB7_78:
	s_andn2_b64 vcc, exec, s[36:37]
	s_cbranch_vccnz .LBB7_83
; %bb.79:
	v_mov_b32_e32 v2, 0
	v_cmp_gt_i16_sdwa s[44:45], v10, v2 src0_sel:BYTE_0 src1_sel:DWORD
	s_mov_b64 s[36:37], -1
	s_and_b64 vcc, exec, s[44:45]
	s_cbranch_vccz .LBB7_81
; %bb.80:
	v_cvt_i32_f64_e32 v2, v[0:1]
	global_store_byte v[4:5], v2, off
	s_mov_b64 s[36:37], 0
.LBB7_81:
	s_andn2_b64 vcc, exec, s[36:37]
	s_cbranch_vccnz .LBB7_83
; %bb.82:
	v_trunc_f64_e32 v[0:1], v[0:1]
	s_movk_i32 s36, 0xffe0
	v_ldexp_f64 v[2:3], v[0:1], s36
	v_floor_f64_e32 v[2:3], v[2:3]
	v_fmac_f64_e32 v[0:1], 0xc1f00000, v[2:3]
	v_cvt_u32_f64_e32 v0, v[0:1]
	global_store_byte v[4:5], v0, off
.LBB7_83:
	s_branch .LBB7_164
.LBB7_84:
	s_mov_b64 s[44:45], 0
                                        ; implicit-def: $vgpr16
	s_branch .LBB7_393
.LBB7_85:
	s_mov_b64 s[36:37], -1
	s_mov_b64 s[40:41], 0
	s_mov_b64 s[0:1], 0
                                        ; implicit-def: $vgpr0_vgpr1
	s_branch .LBB7_172
.LBB7_86:
	s_mov_b64 s[36:37], -1
	s_mov_b64 s[38:39], 0
	s_mov_b64 s[0:1], 0
                                        ; implicit-def: $vgpr6_vgpr7
	s_branch .LBB7_307
.LBB7_87:
	s_mov_b64 s[36:37], -1
	s_mov_b64 s[40:41], 0
	s_mov_b64 s[0:1], 0
                                        ; implicit-def: $vgpr0_vgpr1
	s_branch .LBB7_167
.LBB7_88:
	s_mov_b64 s[36:37], -1
	s_mov_b64 s[38:39], 0
	s_mov_b64 s[0:1], 0
                                        ; implicit-def: $vgpr6_vgpr7
	s_branch .LBB7_288
.LBB7_89:
	s_mov_b64 s[0:1], 0
	s_branch .LBB7_121
.LBB7_90:
	s_mov_b64 s[36:37], -1
	s_mov_b64 s[40:41], 0
	s_branch .LBB7_94
.LBB7_91:
	s_mov_b64 s[36:37], -1
	s_mov_b64 s[38:39], 0
	s_mov_b64 s[0:1], 0
                                        ; implicit-def: $vgpr6_vgpr7
	s_branch .LBB7_283
.LBB7_92:
	s_mov_b64 s[0:1], 0
	s_branch .LBB7_104
.LBB7_93:
	s_mov_b64 s[40:41], -1
.LBB7_94:
	s_mov_b64 s[0:1], 0
                                        ; implicit-def: $vgpr0_vgpr1
.LBB7_95:
	s_and_b64 vcc, exec, s[36:37]
	s_cbranch_vccz .LBB7_166
; %bb.96:
	v_mov_b32_e32 v0, 44
	v_cmp_eq_u16_sdwa s[36:37], v8, v0 src0_sel:BYTE_0 src1_sel:DWORD
	s_and_b64 vcc, exec, s[36:37]
	s_cbranch_vccz .LBB7_165
; %bb.97:
	global_load_ubyte v3, v[6:7], off
	s_movk_i32 s36, 0xff
	v_bfrev_b32_e32 v5, 4
	v_mov_b32_e32 v9, 0x7ff80000
	v_bfrev_b32_e32 v12, 28
	s_mov_b64 s[0:1], -1
	s_mov_b64 s[40:41], 0
	s_waitcnt vmcnt(0)
	v_lshlrev_b32_e32 v0, 23, v3
	v_cvt_f64_f32_e32 v[0:1], v0
	v_cmp_ne_u32_e32 vcc, s36, v3
	v_cndmask_b32_e32 v0, v5, v0, vcc
	v_cndmask_b32_e32 v1, v9, v1, vcc
	v_cmp_ne_u32_e32 vcc, 0, v3
	v_cndmask_b32_e32 v1, v12, v1, vcc
	v_cndmask_b32_e32 v0, 0, v0, vcc
	s_branch .LBB7_166
.LBB7_98:
	s_mov_b64 s[36:37], -1
	s_mov_b64 s[38:39], 0
	s_branch .LBB7_275
.LBB7_99:
	s_mov_b64 s[0:1], 0
.LBB7_100:
	s_and_b64 vcc, exec, s[44:45]
	s_cbranch_vccz .LBB7_103
; %bb.101:
	v_mov_b32_e32 v2, 29
	v_cmp_eq_u16_sdwa s[44:45], v10, v2 src0_sel:BYTE_0 src1_sel:DWORD
	s_mov_b64 s[0:1], -1
	s_and_b64 vcc, exec, s[44:45]
	s_cbranch_vccz .LBB7_103
; %bb.102:
	v_trunc_f64_e32 v[2:3], v[0:1]
	s_movk_i32 s0, 0xffe0
	v_ldexp_f64 v[6:7], v[2:3], s0
	v_floor_f64_e32 v[6:7], v[6:7]
	v_fmac_f64_e32 v[2:3], 0xc1f00000, v[6:7]
	v_cvt_u32_f64_e32 v13, v[6:7]
	v_cvt_u32_f64_e32 v12, v[2:3]
	global_store_dwordx2 v[4:5], v[12:13], off
	s_mov_b64 s[36:37], -1
	s_mov_b64 s[0:1], 0
.LBB7_103:
	s_mov_b64 s[44:45], 0
.LBB7_104:
	s_and_b64 vcc, exec, s[44:45]
	s_cbranch_vccz .LBB7_120
; %bb.105:
	v_mov_b32_e32 v2, 27
	v_cmp_lt_i16_sdwa s[44:45], v10, v2 src0_sel:BYTE_0 src1_sel:DWORD
	s_mov_b64 s[36:37], -1
	s_and_b64 vcc, exec, s[44:45]
	s_cbranch_vccnz .LBB7_111
; %bb.106:
	v_cmp_gt_i16_sdwa s[44:45], v10, v2 src0_sel:BYTE_0 src1_sel:DWORD
	s_and_b64 vcc, exec, s[44:45]
	v_cvt_u32_f64_e32 v2, v[0:1]
	s_cbranch_vccz .LBB7_108
; %bb.107:
	s_mov_b64 s[36:37], 0
	global_store_dword v[4:5], v2, off
.LBB7_108:
	s_andn2_b64 vcc, exec, s[36:37]
	s_cbranch_vccnz .LBB7_110
; %bb.109:
	global_store_short v[4:5], v2, off
.LBB7_110:
	s_mov_b64 s[36:37], 0
.LBB7_111:
	s_andn2_b64 vcc, exec, s[36:37]
	s_cbranch_vccnz .LBB7_119
; %bb.112:
	v_cvt_f32_f64_e32 v2, v[0:1]
	v_and_b32_e32 v3, 0x7fffffff, v2
	s_mov_b32 s36, 0x43800000
	v_cmp_gt_u32_e32 vcc, s36, v3
	v_mov_b32_e32 v6, 0x80
	s_and_saveexec_b64 s[36:37], vcc
	s_cbranch_execz .LBB7_118
; %bb.113:
	s_mov_b32 s44, 0x3bffffff
	v_cmp_lt_u32_e32 vcc, s44, v3
	s_mov_b64 s[44:45], 0
                                        ; implicit-def: $vgpr3
	s_and_saveexec_b64 s[48:49], vcc
	s_xor_b64 s[48:49], exec, s[48:49]
	s_cbranch_execz .LBB7_279
; %bb.114:
	v_bfe_u32 v3, v2, 20, 1
	s_mov_b32 s50, 0x487ffff
	v_add3_u32 v3, v2, v3, s50
	s_mov_b64 s[44:45], exec
	v_lshrrev_b32_e32 v3, 20, v3
	s_or_saveexec_b64 s[48:49], s[48:49]
                                        ; implicit-def: $sgpr50
	s_xor_b64 exec, exec, s[48:49]
	s_cbranch_execnz .LBB7_280
.LBB7_115:
	s_or_b64 exec, exec, s[48:49]
	v_mov_b32_e32 v6, s50
	s_and_saveexec_b64 s[48:49], s[44:45]
.LBB7_116:
	v_lshrrev_b32_e32 v2, 24, v2
	s_movk_i32 s44, 0x80
	v_and_or_b32 v6, v2, s44, v3
.LBB7_117:
	s_or_b64 exec, exec, s[48:49]
.LBB7_118:
	s_or_b64 exec, exec, s[36:37]
	global_store_byte v[4:5], v6, off
.LBB7_119:
	s_mov_b64 s[36:37], -1
.LBB7_120:
	s_mov_b64 s[44:45], 0
.LBB7_121:
	s_and_b64 vcc, exec, s[44:45]
	s_cbranch_vccz .LBB7_162
; %bb.122:
	v_mov_b32_e32 v2, 22
	v_cmp_gt_i16_sdwa s[48:49], v10, v2 src0_sel:BYTE_0 src1_sel:DWORD
	s_mov_b64 s[44:45], -1
	s_and_b64 vcc, exec, s[48:49]
	s_cbranch_vccz .LBB7_154
; %bb.123:
	v_mov_b32_e32 v2, 24
	v_cmp_lt_i16_sdwa s[44:45], v10, v2 src0_sel:BYTE_0 src1_sel:DWORD
	s_mov_b64 s[36:37], -1
	s_and_b64 vcc, exec, s[44:45]
	s_cbranch_vccnz .LBB7_143
; %bb.124:
	v_cmp_gt_i16_sdwa s[44:45], v10, v2 src0_sel:BYTE_0 src1_sel:DWORD
	s_and_b64 vcc, exec, s[44:45]
	s_cbranch_vccz .LBB7_132
; %bb.125:
	v_cvt_f32_f64_e32 v2, v[0:1]
	v_and_b32_e32 v3, 0x7fffffff, v2
	s_mov_b32 s36, 0x47800000
	v_cmp_gt_u32_e32 vcc, s36, v3
	v_mov_b32_e32 v6, 0x80
	s_and_saveexec_b64 s[36:37], vcc
	s_cbranch_execz .LBB7_131
; %bb.126:
	s_mov_b32 s44, 0x37ffffff
	v_cmp_lt_u32_e32 vcc, s44, v3
	s_mov_b64 s[44:45], 0
                                        ; implicit-def: $vgpr3
	s_and_saveexec_b64 s[48:49], vcc
	s_xor_b64 s[48:49], exec, s[48:49]
	s_cbranch_execz .LBB7_550
; %bb.127:
	v_bfe_u32 v3, v2, 21, 1
	s_mov_b32 s50, 0x88fffff
	v_add3_u32 v3, v2, v3, s50
	s_mov_b64 s[44:45], exec
	v_lshrrev_b32_e32 v3, 21, v3
	s_or_saveexec_b64 s[48:49], s[48:49]
                                        ; implicit-def: $sgpr50
	s_xor_b64 exec, exec, s[48:49]
	s_cbranch_execnz .LBB7_551
.LBB7_128:
	s_or_b64 exec, exec, s[48:49]
	v_mov_b32_e32 v6, s50
	s_and_saveexec_b64 s[48:49], s[44:45]
.LBB7_129:
	v_lshrrev_b32_e32 v2, 24, v2
	s_movk_i32 s44, 0x80
	v_and_or_b32 v6, v2, s44, v3
.LBB7_130:
	s_or_b64 exec, exec, s[48:49]
.LBB7_131:
	s_or_b64 exec, exec, s[36:37]
	s_mov_b64 s[36:37], 0
	global_store_byte v[4:5], v6, off
.LBB7_132:
	s_and_b64 vcc, exec, s[36:37]
	s_cbranch_vccz .LBB7_142
; %bb.133:
	v_cvt_f32_f64_e32 v2, v[0:1]
	v_and_b32_e32 v6, 0x7fffffff, v2
	s_mov_b32 s36, 0x43f00000
	v_cmp_gt_u32_e32 vcc, s36, v6
                                        ; implicit-def: $vgpr3
	s_and_saveexec_b64 s[36:37], vcc
	s_xor_b64 s[36:37], exec, s[36:37]
	s_cbranch_execz .LBB7_139
; %bb.134:
	s_mov_b32 s44, 0x3c7fffff
	v_cmp_lt_u32_e32 vcc, s44, v6
                                        ; implicit-def: $vgpr3
	s_and_saveexec_b64 s[44:45], vcc
	s_xor_b64 s[44:45], exec, s[44:45]
; %bb.135:
	v_bfe_u32 v3, v2, 20, 1
	s_mov_b32 s48, 0x407ffff
	v_add3_u32 v3, v2, v3, s48
	v_lshrrev_b32_e32 v6, 20, v3
	v_and_b32_e32 v3, 0xff00000, v3
	s_mov_b32 s48, 0x7f00000
	v_mov_b32_e32 v7, 0x7e
	v_cmp_ne_u32_e32 vcc, s48, v3
	v_cndmask_b32_e32 v3, v7, v6, vcc
; %bb.136:
	s_andn2_saveexec_b64 s[44:45], s[44:45]
; %bb.137:
	s_mov_b32 s48, 0x46800000
	v_add_f32_e64 v3, |v2|, s48
; %bb.138:
	s_or_b64 exec, exec, s[44:45]
                                        ; implicit-def: $vgpr6
.LBB7_139:
	s_andn2_saveexec_b64 s[36:37], s[36:37]
; %bb.140:
	s_mov_b32 s44, 0x7f800000
	v_mov_b32_e32 v3, 0x7e
	v_mov_b32_e32 v7, 0x7f
	v_cmp_lt_u32_e32 vcc, s44, v6
	v_cndmask_b32_e32 v3, v3, v7, vcc
; %bb.141:
	s_or_b64 exec, exec, s[36:37]
	v_lshrrev_b32_e32 v2, 24, v2
	s_movk_i32 s36, 0x80
	v_and_or_b32 v2, v2, s36, v3
	global_store_byte v[4:5], v2, off
.LBB7_142:
	s_mov_b64 s[36:37], 0
.LBB7_143:
	s_andn2_b64 vcc, exec, s[36:37]
	s_cbranch_vccnz .LBB7_153
; %bb.144:
	v_cvt_f32_f64_e32 v2, v[0:1]
	v_and_b32_e32 v6, 0x7fffffff, v2
	s_mov_b32 s36, 0x47800000
	v_cmp_gt_u32_e32 vcc, s36, v6
                                        ; implicit-def: $vgpr3
	s_and_saveexec_b64 s[36:37], vcc
	s_xor_b64 s[36:37], exec, s[36:37]
	s_cbranch_execz .LBB7_150
; %bb.145:
	s_mov_b32 s44, 0x387fffff
	v_cmp_lt_u32_e32 vcc, s44, v6
                                        ; implicit-def: $vgpr3
	s_and_saveexec_b64 s[44:45], vcc
	s_xor_b64 s[44:45], exec, s[44:45]
; %bb.146:
	v_bfe_u32 v3, v2, 21, 1
	s_mov_b32 s48, 0x80fffff
	v_add3_u32 v3, v2, v3, s48
	v_lshrrev_b32_e32 v3, 21, v3
; %bb.147:
	s_andn2_saveexec_b64 s[44:45], s[44:45]
; %bb.148:
	s_mov_b32 s48, 0x43000000
	v_add_f32_e64 v3, |v2|, s48
; %bb.149:
	s_or_b64 exec, exec, s[44:45]
                                        ; implicit-def: $vgpr6
.LBB7_150:
	s_andn2_saveexec_b64 s[36:37], s[36:37]
; %bb.151:
	s_mov_b32 s44, 0x7f800000
	v_mov_b32_e32 v3, 0x7c
	v_mov_b32_e32 v7, 0x7f
	v_cmp_lt_u32_e32 vcc, s44, v6
	v_cndmask_b32_e32 v3, v3, v7, vcc
; %bb.152:
	s_or_b64 exec, exec, s[36:37]
	v_lshrrev_b32_e32 v2, 24, v2
	s_movk_i32 s36, 0x80
	v_and_or_b32 v2, v2, s36, v3
	global_store_byte v[4:5], v2, off
.LBB7_153:
	s_mov_b64 s[44:45], 0
	s_mov_b64 s[36:37], -1
.LBB7_154:
	s_andn2_b64 vcc, exec, s[44:45]
	s_cbranch_vccnz .LBB7_162
; %bb.155:
	v_mov_b32_e32 v2, 14
	v_cmp_gt_i16_sdwa s[48:49], v10, v2 src0_sel:BYTE_0 src1_sel:DWORD
	s_mov_b64 s[44:45], -1
	s_and_b64 vcc, exec, s[48:49]
	s_cbranch_vccz .LBB7_159
; %bb.156:
	v_mov_b32_e32 v2, 15
	v_cmp_eq_u16_sdwa s[44:45], v10, v2 src0_sel:BYTE_0 src1_sel:DWORD
	s_mov_b64 s[0:1], -1
	s_and_b64 vcc, exec, s[44:45]
	s_cbranch_vccz .LBB7_158
; %bb.157:
	v_cvt_f32_f64_e32 v2, v[0:1]
	v_bfe_u32 v3, v2, 16, 1
	s_movk_i32 s0, 0x7fff
	v_add3_u32 v3, v2, v3, s0
	v_lshrrev_b32_e32 v3, 16, v3
	v_mov_b32_e32 v6, 0x7fc0
	v_cmp_o_f32_e32 vcc, v2, v2
	v_cndmask_b32_e32 v2, v6, v3, vcc
	global_store_short v[4:5], v2, off
	s_mov_b64 s[36:37], -1
	s_mov_b64 s[0:1], 0
.LBB7_158:
	s_mov_b64 s[44:45], 0
.LBB7_159:
	s_and_b64 vcc, exec, s[44:45]
	s_cbranch_vccz .LBB7_162
; %bb.160:
	v_mov_b32_e32 v2, 11
	v_cmp_eq_u16_sdwa s[44:45], v10, v2 src0_sel:BYTE_0 src1_sel:DWORD
	s_mov_b64 s[0:1], -1
	s_and_b64 vcc, exec, s[44:45]
	s_cbranch_vccz .LBB7_162
; %bb.161:
	v_cmp_neq_f64_e32 vcc, 0, v[0:1]
	s_mov_b64 s[0:1], 0
	v_cndmask_b32_e64 v2, 0, 1, vcc
	s_mov_b64 s[36:37], -1
	global_store_byte v[4:5], v2, off
.LBB7_162:
.LBB7_163:
	s_andn2_b64 vcc, exec, s[36:37]
	s_cbranch_vccnz .LBB7_84
.LBB7_164:
	v_add_u32_e32 v16, 0x80, v16
	s_mov_b64 s[44:45], -1
	s_branch .LBB7_393
.LBB7_165:
	s_mov_b64 s[40:41], -1
                                        ; implicit-def: $vgpr0_vgpr1
.LBB7_166:
	s_mov_b64 s[36:37], 0
.LBB7_167:
	s_and_b64 vcc, exec, s[36:37]
	s_cbranch_vccz .LBB7_171
; %bb.168:
	v_mov_b32_e32 v0, 29
	v_cmp_eq_u16_sdwa s[36:37], v8, v0 src0_sel:BYTE_0 src1_sel:DWORD
	s_and_b64 vcc, exec, s[36:37]
	s_cbranch_vccz .LBB7_170
; %bb.169:
	global_load_dwordx2 v[0:1], v[6:7], off
	s_mov_b64 s[0:1], -1
	s_mov_b64 s[40:41], 0
	s_mov_b64 s[36:37], 0
	s_waitcnt vmcnt(0)
	v_cvt_f64_u32_e32 v[12:13], v1
	v_cvt_f64_u32_e32 v[0:1], v0
	v_ldexp_f64 v[12:13], v[12:13], 32
	v_add_f64 v[0:1], v[12:13], v[0:1]
	s_branch .LBB7_172
.LBB7_170:
	s_mov_b64 s[40:41], -1
                                        ; implicit-def: $vgpr0_vgpr1
.LBB7_171:
	s_mov_b64 s[36:37], 0
.LBB7_172:
	s_and_b64 vcc, exec, s[36:37]
	s_cbranch_vccz .LBB7_190
; %bb.173:
	v_mov_b32_e32 v0, 27
	v_cmp_lt_i16_sdwa s[0:1], v8, v0 src0_sel:BYTE_0 src1_sel:DWORD
	s_and_b64 vcc, exec, s[0:1]
	s_cbranch_vccnz .LBB7_176
; %bb.174:
	v_cmp_gt_i16_sdwa s[0:1], v8, v0 src0_sel:BYTE_0 src1_sel:DWORD
	s_and_b64 vcc, exec, s[0:1]
	s_cbranch_vccz .LBB7_177
; %bb.175:
	global_load_dword v0, v[6:7], off
	s_mov_b64 s[0:1], 0
	s_waitcnt vmcnt(0)
	v_cvt_f64_u32_e32 v[0:1], v0
	s_branch .LBB7_178
.LBB7_176:
	s_mov_b64 s[0:1], -1
                                        ; implicit-def: $vgpr0_vgpr1
	s_branch .LBB7_181
.LBB7_177:
	s_mov_b64 s[0:1], -1
                                        ; implicit-def: $vgpr0_vgpr1
.LBB7_178:
	s_andn2_b64 vcc, exec, s[0:1]
	s_cbranch_vccnz .LBB7_180
; %bb.179:
	global_load_ushort v0, v[6:7], off
	s_waitcnt vmcnt(0)
	v_cvt_f64_u32_e32 v[0:1], v0
.LBB7_180:
	s_mov_b64 s[0:1], 0
.LBB7_181:
	s_andn2_b64 vcc, exec, s[0:1]
	s_cbranch_vccnz .LBB7_189
; %bb.182:
	global_load_ubyte v3, v[6:7], off
	s_movk_i32 s0, 0x7f
                                        ; implicit-def: $sgpr36_sgpr37
	s_waitcnt vmcnt(0)
	v_cmp_lt_i16_e32 vcc, s0, v3
	s_mov_b64 s[0:1], 0
	s_and_saveexec_b64 s[38:39], vcc
	s_xor_b64 s[38:39], exec, s[38:39]
	s_cbranch_execz .LBB7_202
; %bb.183:
	s_movk_i32 s0, 0x80
	v_cmp_eq_u16_e32 vcc, s0, v3
	s_mov_b64 s[44:45], -1
                                        ; implicit-def: $sgpr36_sgpr37
	s_and_saveexec_b64 s[0:1], vcc
; %bb.184:
	s_mov_b32 s37, 0x7ff80000
	s_brev_b32 s36, 4
	s_xor_b64 s[44:45], exec, -1
; %bb.185:
	s_or_b64 exec, exec, s[0:1]
	s_and_b64 s[0:1], s[44:45], exec
	s_or_saveexec_b64 s[38:39], s[38:39]
	v_pk_mov_b32 v[0:1], s[36:37], s[36:37] op_sel:[0,1]
	s_xor_b64 exec, exec, s[38:39]
	s_cbranch_execnz .LBB7_203
.LBB7_186:
	s_or_b64 exec, exec, s[38:39]
	s_and_saveexec_b64 s[36:37], s[0:1]
	s_cbranch_execz .LBB7_188
.LBB7_187:
	v_and_b32_e32 v1, 0xffff, v3
	v_lshlrev_b32_e32 v0, 24, v3
	v_and_b32_e32 v3, 7, v1
	v_ffbh_u32_e32 v9, v3
	v_min_u32_e32 v9, 32, v9
	v_subrev_u32_e32 v12, 28, v9
	v_bfe_u32 v5, v1, 3, 4
	v_lshlrev_b32_e32 v1, v12, v1
	v_sub_u32_e32 v9, 29, v9
	v_and_b32_e32 v1, 7, v1
	v_cmp_eq_u32_e32 vcc, 0, v5
	v_cndmask_b32_e32 v5, v5, v9, vcc
	v_cndmask_b32_e32 v1, v3, v1, vcc
	v_mov_b32_e32 v3, 0x3b800000
	v_lshlrev_b32_e32 v1, 20, v1
	v_and_b32_e32 v0, 0x80000000, v0
	v_lshl_add_u32 v3, v5, 23, v3
	v_or3_b32 v0, v0, v3, v1
	v_cvt_f64_f32_e32 v[0:1], v0
.LBB7_188:
	s_or_b64 exec, exec, s[36:37]
.LBB7_189:
	s_mov_b64 s[0:1], -1
.LBB7_190:
	s_branch .LBB7_225
.LBB7_191:
	v_mov_b32_e32 v0, 22
	v_cmp_gt_i16_sdwa s[36:37], v8, v0 src0_sel:BYTE_0 src1_sel:DWORD
	s_and_b64 vcc, exec, s[36:37]
	s_cbranch_vccz .LBB7_201
; %bb.192:
	v_mov_b32_e32 v0, 24
	v_cmp_lt_i16_sdwa s[0:1], v8, v0 src0_sel:BYTE_0 src1_sel:DWORD
	s_and_b64 vcc, exec, s[0:1]
	s_cbranch_vccnz .LBB7_204
; %bb.193:
	v_cmp_gt_i16_sdwa s[0:1], v8, v0 src0_sel:BYTE_0 src1_sel:DWORD
	s_and_b64 vcc, exec, s[0:1]
	s_cbranch_vccz .LBB7_205
; %bb.194:
	global_load_ubyte v3, v[6:7], off
	s_movk_i32 s0, 0x7f
                                        ; implicit-def: $sgpr36_sgpr37
	s_waitcnt vmcnt(0)
	v_cmp_lt_i16_e32 vcc, s0, v3
	s_mov_b64 s[0:1], 0
	s_and_saveexec_b64 s[38:39], vcc
	s_xor_b64 s[38:39], exec, s[38:39]
	s_cbranch_execz .LBB7_217
; %bb.195:
	s_movk_i32 s0, 0x80
	v_cmp_eq_u16_e32 vcc, s0, v3
	s_mov_b64 s[44:45], -1
                                        ; implicit-def: $sgpr36_sgpr37
	s_and_saveexec_b64 s[0:1], vcc
; %bb.196:
	s_mov_b32 s37, 0x7ff80000
	s_brev_b32 s36, 4
	s_xor_b64 s[44:45], exec, -1
; %bb.197:
	s_or_b64 exec, exec, s[0:1]
	s_and_b64 s[0:1], s[44:45], exec
	s_or_saveexec_b64 s[38:39], s[38:39]
	v_pk_mov_b32 v[0:1], s[36:37], s[36:37] op_sel:[0,1]
	s_xor_b64 exec, exec, s[38:39]
	s_cbranch_execnz .LBB7_218
.LBB7_198:
	s_or_b64 exec, exec, s[38:39]
	s_and_saveexec_b64 s[36:37], s[0:1]
	s_cbranch_execz .LBB7_200
.LBB7_199:
	v_and_b32_e32 v1, 0xffff, v3
	v_lshlrev_b32_e32 v0, 24, v3
	v_and_b32_e32 v3, 3, v1
	v_ffbh_u32_e32 v9, v3
	v_min_u32_e32 v9, 32, v9
	v_subrev_u32_e32 v12, 29, v9
	v_bfe_u32 v5, v1, 2, 5
	v_lshlrev_b32_e32 v1, v12, v1
	v_sub_u32_e32 v9, 30, v9
	v_and_b32_e32 v1, 3, v1
	v_cmp_eq_u32_e32 vcc, 0, v5
	v_cndmask_b32_e32 v5, v5, v9, vcc
	v_cndmask_b32_e32 v1, v3, v1, vcc
	v_mov_b32_e32 v3, 0x37800000
	v_lshlrev_b32_e32 v1, 21, v1
	v_and_b32_e32 v0, 0x80000000, v0
	v_lshl_add_u32 v3, v5, 23, v3
	v_or3_b32 v0, v0, v3, v1
	v_cvt_f64_f32_e32 v[0:1], v0
.LBB7_200:
	s_or_b64 exec, exec, s[36:37]
	s_mov_b64 s[0:1], 0
	s_branch .LBB7_206
.LBB7_201:
	s_mov_b64 s[36:37], -1
                                        ; implicit-def: $vgpr0_vgpr1
	s_branch .LBB7_212
.LBB7_202:
	s_or_saveexec_b64 s[38:39], s[38:39]
	v_pk_mov_b32 v[0:1], s[36:37], s[36:37] op_sel:[0,1]
	s_xor_b64 exec, exec, s[38:39]
	s_cbranch_execz .LBB7_186
.LBB7_203:
	v_cmp_ne_u16_e32 vcc, 0, v3
	s_andn2_b64 s[0:1], s[0:1], exec
	s_and_b64 s[36:37], vcc, exec
	v_pk_mov_b32 v[0:1], 0, 0
	s_or_b64 s[0:1], s[0:1], s[36:37]
	s_or_b64 exec, exec, s[38:39]
	s_and_saveexec_b64 s[36:37], s[0:1]
	s_cbranch_execnz .LBB7_187
	s_branch .LBB7_188
.LBB7_204:
	s_mov_b64 s[0:1], -1
                                        ; implicit-def: $vgpr0_vgpr1
	s_branch .LBB7_209
.LBB7_205:
	s_mov_b64 s[0:1], -1
                                        ; implicit-def: $vgpr0_vgpr1
.LBB7_206:
	s_and_b64 vcc, exec, s[0:1]
	s_cbranch_vccz .LBB7_208
; %bb.207:
	global_load_ubyte v0, v[6:7], off
	s_mov_b32 s0, 0x7f800000
	s_waitcnt vmcnt(0)
	v_lshlrev_b32_e32 v0, 24, v0
	v_and_b32_e32 v1, 0x7f000000, v0
	v_ffbh_u32_e32 v3, v1
	v_min_u32_e32 v3, 32, v3
	v_sub_u32_e64 v3, v3, 4 clamp
	v_lshlrev_b32_e32 v9, v3, v1
	v_lshlrev_b32_e32 v3, 23, v3
	v_lshrrev_b32_e32 v9, 4, v9
	v_add_u32_e32 v5, 0x1000000, v1
	v_sub_u32_e32 v3, v9, v3
	v_ashrrev_i32_e32 v5, 8, v5
	v_add_u32_e32 v3, 0x3c000000, v3
	v_and_or_b32 v3, v5, s0, v3
	v_cmp_ne_u32_e32 vcc, 0, v1
	v_cndmask_b32_e32 v1, 0, v3, vcc
	s_brev_b32 s0, 1
	v_and_or_b32 v0, v0, s0, v1
	v_cvt_f64_f32_e32 v[0:1], v0
.LBB7_208:
	s_mov_b64 s[0:1], 0
.LBB7_209:
	s_andn2_b64 vcc, exec, s[0:1]
	s_cbranch_vccnz .LBB7_211
; %bb.210:
	global_load_ubyte v0, v[6:7], off
	s_movk_i32 s0, 0x7f00
	s_brev_b32 s1, 16
	s_waitcnt vmcnt(0)
	v_lshlrev_b16_e32 v1, 8, v0
	v_lshlrev_b32_e32 v0, 25, v0
	v_lshrrev_b32_e32 v3, 4, v0
	v_and_or_b32 v5, v1, s0, 0.5
	v_or_b32_e32 v3, 0x70000000, v3
	v_add_f32_e32 v5, -0.5, v5
	v_mul_f32_e32 v3, 0x7800000, v3
	v_cmp_gt_u32_e32 vcc, s1, v0
	v_bfe_i32 v1, v1, 0, 16
	v_cndmask_b32_e32 v0, v3, v5, vcc
	s_brev_b32 s0, 1
	v_and_or_b32 v0, v1, s0, v0
	v_cvt_f64_f32_e32 v[0:1], v0
.LBB7_211:
	s_mov_b64 s[36:37], 0
	s_mov_b64 s[0:1], -1
.LBB7_212:
	s_andn2_b64 vcc, exec, s[36:37]
	s_cbranch_vccnz .LBB7_225
; %bb.213:
	v_mov_b32_e32 v0, 14
	v_cmp_gt_i16_sdwa s[36:37], v8, v0 src0_sel:BYTE_0 src1_sel:DWORD
	s_and_b64 vcc, exec, s[36:37]
	s_cbranch_vccz .LBB7_216
; %bb.214:
	v_mov_b32_e32 v0, 15
	v_cmp_eq_u16_sdwa s[36:37], v8, v0 src0_sel:BYTE_0 src1_sel:DWORD
	s_and_b64 vcc, exec, s[36:37]
	s_cbranch_vccz .LBB7_219
; %bb.215:
	global_load_ushort v0, v[6:7], off
	s_mov_b64 s[0:1], -1
	s_mov_b64 s[40:41], 0
	s_waitcnt vmcnt(0)
	v_lshlrev_b32_e32 v0, 16, v0
	v_cvt_f64_f32_e32 v[0:1], v0
	s_branch .LBB7_220
.LBB7_216:
	s_mov_b64 s[36:37], -1
                                        ; implicit-def: $vgpr0_vgpr1
	s_branch .LBB7_221
.LBB7_217:
	s_or_saveexec_b64 s[38:39], s[38:39]
	v_pk_mov_b32 v[0:1], s[36:37], s[36:37] op_sel:[0,1]
	s_xor_b64 exec, exec, s[38:39]
	s_cbranch_execz .LBB7_198
.LBB7_218:
	v_cmp_ne_u16_e32 vcc, 0, v3
	s_andn2_b64 s[0:1], s[0:1], exec
	s_and_b64 s[36:37], vcc, exec
	v_pk_mov_b32 v[0:1], 0, 0
	s_or_b64 s[0:1], s[0:1], s[36:37]
	s_or_b64 exec, exec, s[38:39]
	s_and_saveexec_b64 s[36:37], s[0:1]
	s_cbranch_execnz .LBB7_199
	s_branch .LBB7_200
.LBB7_219:
	s_mov_b64 s[40:41], -1
                                        ; implicit-def: $vgpr0_vgpr1
.LBB7_220:
	s_mov_b64 s[36:37], 0
.LBB7_221:
	s_and_b64 vcc, exec, s[36:37]
	s_cbranch_vccz .LBB7_225
; %bb.222:
	v_mov_b32_e32 v0, 11
	v_cmp_eq_u16_sdwa s[36:37], v8, v0 src0_sel:BYTE_0 src1_sel:DWORD
	s_and_b64 vcc, exec, s[36:37]
	s_cbranch_vccz .LBB7_224
; %bb.223:
	global_load_ubyte v1, v[6:7], off
	v_mov_b32_e32 v3, 0x3ff00000
	v_mov_b32_e32 v0, 0
	s_mov_b64 s[0:1], -1
	s_mov_b64 s[40:41], 0
	s_waitcnt vmcnt(0)
	v_cmp_ne_u16_e32 vcc, 0, v1
	v_cndmask_b32_e32 v1, 0, v3, vcc
	s_branch .LBB7_225
.LBB7_224:
	s_mov_b64 s[40:41], -1
                                        ; implicit-def: $vgpr0_vgpr1
.LBB7_225:
	s_branch .LBB7_20
.LBB7_226:
	v_mov_b32_e32 v0, 5
	v_cmp_lt_i16_sdwa s[0:1], v8, v0 src0_sel:BYTE_0 src1_sel:DWORD
	s_and_b64 vcc, exec, s[0:1]
	s_cbranch_vccnz .LBB7_231
; %bb.227:
	v_mov_b32_e32 v0, 8
	v_cmp_lt_i16_sdwa s[0:1], v8, v0 src0_sel:BYTE_0 src1_sel:DWORD
	s_and_b64 vcc, exec, s[0:1]
	s_cbranch_vccnz .LBB7_232
; %bb.228:
	;; [unrolled: 5-line block ×3, first 2 shown]
	v_cmp_gt_i16_sdwa s[0:1], v8, v0 src0_sel:BYTE_0 src1_sel:DWORD
	s_and_b64 vcc, exec, s[0:1]
	s_cbranch_vccz .LBB7_234
; %bb.230:
	global_load_dwordx2 v[0:1], v[6:7], off
	s_mov_b64 s[0:1], 0
	s_branch .LBB7_235
.LBB7_231:
                                        ; implicit-def: $vgpr0_vgpr1
	s_branch .LBB7_253
.LBB7_232:
	s_mov_b64 s[0:1], -1
                                        ; implicit-def: $vgpr0_vgpr1
	s_branch .LBB7_241
.LBB7_233:
	s_mov_b64 s[0:1], -1
                                        ; implicit-def: $vgpr0_vgpr1
	s_branch .LBB7_238
.LBB7_234:
	s_mov_b64 s[0:1], -1
                                        ; implicit-def: $vgpr0_vgpr1
.LBB7_235:
	s_andn2_b64 vcc, exec, s[0:1]
	s_cbranch_vccnz .LBB7_237
; %bb.236:
	global_load_dword v0, v[6:7], off
	s_waitcnt vmcnt(0)
	v_cvt_f64_f32_e32 v[0:1], v0
.LBB7_237:
	s_mov_b64 s[0:1], 0
.LBB7_238:
	s_andn2_b64 vcc, exec, s[0:1]
	s_cbranch_vccnz .LBB7_240
; %bb.239:
	global_load_dword v0, v[6:7], off
	s_waitcnt vmcnt(0)
	v_cvt_f32_f16_e32 v0, v0
	v_cvt_f64_f32_e32 v[0:1], v0
.LBB7_240:
	s_mov_b64 s[0:1], 0
.LBB7_241:
	s_andn2_b64 vcc, exec, s[0:1]
	s_cbranch_vccnz .LBB7_252
; %bb.242:
	s_waitcnt vmcnt(0)
	v_mov_b32_e32 v0, 6
	v_cmp_lt_i16_sdwa s[0:1], v8, v0 src0_sel:BYTE_0 src1_sel:DWORD
	s_and_b64 vcc, exec, s[0:1]
	s_cbranch_vccnz .LBB7_245
; %bb.243:
	v_cmp_gt_i16_sdwa s[0:1], v8, v0 src0_sel:BYTE_0 src1_sel:DWORD
	s_and_b64 vcc, exec, s[0:1]
	s_cbranch_vccz .LBB7_246
; %bb.244:
	global_load_dwordx2 v[0:1], v[6:7], off
	s_mov_b64 s[0:1], 0
	s_branch .LBB7_247
.LBB7_245:
	s_mov_b64 s[0:1], -1
                                        ; implicit-def: $vgpr0_vgpr1
	s_branch .LBB7_250
.LBB7_246:
	s_mov_b64 s[0:1], -1
                                        ; implicit-def: $vgpr0_vgpr1
.LBB7_247:
	s_andn2_b64 vcc, exec, s[0:1]
	s_cbranch_vccnz .LBB7_249
; %bb.248:
	global_load_dword v0, v[6:7], off
	s_waitcnt vmcnt(0)
	v_cvt_f64_f32_e32 v[0:1], v0
.LBB7_249:
	s_mov_b64 s[0:1], 0
.LBB7_250:
	s_andn2_b64 vcc, exec, s[0:1]
	s_cbranch_vccnz .LBB7_252
; %bb.251:
	global_load_ushort v0, v[6:7], off
	s_waitcnt vmcnt(0)
	v_cvt_f32_f16_e32 v0, v0
	v_cvt_f64_f32_e32 v[0:1], v0
.LBB7_252:
	s_cbranch_execnz .LBB7_272
.LBB7_253:
	s_waitcnt vmcnt(0)
	v_mov_b32_e32 v0, 2
	v_cmp_lt_i16_sdwa s[0:1], v8, v0 src0_sel:BYTE_0 src1_sel:DWORD
	s_and_b64 vcc, exec, s[0:1]
	s_cbranch_vccnz .LBB7_257
; %bb.254:
	v_mov_b32_e32 v0, 3
	v_cmp_lt_i16_sdwa s[0:1], v8, v0 src0_sel:BYTE_0 src1_sel:DWORD
	s_and_b64 vcc, exec, s[0:1]
	s_cbranch_vccnz .LBB7_258
; %bb.255:
	v_cmp_gt_i16_sdwa s[0:1], v8, v0 src0_sel:BYTE_0 src1_sel:DWORD
	s_and_b64 vcc, exec, s[0:1]
	s_cbranch_vccz .LBB7_259
; %bb.256:
	global_load_dwordx2 v[0:1], v[6:7], off
	s_mov_b64 s[0:1], 0
	s_waitcnt vmcnt(0)
	v_cvt_f64_i32_e32 v[12:13], v1
	v_cvt_f64_u32_e32 v[0:1], v0
	v_ldexp_f64 v[12:13], v[12:13], 32
	v_add_f64 v[0:1], v[12:13], v[0:1]
	s_branch .LBB7_260
.LBB7_257:
	s_mov_b64 s[0:1], -1
                                        ; implicit-def: $vgpr0_vgpr1
	s_branch .LBB7_266
.LBB7_258:
	s_mov_b64 s[0:1], -1
                                        ; implicit-def: $vgpr0_vgpr1
	s_branch .LBB7_263
.LBB7_259:
	s_mov_b64 s[0:1], -1
                                        ; implicit-def: $vgpr0_vgpr1
.LBB7_260:
	s_andn2_b64 vcc, exec, s[0:1]
	s_cbranch_vccnz .LBB7_262
; %bb.261:
	global_load_dword v0, v[6:7], off
	s_waitcnt vmcnt(0)
	v_cvt_f64_i32_e32 v[0:1], v0
.LBB7_262:
	s_mov_b64 s[0:1], 0
.LBB7_263:
	s_andn2_b64 vcc, exec, s[0:1]
	s_cbranch_vccnz .LBB7_265
; %bb.264:
	global_load_sshort v0, v[6:7], off
	s_waitcnt vmcnt(0)
	v_cvt_f64_i32_e32 v[0:1], v0
.LBB7_265:
	s_mov_b64 s[0:1], 0
.LBB7_266:
	s_andn2_b64 vcc, exec, s[0:1]
	s_cbranch_vccnz .LBB7_272
; %bb.267:
	v_mov_b32_e32 v0, 0
	v_cmp_gt_i16_sdwa s[0:1], v8, v0 src0_sel:BYTE_0 src1_sel:DWORD
	s_and_b64 vcc, exec, s[0:1]
	s_cbranch_vccz .LBB7_269
; %bb.268:
	global_load_sbyte v0, v[6:7], off
	s_mov_b64 s[0:1], 0
	s_waitcnt vmcnt(0)
	v_cvt_f64_i32_e32 v[0:1], v0
	s_branch .LBB7_270
.LBB7_269:
	s_mov_b64 s[0:1], -1
                                        ; implicit-def: $vgpr0_vgpr1
.LBB7_270:
	s_andn2_b64 vcc, exec, s[0:1]
	s_cbranch_vccnz .LBB7_272
; %bb.271:
	global_load_ubyte v0, v[6:7], off
	s_waitcnt vmcnt(0)
	v_cvt_f64_u32_e32 v[0:1], v0
.LBB7_272:
	s_branch .LBB7_21
.LBB7_273:
	s_mov_b64 s[0:1], 0
	s_mov_b64 s[38:39], 0
	s_branch .LBB7_392
.LBB7_274:
	s_mov_b64 s[38:39], -1
.LBB7_275:
	s_mov_b64 s[0:1], 0
                                        ; implicit-def: $vgpr6_vgpr7
.LBB7_276:
	s_and_b64 vcc, exec, s[36:37]
	s_cbranch_vccz .LBB7_282
; %bb.277:
	v_mov_b32_e32 v3, 44
	v_cmp_eq_u16_sdwa s[36:37], v11, v3 src0_sel:BYTE_0 src1_sel:DWORD
	s_and_b64 vcc, exec, s[36:37]
	s_cbranch_vccz .LBB7_281
; %bb.278:
	global_load_ubyte v3, v[4:5], off
	s_movk_i32 s36, 0xff
	v_bfrev_b32_e32 v9, 4
	v_mov_b32_e32 v12, 0x7ff80000
	v_bfrev_b32_e32 v13, 28
	s_mov_b64 s[0:1], -1
	s_mov_b64 s[38:39], 0
	s_waitcnt vmcnt(0)
	v_lshlrev_b32_e32 v6, 23, v3
	v_cvt_f64_f32_e32 v[6:7], v6
	v_cmp_ne_u32_e32 vcc, s36, v3
	v_cndmask_b32_e32 v6, v9, v6, vcc
	v_cndmask_b32_e32 v7, v12, v7, vcc
	v_cmp_ne_u32_e32 vcc, 0, v3
	v_cndmask_b32_e32 v7, v13, v7, vcc
	v_cndmask_b32_e32 v6, 0, v6, vcc
	s_branch .LBB7_282
.LBB7_279:
	s_or_saveexec_b64 s[48:49], s[48:49]
                                        ; implicit-def: $sgpr50
	s_xor_b64 exec, exec, s[48:49]
	s_cbranch_execz .LBB7_115
.LBB7_280:
	s_mov_b32 s50, 0x46000000
	v_add_f32_e64 v3, |v2|, s50
	v_and_b32_e32 v3, 0xff, v3
	v_cmp_ne_u32_e32 vcc, 0, v3
	s_andn2_b64 s[44:45], s[44:45], exec
	s_and_b64 s[52:53], vcc, exec
	s_mov_b32 s50, 0
	s_or_b64 s[44:45], s[44:45], s[52:53]
	s_or_b64 exec, exec, s[48:49]
	v_mov_b32_e32 v6, s50
	s_and_saveexec_b64 s[48:49], s[44:45]
	s_cbranch_execnz .LBB7_116
	s_branch .LBB7_117
.LBB7_281:
	s_mov_b64 s[38:39], -1
                                        ; implicit-def: $vgpr6_vgpr7
.LBB7_282:
	s_mov_b64 s[36:37], 0
.LBB7_283:
	s_and_b64 vcc, exec, s[36:37]
	s_cbranch_vccz .LBB7_287
; %bb.284:
	v_mov_b32_e32 v3, 29
	v_cmp_eq_u16_sdwa s[36:37], v11, v3 src0_sel:BYTE_0 src1_sel:DWORD
	s_and_b64 vcc, exec, s[36:37]
	s_cbranch_vccz .LBB7_286
; %bb.285:
	global_load_dwordx2 v[6:7], v[4:5], off
	s_mov_b64 s[0:1], -1
	s_mov_b64 s[38:39], 0
	s_mov_b64 s[36:37], 0
	s_waitcnt vmcnt(0)
	v_cvt_f64_u32_e32 v[12:13], v7
	v_cvt_f64_u32_e32 v[6:7], v6
	v_ldexp_f64 v[12:13], v[12:13], 32
	v_add_f64 v[6:7], v[12:13], v[6:7]
	s_branch .LBB7_288
.LBB7_286:
	s_mov_b64 s[38:39], -1
                                        ; implicit-def: $vgpr6_vgpr7
.LBB7_287:
	s_mov_b64 s[36:37], 0
.LBB7_288:
	s_and_b64 vcc, exec, s[36:37]
	s_cbranch_vccz .LBB7_306
; %bb.289:
	v_mov_b32_e32 v3, 27
	v_cmp_lt_i16_sdwa s[0:1], v11, v3 src0_sel:BYTE_0 src1_sel:DWORD
	s_and_b64 vcc, exec, s[0:1]
	s_cbranch_vccnz .LBB7_292
; %bb.290:
	v_cmp_gt_i16_sdwa s[0:1], v11, v3 src0_sel:BYTE_0 src1_sel:DWORD
	s_and_b64 vcc, exec, s[0:1]
	s_cbranch_vccz .LBB7_293
; %bb.291:
	global_load_dword v3, v[4:5], off
	s_mov_b64 s[0:1], 0
	s_waitcnt vmcnt(0)
	v_cvt_f64_u32_e32 v[6:7], v3
	s_branch .LBB7_294
.LBB7_292:
	s_mov_b64 s[0:1], -1
                                        ; implicit-def: $vgpr6_vgpr7
	s_branch .LBB7_297
.LBB7_293:
	s_mov_b64 s[0:1], -1
                                        ; implicit-def: $vgpr6_vgpr7
.LBB7_294:
	s_andn2_b64 vcc, exec, s[0:1]
	s_cbranch_vccnz .LBB7_296
; %bb.295:
	global_load_ushort v3, v[4:5], off
	s_waitcnt vmcnt(0)
	v_cvt_f64_u32_e32 v[6:7], v3
.LBB7_296:
	s_mov_b64 s[0:1], 0
.LBB7_297:
	s_andn2_b64 vcc, exec, s[0:1]
	s_cbranch_vccnz .LBB7_305
; %bb.298:
	global_load_ubyte v3, v[4:5], off
	s_movk_i32 s0, 0x7f
                                        ; implicit-def: $sgpr36_sgpr37
	s_waitcnt vmcnt(0)
	v_cmp_lt_i16_e32 vcc, s0, v3
	s_mov_b64 s[0:1], 0
	s_and_saveexec_b64 s[44:45], vcc
	s_xor_b64 s[44:45], exec, s[44:45]
	s_cbranch_execz .LBB7_319
; %bb.299:
	s_movk_i32 s0, 0x80
	v_cmp_eq_u16_e32 vcc, s0, v3
	s_mov_b64 s[48:49], -1
                                        ; implicit-def: $sgpr36_sgpr37
	s_and_saveexec_b64 s[0:1], vcc
; %bb.300:
	s_mov_b32 s37, 0x7ff80000
	s_brev_b32 s36, 4
	s_xor_b64 s[48:49], exec, -1
; %bb.301:
	s_or_b64 exec, exec, s[0:1]
	s_and_b64 s[0:1], s[48:49], exec
	s_or_saveexec_b64 s[44:45], s[44:45]
	v_pk_mov_b32 v[6:7], s[36:37], s[36:37] op_sel:[0,1]
	s_xor_b64 exec, exec, s[44:45]
	s_cbranch_execnz .LBB7_320
.LBB7_302:
	s_or_b64 exec, exec, s[44:45]
	s_and_saveexec_b64 s[36:37], s[0:1]
	s_cbranch_execz .LBB7_304
.LBB7_303:
	v_lshlrev_b32_e32 v6, 24, v3
	v_and_b32_e32 v3, 0xffff, v3
	v_and_b32_e32 v7, 7, v3
	v_ffbh_u32_e32 v12, v7
	v_min_u32_e32 v12, 32, v12
	v_subrev_u32_e32 v13, 28, v12
	v_bfe_u32 v9, v3, 3, 4
	v_lshlrev_b32_e32 v3, v13, v3
	v_sub_u32_e32 v12, 29, v12
	v_and_b32_e32 v3, 7, v3
	v_cmp_eq_u32_e32 vcc, 0, v9
	v_cndmask_b32_e32 v9, v9, v12, vcc
	v_cndmask_b32_e32 v3, v7, v3, vcc
	v_mov_b32_e32 v7, 0x3b800000
	v_lshlrev_b32_e32 v3, 20, v3
	v_and_b32_e32 v6, 0x80000000, v6
	v_lshl_add_u32 v7, v9, 23, v7
	v_or3_b32 v3, v6, v7, v3
	v_cvt_f64_f32_e32 v[6:7], v3
.LBB7_304:
	s_or_b64 exec, exec, s[36:37]
.LBB7_305:
	s_mov_b64 s[0:1], -1
.LBB7_306:
	s_mov_b64 s[36:37], 0
.LBB7_307:
	s_and_b64 vcc, exec, s[36:37]
	s_cbranch_vccz .LBB7_342
; %bb.308:
	v_mov_b32_e32 v3, 22
	v_cmp_gt_i16_sdwa s[36:37], v11, v3 src0_sel:BYTE_0 src1_sel:DWORD
	s_and_b64 vcc, exec, s[36:37]
	s_cbranch_vccz .LBB7_318
; %bb.309:
	v_mov_b32_e32 v3, 24
	v_cmp_lt_i16_sdwa s[0:1], v11, v3 src0_sel:BYTE_0 src1_sel:DWORD
	s_and_b64 vcc, exec, s[0:1]
	s_cbranch_vccnz .LBB7_321
; %bb.310:
	v_cmp_gt_i16_sdwa s[0:1], v11, v3 src0_sel:BYTE_0 src1_sel:DWORD
	s_and_b64 vcc, exec, s[0:1]
	s_cbranch_vccz .LBB7_322
; %bb.311:
	global_load_ubyte v3, v[4:5], off
	s_movk_i32 s0, 0x7f
                                        ; implicit-def: $sgpr36_sgpr37
	s_waitcnt vmcnt(0)
	v_cmp_lt_i16_e32 vcc, s0, v3
	s_mov_b64 s[0:1], 0
	s_and_saveexec_b64 s[44:45], vcc
	s_xor_b64 s[44:45], exec, s[44:45]
	s_cbranch_execz .LBB7_334
; %bb.312:
	s_movk_i32 s0, 0x80
	v_cmp_eq_u16_e32 vcc, s0, v3
	s_mov_b64 s[48:49], -1
                                        ; implicit-def: $sgpr36_sgpr37
	s_and_saveexec_b64 s[0:1], vcc
; %bb.313:
	s_mov_b32 s37, 0x7ff80000
	s_brev_b32 s36, 4
	s_xor_b64 s[48:49], exec, -1
; %bb.314:
	s_or_b64 exec, exec, s[0:1]
	s_and_b64 s[0:1], s[48:49], exec
	s_or_saveexec_b64 s[44:45], s[44:45]
	v_pk_mov_b32 v[6:7], s[36:37], s[36:37] op_sel:[0,1]
	s_xor_b64 exec, exec, s[44:45]
	s_cbranch_execnz .LBB7_335
.LBB7_315:
	s_or_b64 exec, exec, s[44:45]
	s_and_saveexec_b64 s[36:37], s[0:1]
	s_cbranch_execz .LBB7_317
.LBB7_316:
	v_lshlrev_b32_e32 v6, 24, v3
	v_and_b32_e32 v3, 0xffff, v3
	v_and_b32_e32 v7, 3, v3
	v_ffbh_u32_e32 v12, v7
	v_min_u32_e32 v12, 32, v12
	v_subrev_u32_e32 v13, 29, v12
	v_bfe_u32 v9, v3, 2, 5
	v_lshlrev_b32_e32 v3, v13, v3
	v_sub_u32_e32 v12, 30, v12
	v_and_b32_e32 v3, 3, v3
	v_cmp_eq_u32_e32 vcc, 0, v9
	v_cndmask_b32_e32 v9, v9, v12, vcc
	v_cndmask_b32_e32 v3, v7, v3, vcc
	v_mov_b32_e32 v7, 0x37800000
	v_lshlrev_b32_e32 v3, 21, v3
	v_and_b32_e32 v6, 0x80000000, v6
	v_lshl_add_u32 v7, v9, 23, v7
	v_or3_b32 v3, v6, v7, v3
	v_cvt_f64_f32_e32 v[6:7], v3
.LBB7_317:
	s_or_b64 exec, exec, s[36:37]
	s_mov_b64 s[0:1], 0
	s_branch .LBB7_323
.LBB7_318:
	s_mov_b64 s[36:37], -1
                                        ; implicit-def: $vgpr6_vgpr7
	s_branch .LBB7_329
.LBB7_319:
	s_or_saveexec_b64 s[44:45], s[44:45]
	v_pk_mov_b32 v[6:7], s[36:37], s[36:37] op_sel:[0,1]
	s_xor_b64 exec, exec, s[44:45]
	s_cbranch_execz .LBB7_302
.LBB7_320:
	v_cmp_ne_u16_e32 vcc, 0, v3
	s_andn2_b64 s[0:1], s[0:1], exec
	s_and_b64 s[36:37], vcc, exec
	v_pk_mov_b32 v[6:7], 0, 0
	s_or_b64 s[0:1], s[0:1], s[36:37]
	s_or_b64 exec, exec, s[44:45]
	s_and_saveexec_b64 s[36:37], s[0:1]
	s_cbranch_execnz .LBB7_303
	s_branch .LBB7_304
.LBB7_321:
	s_mov_b64 s[0:1], -1
                                        ; implicit-def: $vgpr6_vgpr7
	s_branch .LBB7_326
.LBB7_322:
	s_mov_b64 s[0:1], -1
                                        ; implicit-def: $vgpr6_vgpr7
.LBB7_323:
	s_and_b64 vcc, exec, s[0:1]
	s_cbranch_vccz .LBB7_325
; %bb.324:
	global_load_ubyte v3, v[4:5], off
	s_mov_b32 s0, 0x7f800000
	s_waitcnt vmcnt(0)
	v_lshlrev_b32_e32 v3, 24, v3
	v_and_b32_e32 v6, 0x7f000000, v3
	v_ffbh_u32_e32 v7, v6
	v_min_u32_e32 v7, 32, v7
	v_sub_u32_e64 v7, v7, 4 clamp
	v_lshlrev_b32_e32 v12, v7, v6
	v_lshlrev_b32_e32 v7, 23, v7
	v_lshrrev_b32_e32 v12, 4, v12
	v_add_u32_e32 v9, 0x1000000, v6
	v_sub_u32_e32 v7, v12, v7
	v_ashrrev_i32_e32 v9, 8, v9
	v_add_u32_e32 v7, 0x3c000000, v7
	v_and_or_b32 v7, v9, s0, v7
	v_cmp_ne_u32_e32 vcc, 0, v6
	v_cndmask_b32_e32 v6, 0, v7, vcc
	s_brev_b32 s0, 1
	v_and_or_b32 v3, v3, s0, v6
	v_cvt_f64_f32_e32 v[6:7], v3
.LBB7_325:
	s_mov_b64 s[0:1], 0
.LBB7_326:
	s_andn2_b64 vcc, exec, s[0:1]
	s_cbranch_vccnz .LBB7_328
; %bb.327:
	global_load_ubyte v3, v[4:5], off
	s_movk_i32 s0, 0x7f00
	s_brev_b32 s1, 16
	s_waitcnt vmcnt(0)
	v_lshlrev_b16_e32 v6, 8, v3
	v_lshlrev_b32_e32 v3, 25, v3
	v_lshrrev_b32_e32 v7, 4, v3
	v_and_or_b32 v9, v6, s0, 0.5
	v_or_b32_e32 v7, 0x70000000, v7
	v_add_f32_e32 v9, -0.5, v9
	v_mul_f32_e32 v7, 0x7800000, v7
	v_cmp_gt_u32_e32 vcc, s1, v3
	v_bfe_i32 v6, v6, 0, 16
	v_cndmask_b32_e32 v3, v7, v9, vcc
	s_brev_b32 s0, 1
	v_and_or_b32 v3, v6, s0, v3
	v_cvt_f64_f32_e32 v[6:7], v3
.LBB7_328:
	s_mov_b64 s[36:37], 0
	s_mov_b64 s[0:1], -1
.LBB7_329:
	s_andn2_b64 vcc, exec, s[36:37]
	s_cbranch_vccnz .LBB7_342
; %bb.330:
	v_mov_b32_e32 v3, 14
	v_cmp_gt_i16_sdwa s[36:37], v11, v3 src0_sel:BYTE_0 src1_sel:DWORD
	s_and_b64 vcc, exec, s[36:37]
	s_cbranch_vccz .LBB7_333
; %bb.331:
	v_mov_b32_e32 v3, 15
	v_cmp_eq_u16_sdwa s[36:37], v11, v3 src0_sel:BYTE_0 src1_sel:DWORD
	s_and_b64 vcc, exec, s[36:37]
	s_cbranch_vccz .LBB7_336
; %bb.332:
	global_load_ushort v3, v[4:5], off
	s_mov_b64 s[0:1], -1
	s_mov_b64 s[38:39], 0
	s_waitcnt vmcnt(0)
	v_lshlrev_b32_e32 v3, 16, v3
	v_cvt_f64_f32_e32 v[6:7], v3
	s_branch .LBB7_337
.LBB7_333:
	s_mov_b64 s[36:37], -1
                                        ; implicit-def: $vgpr6_vgpr7
	s_branch .LBB7_338
.LBB7_334:
	s_or_saveexec_b64 s[44:45], s[44:45]
	v_pk_mov_b32 v[6:7], s[36:37], s[36:37] op_sel:[0,1]
	s_xor_b64 exec, exec, s[44:45]
	s_cbranch_execz .LBB7_315
.LBB7_335:
	v_cmp_ne_u16_e32 vcc, 0, v3
	s_andn2_b64 s[0:1], s[0:1], exec
	s_and_b64 s[36:37], vcc, exec
	v_pk_mov_b32 v[6:7], 0, 0
	s_or_b64 s[0:1], s[0:1], s[36:37]
	s_or_b64 exec, exec, s[44:45]
	s_and_saveexec_b64 s[36:37], s[0:1]
	s_cbranch_execnz .LBB7_316
	s_branch .LBB7_317
.LBB7_336:
	s_mov_b64 s[38:39], -1
                                        ; implicit-def: $vgpr6_vgpr7
.LBB7_337:
	s_mov_b64 s[36:37], 0
.LBB7_338:
	s_and_b64 vcc, exec, s[36:37]
	s_cbranch_vccz .LBB7_342
; %bb.339:
	v_mov_b32_e32 v3, 11
	v_cmp_eq_u16_sdwa s[36:37], v11, v3 src0_sel:BYTE_0 src1_sel:DWORD
	s_and_b64 vcc, exec, s[36:37]
	s_cbranch_vccz .LBB7_341
; %bb.340:
	global_load_ubyte v3, v[4:5], off
	v_mov_b32_e32 v7, 0x3ff00000
	v_mov_b32_e32 v6, 0
	s_mov_b64 s[0:1], -1
	s_mov_b64 s[38:39], 0
	s_waitcnt vmcnt(0)
	v_cmp_ne_u16_e32 vcc, 0, v3
	v_cndmask_b32_e32 v7, 0, v7, vcc
	s_branch .LBB7_342
.LBB7_341:
	s_mov_b64 s[38:39], -1
                                        ; implicit-def: $vgpr6_vgpr7
.LBB7_342:
	s_branch .LBB7_30
.LBB7_343:
	v_mov_b32_e32 v3, 5
	v_cmp_lt_i16_sdwa s[0:1], v11, v3 src0_sel:BYTE_0 src1_sel:DWORD
	s_and_b64 vcc, exec, s[0:1]
	s_cbranch_vccnz .LBB7_348
; %bb.344:
	v_mov_b32_e32 v3, 8
	v_cmp_lt_i16_sdwa s[0:1], v11, v3 src0_sel:BYTE_0 src1_sel:DWORD
	s_and_b64 vcc, exec, s[0:1]
	s_cbranch_vccnz .LBB7_349
; %bb.345:
	;; [unrolled: 5-line block ×3, first 2 shown]
	v_cmp_gt_i16_sdwa s[0:1], v11, v3 src0_sel:BYTE_0 src1_sel:DWORD
	s_and_b64 vcc, exec, s[0:1]
	s_cbranch_vccz .LBB7_351
; %bb.347:
	global_load_dwordx2 v[6:7], v[4:5], off
	s_mov_b64 s[0:1], 0
	s_branch .LBB7_352
.LBB7_348:
	s_mov_b64 s[0:1], -1
                                        ; implicit-def: $vgpr6_vgpr7
	s_branch .LBB7_370
.LBB7_349:
	s_mov_b64 s[0:1], -1
                                        ; implicit-def: $vgpr6_vgpr7
	s_branch .LBB7_358
.LBB7_350:
	s_mov_b64 s[0:1], -1
                                        ; implicit-def: $vgpr6_vgpr7
	s_branch .LBB7_355
.LBB7_351:
	s_mov_b64 s[0:1], -1
                                        ; implicit-def: $vgpr6_vgpr7
.LBB7_352:
	s_andn2_b64 vcc, exec, s[0:1]
	s_cbranch_vccnz .LBB7_354
; %bb.353:
	global_load_dword v3, v[4:5], off
	s_waitcnt vmcnt(0)
	v_cvt_f64_f32_e32 v[6:7], v3
.LBB7_354:
	s_mov_b64 s[0:1], 0
.LBB7_355:
	s_andn2_b64 vcc, exec, s[0:1]
	s_cbranch_vccnz .LBB7_357
; %bb.356:
	global_load_dword v3, v[4:5], off
	s_waitcnt vmcnt(0)
	v_cvt_f32_f16_e32 v3, v3
	v_cvt_f64_f32_e32 v[6:7], v3
.LBB7_357:
	s_mov_b64 s[0:1], 0
.LBB7_358:
	s_andn2_b64 vcc, exec, s[0:1]
	s_cbranch_vccnz .LBB7_369
; %bb.359:
	v_mov_b32_e32 v3, 6
	v_cmp_lt_i16_sdwa s[0:1], v11, v3 src0_sel:BYTE_0 src1_sel:DWORD
	s_and_b64 vcc, exec, s[0:1]
	s_cbranch_vccnz .LBB7_362
; %bb.360:
	v_cmp_gt_i16_sdwa s[0:1], v11, v3 src0_sel:BYTE_0 src1_sel:DWORD
	s_and_b64 vcc, exec, s[0:1]
	s_cbranch_vccz .LBB7_363
; %bb.361:
	global_load_dwordx2 v[6:7], v[4:5], off
	s_mov_b64 s[0:1], 0
	s_branch .LBB7_364
.LBB7_362:
	s_mov_b64 s[0:1], -1
                                        ; implicit-def: $vgpr6_vgpr7
	s_branch .LBB7_367
.LBB7_363:
	s_mov_b64 s[0:1], -1
                                        ; implicit-def: $vgpr6_vgpr7
.LBB7_364:
	s_andn2_b64 vcc, exec, s[0:1]
	s_cbranch_vccnz .LBB7_366
; %bb.365:
	global_load_dword v3, v[4:5], off
	s_waitcnt vmcnt(0)
	v_cvt_f64_f32_e32 v[6:7], v3
.LBB7_366:
	s_mov_b64 s[0:1], 0
.LBB7_367:
	s_andn2_b64 vcc, exec, s[0:1]
	s_cbranch_vccnz .LBB7_369
; %bb.368:
	global_load_ushort v3, v[4:5], off
	s_waitcnt vmcnt(0)
	v_cvt_f32_f16_e32 v3, v3
	v_cvt_f64_f32_e32 v[6:7], v3
.LBB7_369:
	s_mov_b64 s[0:1], 0
.LBB7_370:
	s_andn2_b64 vcc, exec, s[0:1]
	s_cbranch_vccnz .LBB7_390
; %bb.371:
	v_mov_b32_e32 v3, 2
	v_cmp_lt_i16_sdwa s[0:1], v11, v3 src0_sel:BYTE_0 src1_sel:DWORD
	s_and_b64 vcc, exec, s[0:1]
	s_cbranch_vccnz .LBB7_375
; %bb.372:
	v_mov_b32_e32 v3, 3
	v_cmp_lt_i16_sdwa s[0:1], v11, v3 src0_sel:BYTE_0 src1_sel:DWORD
	s_and_b64 vcc, exec, s[0:1]
	s_cbranch_vccnz .LBB7_376
; %bb.373:
	v_cmp_gt_i16_sdwa s[0:1], v11, v3 src0_sel:BYTE_0 src1_sel:DWORD
	s_and_b64 vcc, exec, s[0:1]
	s_cbranch_vccz .LBB7_377
; %bb.374:
	global_load_dwordx2 v[6:7], v[4:5], off
	s_mov_b64 s[0:1], 0
	s_waitcnt vmcnt(0)
	v_cvt_f64_i32_e32 v[12:13], v7
	v_cvt_f64_u32_e32 v[6:7], v6
	v_ldexp_f64 v[12:13], v[12:13], 32
	v_add_f64 v[6:7], v[12:13], v[6:7]
	s_branch .LBB7_378
.LBB7_375:
	s_mov_b64 s[0:1], -1
                                        ; implicit-def: $vgpr6_vgpr7
	s_branch .LBB7_384
.LBB7_376:
	s_mov_b64 s[0:1], -1
                                        ; implicit-def: $vgpr6_vgpr7
	s_branch .LBB7_381
.LBB7_377:
	s_mov_b64 s[0:1], -1
                                        ; implicit-def: $vgpr6_vgpr7
.LBB7_378:
	s_andn2_b64 vcc, exec, s[0:1]
	s_cbranch_vccnz .LBB7_380
; %bb.379:
	global_load_dword v3, v[4:5], off
	s_waitcnt vmcnt(0)
	v_cvt_f64_i32_e32 v[6:7], v3
.LBB7_380:
	s_mov_b64 s[0:1], 0
.LBB7_381:
	s_andn2_b64 vcc, exec, s[0:1]
	s_cbranch_vccnz .LBB7_383
; %bb.382:
	global_load_sshort v3, v[4:5], off
	s_waitcnt vmcnt(0)
	v_cvt_f64_i32_e32 v[6:7], v3
.LBB7_383:
	s_mov_b64 s[0:1], 0
.LBB7_384:
	s_andn2_b64 vcc, exec, s[0:1]
	s_cbranch_vccnz .LBB7_390
; %bb.385:
	v_mov_b32_e32 v3, 0
	v_cmp_gt_i16_sdwa s[0:1], v11, v3 src0_sel:BYTE_0 src1_sel:DWORD
	s_and_b64 vcc, exec, s[0:1]
	s_cbranch_vccz .LBB7_387
; %bb.386:
	global_load_sbyte v3, v[4:5], off
	s_mov_b64 s[0:1], 0
	s_waitcnt vmcnt(0)
	v_cvt_f64_i32_e32 v[6:7], v3
	s_branch .LBB7_388
.LBB7_387:
	s_mov_b64 s[0:1], -1
                                        ; implicit-def: $vgpr6_vgpr7
.LBB7_388:
	s_andn2_b64 vcc, exec, s[0:1]
	s_cbranch_vccnz .LBB7_390
; %bb.389:
	global_load_ubyte v3, v[4:5], off
	s_waitcnt vmcnt(0)
	v_cvt_f64_u32_e32 v[6:7], v3
.LBB7_390:
	s_branch .LBB7_31
.LBB7_391:
	s_mov_b64 s[0:1], 0
.LBB7_392:
                                        ; implicit-def: $vgpr16
	s_mov_b64 s[44:45], 0
.LBB7_393:
	s_and_b64 s[36:37], s[0:1], exec
	s_and_b64 s[38:39], s[38:39], exec
	;; [unrolled: 1-line block ×3, first 2 shown]
	s_orn2_b64 s[0:1], s[44:45], exec
.LBB7_394:
	s_or_b64 exec, exec, s[42:43]
	s_mov_b64 s[50:51], 0
	s_mov_b64 s[48:49], 0
                                        ; implicit-def: $vgpr1
                                        ; implicit-def: $vgpr6_vgpr7
                                        ; implicit-def: $vgpr0
                                        ; implicit-def: $vgpr2
                                        ; implicit-def: $vgpr4_vgpr5
	s_and_saveexec_b64 s[42:43], s[0:1]
	s_cbranch_execz .LBB7_403
; %bb.395:
	v_cmp_gt_i32_e32 vcc, s66, v16
	s_mov_b64 s[0:1], -1
	s_mov_b64 s[44:45], s[40:41]
	s_mov_b64 s[46:47], s[38:39]
	;; [unrolled: 1-line block ×3, first 2 shown]
	s_and_saveexec_b64 s[50:51], vcc
	s_cbranch_execz .LBB7_792
; %bb.396:
	s_andn2_b64 vcc, exec, s[20:21]
	s_cbranch_vccnz .LBB7_406
; %bb.397:
	s_andn2_b64 vcc, exec, s[34:35]
	v_mov_b32_e32 v4, 0
	s_waitcnt vmcnt(0)
	v_mov_b32_e32 v0, 0
	v_mov_b32_e32 v2, 0
	s_cbranch_vccnz .LBB7_402
; %bb.398:
	s_add_i32 s0, s69, 1
	s_and_b32 s44, s0, 30
	s_add_u32 s0, s2, 0xffffffec
	s_addc_u32 s1, s3, -1
	v_mov_b32_e32 v2, 0
	v_mov_b32_e32 v1, v16
	;; [unrolled: 1-line block ×4, first 2 shown]
.LBB7_399:                              ; =>This Inner Loop Header: Depth=1
	s_mov_b64 s[46:47], s[0:1]
	s_load_dwordx4 s[52:55], s[46:47], 0x18
	s_load_dwordx2 s[48:49], s[46:47], 0x28
	s_load_dwordx2 s[60:61], s[46:47], 0xe8
	s_load_dwordx4 s[56:59], s[46:47], 0xd8
	s_add_u32 s0, s46, 24
	s_waitcnt lgkmcnt(0)
	v_mul_hi_u32 v3, s53, v1
	v_add_u32_e32 v3, v1, v3
	v_lshrrev_b32_e32 v3, s54, v3
	v_mul_lo_u32 v5, v3, s52
	v_mul_hi_u32 v6, s48, v3
	v_sub_u32_e32 v1, v1, v5
	v_add_u32_e32 v5, v3, v6
	v_mul_lo_u32 v6, v1, s56
	v_mul_lo_u32 v7, v1, s57
	;; [unrolled: 1-line block ×3, first 2 shown]
	v_lshrrev_b32_e32 v1, s49, v5
	v_mul_lo_u32 v5, v1, s55
	v_sub_u32_e32 v3, v3, v5
	s_addc_u32 s1, s47, 0
	s_add_i32 s44, s44, -2
	v_mul_lo_u32 v5, v3, s59
	v_mul_lo_u32 v12, v3, s60
	;; [unrolled: 1-line block ×3, first 2 shown]
	s_cmp_eq_u32 s44, 0
	v_add3_u32 v2, v6, v2, v5
	v_add3_u32 v4, v9, v4, v3
	;; [unrolled: 1-line block ×3, first 2 shown]
	s_cbranch_scc0 .LBB7_399
; %bb.400:
	s_bitcmp1_b32 s69, 0
	s_cselect_b64 s[44:45], -1, 0
	s_and_b64 vcc, exec, s[44:45]
	s_cbranch_vccnz .LBB7_402
; %bb.401:
	s_load_dwordx2 s[44:45], s[0:1], 0x18
	s_load_dword s46, s[0:1], 0x20
	s_load_dword s47, s[0:1], 0xe0
	s_nop 0
	s_load_dwordx2 s[0:1], s[0:1], 0xd8
	s_waitcnt lgkmcnt(0)
	v_mul_hi_u32 v3, s45, v1
	v_add_u32_e32 v3, v1, v3
	v_lshrrev_b32_e32 v3, s46, v3
	v_mul_lo_u32 v3, v3, s44
	v_sub_u32_e32 v5, v1, v3
	v_mad_u64_u32 v[2:3], s[44:45], v5, s0, v[2:3]
	v_mad_u64_u32 v[0:1], s[0:1], v5, s1, v[0:1]
	;; [unrolled: 1-line block ×3, first 2 shown]
.LBB7_402:
	s_cbranch_execz .LBB7_407
	s_branch .LBB7_409
.LBB7_403:
	s_or_b64 exec, exec, s[42:43]
	s_waitcnt lgkmcnt(0)
	s_mov_b64 s[10:11], 0
	s_and_saveexec_b64 s[0:1], s[40:41]
	s_cbranch_execnz .LBB7_1286
.LBB7_404:
	s_or_b64 exec, exec, s[0:1]
	s_and_saveexec_b64 s[0:1], s[46:47]
	s_xor_b64 s[0:1], exec, s[0:1]
	s_cbranch_execz .LBB7_1287
.LBB7_405:
	s_waitcnt vmcnt(0)
	global_load_ubyte v3, v[6:7], off
	v_mov_b32_e32 v5, 0x3ff00000
	v_mov_b32_e32 v4, 0
	s_or_b64 s[48:49], s[48:49], exec
	s_waitcnt vmcnt(0)
	v_cmp_ne_u16_e32 vcc, 0, v3
	v_cndmask_b32_e32 v5, 0, v5, vcc
	s_or_b64 exec, exec, s[0:1]
	s_and_saveexec_b64 s[0:1], s[50:51]
	s_cbranch_execz .LBB7_1333
	s_branch .LBB7_1288
.LBB7_406:
                                        ; implicit-def: $vgpr4
                                        ; implicit-def: $vgpr0
                                        ; implicit-def: $vgpr2
	s_andn2_b64 vcc, exec, s[0:1]
	s_cbranch_vccnz .LBB7_409
.LBB7_407:
	s_waitcnt vmcnt(0) lgkmcnt(0)
	v_mul_hi_u32 v0, s17, v16
	v_add_u32_e32 v0, v16, v0
	v_lshrrev_b32_e32 v1, s18, v0
	v_mul_lo_u32 v0, v1, s16
	v_sub_u32_e32 v0, v16, v0
	v_mul_lo_u32 v2, v0, s12
	v_mul_lo_u32 v4, v0, s14
	s_andn2_b64 vcc, exec, s[30:31]
	v_mul_lo_u32 v0, v0, s13
	s_cbranch_vccnz .LBB7_409
; %bb.408:
	v_mul_hi_u32 v3, s28, v1
	v_add_u32_e32 v3, v1, v3
	v_lshrrev_b32_e32 v3, s29, v3
	v_mul_lo_u32 v3, v3, s19
	v_sub_u32_e32 v5, v1, v3
	v_mad_u64_u32 v[2:3], s[0:1], v5, s15, v[2:3]
	v_mad_u64_u32 v[0:1], s[0:1], v5, s26, v[0:1]
	;; [unrolled: 1-line block ×3, first 2 shown]
.LBB7_409:
	s_waitcnt vmcnt(0) lgkmcnt(0)
	v_mov_b32_e32 v1, s11
	v_add_co_u32_e32 v6, vcc, s10, v0
	v_mov_b32_e32 v0, 11
	v_addc_co_u32_e32 v7, vcc, 0, v1, vcc
	v_cmp_lt_i16_sdwa s[0:1], v8, v0 src0_sel:BYTE_0 src1_sel:DWORD
	s_and_b64 vcc, exec, s[0:1]
	s_cbranch_vccnz .LBB7_416
; %bb.410:
	v_mov_b32_e32 v0, 25
	v_cmp_gt_i16_sdwa s[0:1], v8, v0 src0_sel:BYTE_0 src1_sel:DWORD
	s_and_b64 vcc, exec, s[0:1]
	s_cbranch_vccz .LBB7_425
; %bb.411:
	v_mov_b32_e32 v0, 28
	v_cmp_gt_i16_sdwa s[0:1], v8, v0 src0_sel:BYTE_0 src1_sel:DWORD
	s_and_b64 vcc, exec, s[0:1]
	s_cbranch_vccz .LBB7_427
	;; [unrolled: 5-line block ×4, first 2 shown]
; %bb.414:
	v_mov_b32_e32 v0, 46
	v_cmp_eq_u16_sdwa s[0:1], v8, v0 src0_sel:BYTE_0 src1_sel:DWORD
	s_mov_b64 s[46:47], 0
	s_and_b64 vcc, exec, s[0:1]
	s_cbranch_vccz .LBB7_433
; %bb.415:
	global_load_dword v0, v[6:7], off
	s_mov_b64 s[0:1], -1
	s_mov_b64 s[44:45], 0
	s_waitcnt vmcnt(0)
	v_lshlrev_b32_e32 v0, 16, v0
	v_cvt_f64_f32_e32 v[0:1], v0
	s_branch .LBB7_434
.LBB7_416:
	s_mov_b64 s[0:1], 0
                                        ; implicit-def: $vgpr0_vgpr1
	s_mov_b64 s[44:45], s[40:41]
	s_cbranch_execnz .LBB7_500
.LBB7_417:
	s_andn2_b64 vcc, exec, s[0:1]
	s_cbranch_vccnz .LBB7_548
.LBB7_418:
	v_mov_b32_e32 v3, s25
	v_add_co_u32_e32 v4, vcc, s24, v4
	v_addc_co_u32_e32 v5, vcc, 0, v3, vcc
	v_mov_b32_e32 v3, 11
	v_cmp_lt_i16_sdwa s[0:1], v11, v3 src0_sel:BYTE_0 src1_sel:DWORD
	s_and_b64 vcc, exec, s[0:1]
	s_cbranch_vccnz .LBB7_426
; %bb.419:
	v_mov_b32_e32 v3, 25
	v_cmp_gt_i16_sdwa s[0:1], v11, v3 src0_sel:BYTE_0 src1_sel:DWORD
	s_and_b64 vcc, exec, s[0:1]
	s_cbranch_vccz .LBB7_428
; %bb.420:
	v_mov_b32_e32 v3, 28
	v_cmp_gt_i16_sdwa s[0:1], v11, v3 src0_sel:BYTE_0 src1_sel:DWORD
	s_and_b64 vcc, exec, s[0:1]
	s_cbranch_vccz .LBB7_430
	;; [unrolled: 5-line block ×4, first 2 shown]
; %bb.423:
	v_mov_b32_e32 v3, 46
	v_cmp_eq_u16_sdwa s[0:1], v11, v3 src0_sel:BYTE_0 src1_sel:DWORD
	s_mov_b64 s[48:49], 0
	s_and_b64 vcc, exec, s[0:1]
	s_cbranch_vccz .LBB7_552
; %bb.424:
	global_load_dword v3, v[4:5], off
	s_mov_b64 s[0:1], -1
	s_mov_b64 s[46:47], 0
	s_waitcnt vmcnt(0)
	v_lshlrev_b32_e32 v3, 16, v3
	v_cvt_f64_f32_e32 v[6:7], v3
	s_branch .LBB7_553
.LBB7_425:
	s_mov_b64 s[46:47], -1
	s_mov_b64 s[0:1], 0
	s_mov_b64 s[44:45], s[40:41]
                                        ; implicit-def: $vgpr0_vgpr1
	s_branch .LBB7_464
.LBB7_426:
	s_mov_b64 s[48:49], -1
	s_mov_b64 s[0:1], 0
                                        ; implicit-def: $vgpr6_vgpr7
	s_mov_b64 s[46:47], s[38:39]
	s_branch .LBB7_618
.LBB7_427:
	s_mov_b64 s[46:47], -1
	s_mov_b64 s[0:1], 0
	s_mov_b64 s[44:45], s[40:41]
                                        ; implicit-def: $vgpr0_vgpr1
	s_branch .LBB7_445
.LBB7_428:
	s_mov_b64 s[48:49], -1
	s_mov_b64 s[0:1], 0
	s_mov_b64 s[46:47], s[38:39]
                                        ; implicit-def: $vgpr6_vgpr7
	s_branch .LBB7_582
.LBB7_429:
	s_mov_b64 s[46:47], -1
	s_mov_b64 s[0:1], 0
	s_mov_b64 s[44:45], s[40:41]
                                        ; implicit-def: $vgpr0_vgpr1
	s_branch .LBB7_440
.LBB7_430:
	s_mov_b64 s[48:49], -1
	s_mov_b64 s[0:1], 0
	s_mov_b64 s[46:47], s[38:39]
                                        ; implicit-def: $vgpr6_vgpr7
	s_branch .LBB7_563
.LBB7_431:
	s_mov_b64 s[46:47], -1
	s_mov_b64 s[0:1], 0
	s_mov_b64 s[44:45], s[40:41]
                                        ; implicit-def: $vgpr0_vgpr1
	s_branch .LBB7_434
.LBB7_432:
	s_mov_b64 s[48:49], -1
	s_mov_b64 s[0:1], 0
	s_mov_b64 s[46:47], s[38:39]
                                        ; implicit-def: $vgpr6_vgpr7
	s_branch .LBB7_558
.LBB7_433:
	s_mov_b64 s[44:45], -1
                                        ; implicit-def: $vgpr0_vgpr1
	s_mov_b64 s[0:1], 0
.LBB7_434:
	s_and_b64 vcc, exec, s[46:47]
	s_cbranch_vccz .LBB7_439
; %bb.435:
	v_mov_b32_e32 v0, 44
	v_cmp_eq_u16_sdwa s[44:45], v8, v0 src0_sel:BYTE_0 src1_sel:DWORD
	s_and_b64 vcc, exec, s[44:45]
	s_cbranch_vccz .LBB7_438
; %bb.436:
	global_load_ubyte v3, v[6:7], off
	s_movk_i32 s44, 0xff
	v_bfrev_b32_e32 v5, 4
	v_mov_b32_e32 v9, 0x7ff80000
	v_bfrev_b32_e32 v12, 28
	s_mov_b64 s[0:1], -1
	s_waitcnt vmcnt(0)
	v_lshlrev_b32_e32 v0, 23, v3
	v_cvt_f64_f32_e32 v[0:1], v0
	v_cmp_ne_u32_e32 vcc, s44, v3
	v_cndmask_b32_e32 v0, v5, v0, vcc
	v_cndmask_b32_e32 v1, v9, v1, vcc
	v_cmp_ne_u32_e32 vcc, 0, v3
	v_cndmask_b32_e32 v1, v12, v1, vcc
	v_cndmask_b32_e32 v0, 0, v0, vcc
	s_mov_b64 s[44:45], 0
	s_branch .LBB7_439
.LBB7_437:
	s_mov_b64 s[48:49], -1
	s_mov_b64 s[0:1], 0
	s_mov_b64 s[46:47], s[38:39]
                                        ; implicit-def: $vgpr6_vgpr7
	s_branch .LBB7_553
.LBB7_438:
	s_mov_b64 s[44:45], -1
                                        ; implicit-def: $vgpr0_vgpr1
.LBB7_439:
	s_mov_b64 s[46:47], 0
.LBB7_440:
	s_and_b64 vcc, exec, s[46:47]
	s_cbranch_vccz .LBB7_444
; %bb.441:
	v_mov_b32_e32 v0, 29
	v_cmp_eq_u16_sdwa s[44:45], v8, v0 src0_sel:BYTE_0 src1_sel:DWORD
	s_and_b64 vcc, exec, s[44:45]
	s_cbranch_vccz .LBB7_443
; %bb.442:
	global_load_dwordx2 v[0:1], v[6:7], off
	s_mov_b64 s[0:1], -1
	s_mov_b64 s[44:45], 0
	s_mov_b64 s[46:47], 0
	s_waitcnt vmcnt(0)
	v_cvt_f64_u32_e32 v[12:13], v1
	v_cvt_f64_u32_e32 v[0:1], v0
	v_ldexp_f64 v[12:13], v[12:13], 32
	v_add_f64 v[0:1], v[12:13], v[0:1]
	s_branch .LBB7_445
.LBB7_443:
	s_mov_b64 s[44:45], -1
                                        ; implicit-def: $vgpr0_vgpr1
.LBB7_444:
	s_mov_b64 s[46:47], 0
.LBB7_445:
	s_and_b64 vcc, exec, s[46:47]
	s_cbranch_vccz .LBB7_463
; %bb.446:
	v_mov_b32_e32 v0, 27
	v_cmp_lt_i16_sdwa s[0:1], v8, v0 src0_sel:BYTE_0 src1_sel:DWORD
	s_and_b64 vcc, exec, s[0:1]
	s_cbranch_vccnz .LBB7_449
; %bb.447:
	v_cmp_gt_i16_sdwa s[0:1], v8, v0 src0_sel:BYTE_0 src1_sel:DWORD
	s_and_b64 vcc, exec, s[0:1]
	s_cbranch_vccz .LBB7_450
; %bb.448:
	global_load_dword v0, v[6:7], off
	s_mov_b64 s[0:1], 0
	s_waitcnt vmcnt(0)
	v_cvt_f64_u32_e32 v[0:1], v0
	s_branch .LBB7_451
.LBB7_449:
	s_mov_b64 s[0:1], -1
                                        ; implicit-def: $vgpr0_vgpr1
	s_branch .LBB7_454
.LBB7_450:
	s_mov_b64 s[0:1], -1
                                        ; implicit-def: $vgpr0_vgpr1
.LBB7_451:
	s_andn2_b64 vcc, exec, s[0:1]
	s_cbranch_vccnz .LBB7_453
; %bb.452:
	global_load_ushort v0, v[6:7], off
	s_waitcnt vmcnt(0)
	v_cvt_f64_u32_e32 v[0:1], v0
.LBB7_453:
	s_mov_b64 s[0:1], 0
.LBB7_454:
	s_andn2_b64 vcc, exec, s[0:1]
	s_cbranch_vccnz .LBB7_462
; %bb.455:
	global_load_ubyte v3, v[6:7], off
	s_movk_i32 s0, 0x7f
                                        ; implicit-def: $sgpr46_sgpr47
	s_waitcnt vmcnt(0)
	v_cmp_lt_i16_e32 vcc, s0, v3
	s_mov_b64 s[0:1], 0
	s_and_saveexec_b64 s[48:49], vcc
	s_xor_b64 s[48:49], exec, s[48:49]
	s_cbranch_execz .LBB7_476
; %bb.456:
	s_movk_i32 s0, 0x80
	v_cmp_eq_u16_e32 vcc, s0, v3
	s_mov_b64 s[52:53], -1
                                        ; implicit-def: $sgpr46_sgpr47
	s_and_saveexec_b64 s[0:1], vcc
; %bb.457:
	s_mov_b32 s47, 0x7ff80000
	s_brev_b32 s46, 4
	s_xor_b64 s[52:53], exec, -1
; %bb.458:
	s_or_b64 exec, exec, s[0:1]
	s_and_b64 s[0:1], s[52:53], exec
	s_or_saveexec_b64 s[48:49], s[48:49]
	v_pk_mov_b32 v[0:1], s[46:47], s[46:47] op_sel:[0,1]
	s_xor_b64 exec, exec, s[48:49]
	s_cbranch_execnz .LBB7_477
.LBB7_459:
	s_or_b64 exec, exec, s[48:49]
	s_and_saveexec_b64 s[46:47], s[0:1]
	s_cbranch_execz .LBB7_461
.LBB7_460:
	v_and_b32_e32 v1, 0xffff, v3
	v_lshlrev_b32_e32 v0, 24, v3
	v_and_b32_e32 v3, 7, v1
	v_ffbh_u32_e32 v9, v3
	v_min_u32_e32 v9, 32, v9
	v_subrev_u32_e32 v12, 28, v9
	v_bfe_u32 v5, v1, 3, 4
	v_lshlrev_b32_e32 v1, v12, v1
	v_sub_u32_e32 v9, 29, v9
	v_and_b32_e32 v1, 7, v1
	v_cmp_eq_u32_e32 vcc, 0, v5
	v_cndmask_b32_e32 v5, v5, v9, vcc
	v_cndmask_b32_e32 v1, v3, v1, vcc
	v_mov_b32_e32 v3, 0x3b800000
	v_lshlrev_b32_e32 v1, 20, v1
	v_and_b32_e32 v0, 0x80000000, v0
	v_lshl_add_u32 v3, v5, 23, v3
	v_or3_b32 v0, v0, v3, v1
	v_cvt_f64_f32_e32 v[0:1], v0
.LBB7_461:
	s_or_b64 exec, exec, s[46:47]
.LBB7_462:
	s_mov_b64 s[0:1], -1
.LBB7_463:
	s_mov_b64 s[46:47], 0
.LBB7_464:
	s_and_b64 vcc, exec, s[46:47]
	s_cbranch_vccz .LBB7_499
; %bb.465:
	v_mov_b32_e32 v0, 22
	v_cmp_gt_i16_sdwa s[46:47], v8, v0 src0_sel:BYTE_0 src1_sel:DWORD
	s_and_b64 vcc, exec, s[46:47]
	s_cbranch_vccz .LBB7_475
; %bb.466:
	v_mov_b32_e32 v0, 24
	v_cmp_lt_i16_sdwa s[0:1], v8, v0 src0_sel:BYTE_0 src1_sel:DWORD
	s_and_b64 vcc, exec, s[0:1]
	s_cbranch_vccnz .LBB7_478
; %bb.467:
	v_cmp_gt_i16_sdwa s[0:1], v8, v0 src0_sel:BYTE_0 src1_sel:DWORD
	s_and_b64 vcc, exec, s[0:1]
	s_cbranch_vccz .LBB7_479
; %bb.468:
	global_load_ubyte v3, v[6:7], off
	s_movk_i32 s0, 0x7f
                                        ; implicit-def: $sgpr46_sgpr47
	s_waitcnt vmcnt(0)
	v_cmp_lt_i16_e32 vcc, s0, v3
	s_mov_b64 s[0:1], 0
	s_and_saveexec_b64 s[48:49], vcc
	s_xor_b64 s[48:49], exec, s[48:49]
	s_cbranch_execz .LBB7_491
; %bb.469:
	s_movk_i32 s0, 0x80
	v_cmp_eq_u16_e32 vcc, s0, v3
	s_mov_b64 s[52:53], -1
                                        ; implicit-def: $sgpr46_sgpr47
	s_and_saveexec_b64 s[0:1], vcc
; %bb.470:
	s_mov_b32 s47, 0x7ff80000
	s_brev_b32 s46, 4
	s_xor_b64 s[52:53], exec, -1
; %bb.471:
	s_or_b64 exec, exec, s[0:1]
	s_and_b64 s[0:1], s[52:53], exec
	s_or_saveexec_b64 s[48:49], s[48:49]
	v_pk_mov_b32 v[0:1], s[46:47], s[46:47] op_sel:[0,1]
	s_xor_b64 exec, exec, s[48:49]
	s_cbranch_execnz .LBB7_492
.LBB7_472:
	s_or_b64 exec, exec, s[48:49]
	s_and_saveexec_b64 s[46:47], s[0:1]
	s_cbranch_execz .LBB7_474
.LBB7_473:
	v_and_b32_e32 v1, 0xffff, v3
	v_lshlrev_b32_e32 v0, 24, v3
	v_and_b32_e32 v3, 3, v1
	v_ffbh_u32_e32 v9, v3
	v_min_u32_e32 v9, 32, v9
	v_subrev_u32_e32 v12, 29, v9
	v_bfe_u32 v5, v1, 2, 5
	v_lshlrev_b32_e32 v1, v12, v1
	v_sub_u32_e32 v9, 30, v9
	v_and_b32_e32 v1, 3, v1
	v_cmp_eq_u32_e32 vcc, 0, v5
	v_cndmask_b32_e32 v5, v5, v9, vcc
	v_cndmask_b32_e32 v1, v3, v1, vcc
	v_mov_b32_e32 v3, 0x37800000
	v_lshlrev_b32_e32 v1, 21, v1
	v_and_b32_e32 v0, 0x80000000, v0
	v_lshl_add_u32 v3, v5, 23, v3
	v_or3_b32 v0, v0, v3, v1
	v_cvt_f64_f32_e32 v[0:1], v0
.LBB7_474:
	s_or_b64 exec, exec, s[46:47]
	s_mov_b64 s[0:1], 0
	s_branch .LBB7_480
.LBB7_475:
	s_mov_b64 s[46:47], -1
                                        ; implicit-def: $vgpr0_vgpr1
	s_branch .LBB7_486
.LBB7_476:
	s_or_saveexec_b64 s[48:49], s[48:49]
	v_pk_mov_b32 v[0:1], s[46:47], s[46:47] op_sel:[0,1]
	s_xor_b64 exec, exec, s[48:49]
	s_cbranch_execz .LBB7_459
.LBB7_477:
	v_cmp_ne_u16_e32 vcc, 0, v3
	s_andn2_b64 s[0:1], s[0:1], exec
	s_and_b64 s[46:47], vcc, exec
	v_pk_mov_b32 v[0:1], 0, 0
	s_or_b64 s[0:1], s[0:1], s[46:47]
	s_or_b64 exec, exec, s[48:49]
	s_and_saveexec_b64 s[46:47], s[0:1]
	s_cbranch_execnz .LBB7_460
	s_branch .LBB7_461
.LBB7_478:
	s_mov_b64 s[0:1], -1
                                        ; implicit-def: $vgpr0_vgpr1
	s_branch .LBB7_483
.LBB7_479:
	s_mov_b64 s[0:1], -1
                                        ; implicit-def: $vgpr0_vgpr1
.LBB7_480:
	s_and_b64 vcc, exec, s[0:1]
	s_cbranch_vccz .LBB7_482
; %bb.481:
	global_load_ubyte v0, v[6:7], off
	s_mov_b32 s0, 0x7f800000
	s_waitcnt vmcnt(0)
	v_lshlrev_b32_e32 v0, 24, v0
	v_and_b32_e32 v1, 0x7f000000, v0
	v_ffbh_u32_e32 v3, v1
	v_min_u32_e32 v3, 32, v3
	v_sub_u32_e64 v3, v3, 4 clamp
	v_lshlrev_b32_e32 v9, v3, v1
	v_lshlrev_b32_e32 v3, 23, v3
	v_lshrrev_b32_e32 v9, 4, v9
	v_add_u32_e32 v5, 0x1000000, v1
	v_sub_u32_e32 v3, v9, v3
	v_ashrrev_i32_e32 v5, 8, v5
	v_add_u32_e32 v3, 0x3c000000, v3
	v_and_or_b32 v3, v5, s0, v3
	v_cmp_ne_u32_e32 vcc, 0, v1
	v_cndmask_b32_e32 v1, 0, v3, vcc
	s_brev_b32 s0, 1
	v_and_or_b32 v0, v0, s0, v1
	v_cvt_f64_f32_e32 v[0:1], v0
.LBB7_482:
	s_mov_b64 s[0:1], 0
.LBB7_483:
	s_andn2_b64 vcc, exec, s[0:1]
	s_cbranch_vccnz .LBB7_485
; %bb.484:
	global_load_ubyte v0, v[6:7], off
	s_movk_i32 s0, 0x7f00
	s_brev_b32 s1, 16
	s_waitcnt vmcnt(0)
	v_lshlrev_b16_e32 v1, 8, v0
	v_lshlrev_b32_e32 v0, 25, v0
	v_lshrrev_b32_e32 v3, 4, v0
	v_and_or_b32 v5, v1, s0, 0.5
	v_or_b32_e32 v3, 0x70000000, v3
	v_add_f32_e32 v5, -0.5, v5
	v_mul_f32_e32 v3, 0x7800000, v3
	v_cmp_gt_u32_e32 vcc, s1, v0
	v_bfe_i32 v1, v1, 0, 16
	v_cndmask_b32_e32 v0, v3, v5, vcc
	s_brev_b32 s0, 1
	v_and_or_b32 v0, v1, s0, v0
	v_cvt_f64_f32_e32 v[0:1], v0
.LBB7_485:
	s_mov_b64 s[46:47], 0
	s_mov_b64 s[0:1], -1
.LBB7_486:
	s_andn2_b64 vcc, exec, s[46:47]
	s_cbranch_vccnz .LBB7_499
; %bb.487:
	v_mov_b32_e32 v0, 14
	v_cmp_gt_i16_sdwa s[46:47], v8, v0 src0_sel:BYTE_0 src1_sel:DWORD
	s_and_b64 vcc, exec, s[46:47]
	s_cbranch_vccz .LBB7_490
; %bb.488:
	v_mov_b32_e32 v0, 15
	v_cmp_eq_u16_sdwa s[44:45], v8, v0 src0_sel:BYTE_0 src1_sel:DWORD
	s_and_b64 vcc, exec, s[44:45]
	s_cbranch_vccz .LBB7_493
; %bb.489:
	global_load_ushort v0, v[6:7], off
	s_mov_b64 s[0:1], -1
	s_mov_b64 s[44:45], 0
	s_waitcnt vmcnt(0)
	v_lshlrev_b32_e32 v0, 16, v0
	v_cvt_f64_f32_e32 v[0:1], v0
	s_branch .LBB7_494
.LBB7_490:
	s_mov_b64 s[46:47], -1
                                        ; implicit-def: $vgpr0_vgpr1
	s_branch .LBB7_495
.LBB7_491:
	s_or_saveexec_b64 s[48:49], s[48:49]
	v_pk_mov_b32 v[0:1], s[46:47], s[46:47] op_sel:[0,1]
	s_xor_b64 exec, exec, s[48:49]
	s_cbranch_execz .LBB7_472
.LBB7_492:
	v_cmp_ne_u16_e32 vcc, 0, v3
	s_andn2_b64 s[0:1], s[0:1], exec
	s_and_b64 s[46:47], vcc, exec
	v_pk_mov_b32 v[0:1], 0, 0
	s_or_b64 s[0:1], s[0:1], s[46:47]
	s_or_b64 exec, exec, s[48:49]
	s_and_saveexec_b64 s[46:47], s[0:1]
	s_cbranch_execnz .LBB7_473
	s_branch .LBB7_474
.LBB7_493:
	s_mov_b64 s[44:45], -1
                                        ; implicit-def: $vgpr0_vgpr1
.LBB7_494:
	s_mov_b64 s[46:47], 0
.LBB7_495:
	s_and_b64 vcc, exec, s[46:47]
	s_cbranch_vccz .LBB7_499
; %bb.496:
	v_mov_b32_e32 v0, 11
	v_cmp_eq_u16_sdwa s[44:45], v8, v0 src0_sel:BYTE_0 src1_sel:DWORD
	s_and_b64 vcc, exec, s[44:45]
	s_cbranch_vccz .LBB7_498
; %bb.497:
	global_load_ubyte v1, v[6:7], off
	v_mov_b32_e32 v3, 0x3ff00000
	v_mov_b32_e32 v0, 0
	s_mov_b64 s[0:1], -1
	s_mov_b64 s[44:45], 0
	s_waitcnt vmcnt(0)
	v_cmp_ne_u16_e32 vcc, 0, v1
	v_cndmask_b32_e32 v1, 0, v3, vcc
	s_branch .LBB7_499
.LBB7_498:
	s_mov_b64 s[44:45], -1
                                        ; implicit-def: $vgpr0_vgpr1
.LBB7_499:
	s_branch .LBB7_417
.LBB7_500:
	v_mov_b32_e32 v0, 5
	v_cmp_lt_i16_sdwa s[0:1], v8, v0 src0_sel:BYTE_0 src1_sel:DWORD
	s_and_b64 vcc, exec, s[0:1]
	s_cbranch_vccnz .LBB7_505
; %bb.501:
	v_mov_b32_e32 v0, 8
	v_cmp_lt_i16_sdwa s[0:1], v8, v0 src0_sel:BYTE_0 src1_sel:DWORD
	s_and_b64 vcc, exec, s[0:1]
	s_cbranch_vccnz .LBB7_506
; %bb.502:
	;; [unrolled: 5-line block ×3, first 2 shown]
	v_cmp_gt_i16_sdwa s[0:1], v8, v0 src0_sel:BYTE_0 src1_sel:DWORD
	s_and_b64 vcc, exec, s[0:1]
	s_cbranch_vccz .LBB7_508
; %bb.504:
	global_load_dwordx2 v[0:1], v[6:7], off
	s_mov_b64 s[0:1], 0
	s_branch .LBB7_509
.LBB7_505:
	s_mov_b64 s[0:1], -1
                                        ; implicit-def: $vgpr0_vgpr1
	s_branch .LBB7_527
.LBB7_506:
	s_mov_b64 s[0:1], -1
                                        ; implicit-def: $vgpr0_vgpr1
	s_branch .LBB7_515
.LBB7_507:
	s_mov_b64 s[0:1], -1
                                        ; implicit-def: $vgpr0_vgpr1
	s_branch .LBB7_512
.LBB7_508:
	s_mov_b64 s[0:1], -1
                                        ; implicit-def: $vgpr0_vgpr1
.LBB7_509:
	s_andn2_b64 vcc, exec, s[0:1]
	s_cbranch_vccnz .LBB7_511
; %bb.510:
	global_load_dword v0, v[6:7], off
	s_waitcnt vmcnt(0)
	v_cvt_f64_f32_e32 v[0:1], v0
.LBB7_511:
	s_mov_b64 s[0:1], 0
.LBB7_512:
	s_andn2_b64 vcc, exec, s[0:1]
	s_cbranch_vccnz .LBB7_514
; %bb.513:
	global_load_dword v0, v[6:7], off
	s_waitcnt vmcnt(0)
	v_cvt_f32_f16_e32 v0, v0
	v_cvt_f64_f32_e32 v[0:1], v0
.LBB7_514:
	s_mov_b64 s[0:1], 0
.LBB7_515:
	s_andn2_b64 vcc, exec, s[0:1]
	s_cbranch_vccnz .LBB7_526
; %bb.516:
	s_waitcnt vmcnt(0)
	v_mov_b32_e32 v0, 6
	v_cmp_lt_i16_sdwa s[0:1], v8, v0 src0_sel:BYTE_0 src1_sel:DWORD
	s_and_b64 vcc, exec, s[0:1]
	s_cbranch_vccnz .LBB7_519
; %bb.517:
	v_cmp_gt_i16_sdwa s[0:1], v8, v0 src0_sel:BYTE_0 src1_sel:DWORD
	s_and_b64 vcc, exec, s[0:1]
	s_cbranch_vccz .LBB7_520
; %bb.518:
	global_load_dwordx2 v[0:1], v[6:7], off
	s_mov_b64 s[0:1], 0
	s_branch .LBB7_521
.LBB7_519:
	s_mov_b64 s[0:1], -1
                                        ; implicit-def: $vgpr0_vgpr1
	s_branch .LBB7_524
.LBB7_520:
	s_mov_b64 s[0:1], -1
                                        ; implicit-def: $vgpr0_vgpr1
.LBB7_521:
	s_andn2_b64 vcc, exec, s[0:1]
	s_cbranch_vccnz .LBB7_523
; %bb.522:
	global_load_dword v0, v[6:7], off
	s_waitcnt vmcnt(0)
	v_cvt_f64_f32_e32 v[0:1], v0
.LBB7_523:
	s_mov_b64 s[0:1], 0
.LBB7_524:
	s_andn2_b64 vcc, exec, s[0:1]
	s_cbranch_vccnz .LBB7_526
; %bb.525:
	global_load_ushort v0, v[6:7], off
	s_waitcnt vmcnt(0)
	v_cvt_f32_f16_e32 v0, v0
	v_cvt_f64_f32_e32 v[0:1], v0
.LBB7_526:
	s_mov_b64 s[0:1], 0
.LBB7_527:
	s_andn2_b64 vcc, exec, s[0:1]
	s_cbranch_vccnz .LBB7_547
; %bb.528:
	s_waitcnt vmcnt(0)
	v_mov_b32_e32 v0, 2
	v_cmp_lt_i16_sdwa s[0:1], v8, v0 src0_sel:BYTE_0 src1_sel:DWORD
	s_and_b64 vcc, exec, s[0:1]
	s_cbranch_vccnz .LBB7_532
; %bb.529:
	v_mov_b32_e32 v0, 3
	v_cmp_lt_i16_sdwa s[0:1], v8, v0 src0_sel:BYTE_0 src1_sel:DWORD
	s_and_b64 vcc, exec, s[0:1]
	s_cbranch_vccnz .LBB7_533
; %bb.530:
	v_cmp_gt_i16_sdwa s[0:1], v8, v0 src0_sel:BYTE_0 src1_sel:DWORD
	s_and_b64 vcc, exec, s[0:1]
	s_cbranch_vccz .LBB7_534
; %bb.531:
	global_load_dwordx2 v[0:1], v[6:7], off
	s_mov_b64 s[0:1], 0
	s_waitcnt vmcnt(0)
	v_cvt_f64_i32_e32 v[12:13], v1
	v_cvt_f64_u32_e32 v[0:1], v0
	v_ldexp_f64 v[12:13], v[12:13], 32
	v_add_f64 v[0:1], v[12:13], v[0:1]
	s_branch .LBB7_535
.LBB7_532:
	s_mov_b64 s[0:1], -1
                                        ; implicit-def: $vgpr0_vgpr1
	s_branch .LBB7_541
.LBB7_533:
	s_mov_b64 s[0:1], -1
                                        ; implicit-def: $vgpr0_vgpr1
	s_branch .LBB7_538
.LBB7_534:
	s_mov_b64 s[0:1], -1
                                        ; implicit-def: $vgpr0_vgpr1
.LBB7_535:
	s_andn2_b64 vcc, exec, s[0:1]
	s_cbranch_vccnz .LBB7_537
; %bb.536:
	global_load_dword v0, v[6:7], off
	s_waitcnt vmcnt(0)
	v_cvt_f64_i32_e32 v[0:1], v0
.LBB7_537:
	s_mov_b64 s[0:1], 0
.LBB7_538:
	s_andn2_b64 vcc, exec, s[0:1]
	s_cbranch_vccnz .LBB7_540
; %bb.539:
	global_load_sshort v0, v[6:7], off
	s_waitcnt vmcnt(0)
	v_cvt_f64_i32_e32 v[0:1], v0
.LBB7_540:
	s_mov_b64 s[0:1], 0
.LBB7_541:
	s_andn2_b64 vcc, exec, s[0:1]
	s_cbranch_vccnz .LBB7_547
; %bb.542:
	v_mov_b32_e32 v0, 0
	v_cmp_gt_i16_sdwa s[0:1], v8, v0 src0_sel:BYTE_0 src1_sel:DWORD
	s_and_b64 vcc, exec, s[0:1]
	s_cbranch_vccz .LBB7_544
; %bb.543:
	global_load_sbyte v0, v[6:7], off
	s_mov_b64 s[0:1], 0
	s_waitcnt vmcnt(0)
	v_cvt_f64_i32_e32 v[0:1], v0
	s_branch .LBB7_545
.LBB7_544:
	s_mov_b64 s[0:1], -1
                                        ; implicit-def: $vgpr0_vgpr1
.LBB7_545:
	s_andn2_b64 vcc, exec, s[0:1]
	s_cbranch_vccnz .LBB7_547
; %bb.546:
	global_load_ubyte v0, v[6:7], off
	s_waitcnt vmcnt(0)
	v_cvt_f64_u32_e32 v[0:1], v0
.LBB7_547:
	s_branch .LBB7_418
.LBB7_548:
	s_mov_b64 s[52:53], 0
	s_mov_b64 s[0:1], s[36:37]
	;; [unrolled: 1-line block ×3, first 2 shown]
.LBB7_549:
                                        ; implicit-def: $vgpr16
	s_branch .LBB7_791
.LBB7_550:
	s_or_saveexec_b64 s[48:49], s[48:49]
                                        ; implicit-def: $sgpr50
	s_xor_b64 exec, exec, s[48:49]
	s_cbranch_execz .LBB7_128
.LBB7_551:
	s_mov_b32 s50, 0x42800000
	v_add_f32_e64 v3, |v2|, s50
	v_and_b32_e32 v3, 0xff, v3
	v_cmp_ne_u32_e32 vcc, 0, v3
	s_andn2_b64 s[44:45], s[44:45], exec
	s_and_b64 s[52:53], vcc, exec
	s_mov_b32 s50, 0
	s_or_b64 s[44:45], s[44:45], s[52:53]
	s_or_b64 exec, exec, s[48:49]
	v_mov_b32_e32 v6, s50
	s_and_saveexec_b64 s[48:49], s[44:45]
	s_cbranch_execnz .LBB7_129
	s_branch .LBB7_130
.LBB7_552:
	s_mov_b64 s[46:47], -1
                                        ; implicit-def: $vgpr6_vgpr7
	s_mov_b64 s[0:1], 0
.LBB7_553:
	s_and_b64 vcc, exec, s[48:49]
	s_cbranch_vccz .LBB7_557
; %bb.554:
	v_mov_b32_e32 v3, 44
	v_cmp_eq_u16_sdwa s[46:47], v11, v3 src0_sel:BYTE_0 src1_sel:DWORD
	s_and_b64 vcc, exec, s[46:47]
	s_cbranch_vccz .LBB7_556
; %bb.555:
	global_load_ubyte v3, v[4:5], off
	s_movk_i32 s46, 0xff
	v_bfrev_b32_e32 v9, 4
	v_mov_b32_e32 v12, 0x7ff80000
	v_bfrev_b32_e32 v13, 28
	s_mov_b64 s[0:1], -1
	s_waitcnt vmcnt(0)
	v_lshlrev_b32_e32 v6, 23, v3
	v_cvt_f64_f32_e32 v[6:7], v6
	v_cmp_ne_u32_e32 vcc, s46, v3
	v_cndmask_b32_e32 v6, v9, v6, vcc
	v_cndmask_b32_e32 v7, v12, v7, vcc
	v_cmp_ne_u32_e32 vcc, 0, v3
	v_cndmask_b32_e32 v7, v13, v7, vcc
	v_cndmask_b32_e32 v6, 0, v6, vcc
	s_mov_b64 s[46:47], 0
	s_branch .LBB7_557
.LBB7_556:
	s_mov_b64 s[46:47], -1
                                        ; implicit-def: $vgpr6_vgpr7
.LBB7_557:
	s_mov_b64 s[48:49], 0
.LBB7_558:
	s_and_b64 vcc, exec, s[48:49]
	s_cbranch_vccz .LBB7_562
; %bb.559:
	v_mov_b32_e32 v3, 29
	v_cmp_eq_u16_sdwa s[46:47], v11, v3 src0_sel:BYTE_0 src1_sel:DWORD
	s_and_b64 vcc, exec, s[46:47]
	s_cbranch_vccz .LBB7_561
; %bb.560:
	global_load_dwordx2 v[6:7], v[4:5], off
	s_mov_b64 s[0:1], -1
	s_mov_b64 s[46:47], 0
	s_mov_b64 s[48:49], 0
	s_waitcnt vmcnt(0)
	v_cvt_f64_u32_e32 v[12:13], v7
	v_cvt_f64_u32_e32 v[6:7], v6
	v_ldexp_f64 v[12:13], v[12:13], 32
	v_add_f64 v[6:7], v[12:13], v[6:7]
	s_branch .LBB7_563
.LBB7_561:
	s_mov_b64 s[46:47], -1
                                        ; implicit-def: $vgpr6_vgpr7
.LBB7_562:
	s_mov_b64 s[48:49], 0
.LBB7_563:
	s_and_b64 vcc, exec, s[48:49]
	s_cbranch_vccz .LBB7_581
; %bb.564:
	v_mov_b32_e32 v3, 27
	v_cmp_lt_i16_sdwa s[0:1], v11, v3 src0_sel:BYTE_0 src1_sel:DWORD
	s_and_b64 vcc, exec, s[0:1]
	s_cbranch_vccnz .LBB7_567
; %bb.565:
	v_cmp_gt_i16_sdwa s[0:1], v11, v3 src0_sel:BYTE_0 src1_sel:DWORD
	s_and_b64 vcc, exec, s[0:1]
	s_cbranch_vccz .LBB7_568
; %bb.566:
	global_load_dword v3, v[4:5], off
	s_mov_b64 s[0:1], 0
	s_waitcnt vmcnt(0)
	v_cvt_f64_u32_e32 v[6:7], v3
	s_branch .LBB7_569
.LBB7_567:
	s_mov_b64 s[0:1], -1
                                        ; implicit-def: $vgpr6_vgpr7
	s_branch .LBB7_572
.LBB7_568:
	s_mov_b64 s[0:1], -1
                                        ; implicit-def: $vgpr6_vgpr7
.LBB7_569:
	s_andn2_b64 vcc, exec, s[0:1]
	s_cbranch_vccnz .LBB7_571
; %bb.570:
	global_load_ushort v3, v[4:5], off
	s_waitcnt vmcnt(0)
	v_cvt_f64_u32_e32 v[6:7], v3
.LBB7_571:
	s_mov_b64 s[0:1], 0
.LBB7_572:
	s_andn2_b64 vcc, exec, s[0:1]
	s_cbranch_vccnz .LBB7_580
; %bb.573:
	global_load_ubyte v3, v[4:5], off
	s_movk_i32 s0, 0x7f
                                        ; implicit-def: $sgpr48_sgpr49
	s_waitcnt vmcnt(0)
	v_cmp_lt_i16_e32 vcc, s0, v3
	s_mov_b64 s[0:1], 0
	s_and_saveexec_b64 s[52:53], vcc
	s_xor_b64 s[52:53], exec, s[52:53]
	s_cbranch_execz .LBB7_594
; %bb.574:
	s_movk_i32 s0, 0x80
	v_cmp_eq_u16_e32 vcc, s0, v3
	s_mov_b64 s[54:55], -1
                                        ; implicit-def: $sgpr48_sgpr49
	s_and_saveexec_b64 s[0:1], vcc
; %bb.575:
	s_mov_b32 s49, 0x7ff80000
	s_brev_b32 s48, 4
	s_xor_b64 s[54:55], exec, -1
; %bb.576:
	s_or_b64 exec, exec, s[0:1]
	s_and_b64 s[0:1], s[54:55], exec
	s_or_saveexec_b64 s[52:53], s[52:53]
	v_pk_mov_b32 v[6:7], s[48:49], s[48:49] op_sel:[0,1]
	s_xor_b64 exec, exec, s[52:53]
	s_cbranch_execnz .LBB7_595
.LBB7_577:
	s_or_b64 exec, exec, s[52:53]
	s_and_saveexec_b64 s[48:49], s[0:1]
	s_cbranch_execz .LBB7_579
.LBB7_578:
	v_lshlrev_b32_e32 v6, 24, v3
	v_and_b32_e32 v3, 0xffff, v3
	v_and_b32_e32 v7, 7, v3
	v_ffbh_u32_e32 v12, v7
	v_min_u32_e32 v12, 32, v12
	v_subrev_u32_e32 v13, 28, v12
	v_bfe_u32 v9, v3, 3, 4
	v_lshlrev_b32_e32 v3, v13, v3
	v_sub_u32_e32 v12, 29, v12
	v_and_b32_e32 v3, 7, v3
	v_cmp_eq_u32_e32 vcc, 0, v9
	v_cndmask_b32_e32 v9, v9, v12, vcc
	v_cndmask_b32_e32 v3, v7, v3, vcc
	v_mov_b32_e32 v7, 0x3b800000
	v_lshlrev_b32_e32 v3, 20, v3
	v_and_b32_e32 v6, 0x80000000, v6
	v_lshl_add_u32 v7, v9, 23, v7
	v_or3_b32 v3, v6, v7, v3
	v_cvt_f64_f32_e32 v[6:7], v3
.LBB7_579:
	s_or_b64 exec, exec, s[48:49]
.LBB7_580:
	s_mov_b64 s[0:1], -1
.LBB7_581:
	s_mov_b64 s[48:49], 0
.LBB7_582:
	s_and_b64 vcc, exec, s[48:49]
	s_cbranch_vccz .LBB7_617
; %bb.583:
	v_mov_b32_e32 v3, 22
	v_cmp_gt_i16_sdwa s[48:49], v11, v3 src0_sel:BYTE_0 src1_sel:DWORD
	s_and_b64 vcc, exec, s[48:49]
	s_cbranch_vccz .LBB7_593
; %bb.584:
	v_mov_b32_e32 v3, 24
	v_cmp_lt_i16_sdwa s[0:1], v11, v3 src0_sel:BYTE_0 src1_sel:DWORD
	s_and_b64 vcc, exec, s[0:1]
	s_cbranch_vccnz .LBB7_596
; %bb.585:
	v_cmp_gt_i16_sdwa s[0:1], v11, v3 src0_sel:BYTE_0 src1_sel:DWORD
	s_and_b64 vcc, exec, s[0:1]
	s_cbranch_vccz .LBB7_597
; %bb.586:
	global_load_ubyte v3, v[4:5], off
	s_movk_i32 s0, 0x7f
                                        ; implicit-def: $sgpr48_sgpr49
	s_waitcnt vmcnt(0)
	v_cmp_lt_i16_e32 vcc, s0, v3
	s_mov_b64 s[0:1], 0
	s_and_saveexec_b64 s[52:53], vcc
	s_xor_b64 s[52:53], exec, s[52:53]
	s_cbranch_execz .LBB7_609
; %bb.587:
	s_movk_i32 s0, 0x80
	v_cmp_eq_u16_e32 vcc, s0, v3
	s_mov_b64 s[54:55], -1
                                        ; implicit-def: $sgpr48_sgpr49
	s_and_saveexec_b64 s[0:1], vcc
; %bb.588:
	s_mov_b32 s49, 0x7ff80000
	s_brev_b32 s48, 4
	s_xor_b64 s[54:55], exec, -1
; %bb.589:
	s_or_b64 exec, exec, s[0:1]
	s_and_b64 s[0:1], s[54:55], exec
	s_or_saveexec_b64 s[52:53], s[52:53]
	v_pk_mov_b32 v[6:7], s[48:49], s[48:49] op_sel:[0,1]
	s_xor_b64 exec, exec, s[52:53]
	s_cbranch_execnz .LBB7_610
.LBB7_590:
	s_or_b64 exec, exec, s[52:53]
	s_and_saveexec_b64 s[48:49], s[0:1]
	s_cbranch_execz .LBB7_592
.LBB7_591:
	v_lshlrev_b32_e32 v6, 24, v3
	v_and_b32_e32 v3, 0xffff, v3
	v_and_b32_e32 v7, 3, v3
	v_ffbh_u32_e32 v12, v7
	v_min_u32_e32 v12, 32, v12
	v_subrev_u32_e32 v13, 29, v12
	v_bfe_u32 v9, v3, 2, 5
	v_lshlrev_b32_e32 v3, v13, v3
	v_sub_u32_e32 v12, 30, v12
	v_and_b32_e32 v3, 3, v3
	v_cmp_eq_u32_e32 vcc, 0, v9
	v_cndmask_b32_e32 v9, v9, v12, vcc
	v_cndmask_b32_e32 v3, v7, v3, vcc
	v_mov_b32_e32 v7, 0x37800000
	v_lshlrev_b32_e32 v3, 21, v3
	v_and_b32_e32 v6, 0x80000000, v6
	v_lshl_add_u32 v7, v9, 23, v7
	v_or3_b32 v3, v6, v7, v3
	v_cvt_f64_f32_e32 v[6:7], v3
.LBB7_592:
	s_or_b64 exec, exec, s[48:49]
	s_mov_b64 s[0:1], 0
	s_branch .LBB7_598
.LBB7_593:
	s_mov_b64 s[48:49], -1
                                        ; implicit-def: $vgpr6_vgpr7
	s_branch .LBB7_604
.LBB7_594:
	s_or_saveexec_b64 s[52:53], s[52:53]
	v_pk_mov_b32 v[6:7], s[48:49], s[48:49] op_sel:[0,1]
	s_xor_b64 exec, exec, s[52:53]
	s_cbranch_execz .LBB7_577
.LBB7_595:
	v_cmp_ne_u16_e32 vcc, 0, v3
	s_andn2_b64 s[0:1], s[0:1], exec
	s_and_b64 s[48:49], vcc, exec
	v_pk_mov_b32 v[6:7], 0, 0
	s_or_b64 s[0:1], s[0:1], s[48:49]
	s_or_b64 exec, exec, s[52:53]
	s_and_saveexec_b64 s[48:49], s[0:1]
	s_cbranch_execnz .LBB7_578
	s_branch .LBB7_579
.LBB7_596:
	s_mov_b64 s[0:1], -1
                                        ; implicit-def: $vgpr6_vgpr7
	s_branch .LBB7_601
.LBB7_597:
	s_mov_b64 s[0:1], -1
                                        ; implicit-def: $vgpr6_vgpr7
.LBB7_598:
	s_and_b64 vcc, exec, s[0:1]
	s_cbranch_vccz .LBB7_600
; %bb.599:
	global_load_ubyte v3, v[4:5], off
	s_mov_b32 s0, 0x7f800000
	s_waitcnt vmcnt(0)
	v_lshlrev_b32_e32 v3, 24, v3
	v_and_b32_e32 v6, 0x7f000000, v3
	v_ffbh_u32_e32 v7, v6
	v_min_u32_e32 v7, 32, v7
	v_sub_u32_e64 v7, v7, 4 clamp
	v_lshlrev_b32_e32 v12, v7, v6
	v_lshlrev_b32_e32 v7, 23, v7
	v_lshrrev_b32_e32 v12, 4, v12
	v_add_u32_e32 v9, 0x1000000, v6
	v_sub_u32_e32 v7, v12, v7
	v_ashrrev_i32_e32 v9, 8, v9
	v_add_u32_e32 v7, 0x3c000000, v7
	v_and_or_b32 v7, v9, s0, v7
	v_cmp_ne_u32_e32 vcc, 0, v6
	v_cndmask_b32_e32 v6, 0, v7, vcc
	s_brev_b32 s0, 1
	v_and_or_b32 v3, v3, s0, v6
	v_cvt_f64_f32_e32 v[6:7], v3
.LBB7_600:
	s_mov_b64 s[0:1], 0
.LBB7_601:
	s_andn2_b64 vcc, exec, s[0:1]
	s_cbranch_vccnz .LBB7_603
; %bb.602:
	global_load_ubyte v3, v[4:5], off
	s_movk_i32 s0, 0x7f00
	s_brev_b32 s1, 16
	s_waitcnt vmcnt(0)
	v_lshlrev_b16_e32 v6, 8, v3
	v_lshlrev_b32_e32 v3, 25, v3
	v_lshrrev_b32_e32 v7, 4, v3
	v_and_or_b32 v9, v6, s0, 0.5
	v_or_b32_e32 v7, 0x70000000, v7
	v_add_f32_e32 v9, -0.5, v9
	v_mul_f32_e32 v7, 0x7800000, v7
	v_cmp_gt_u32_e32 vcc, s1, v3
	v_bfe_i32 v6, v6, 0, 16
	v_cndmask_b32_e32 v3, v7, v9, vcc
	s_brev_b32 s0, 1
	v_and_or_b32 v3, v6, s0, v3
	v_cvt_f64_f32_e32 v[6:7], v3
.LBB7_603:
	s_mov_b64 s[48:49], 0
	s_mov_b64 s[0:1], -1
.LBB7_604:
	s_andn2_b64 vcc, exec, s[48:49]
	s_cbranch_vccnz .LBB7_617
; %bb.605:
	v_mov_b32_e32 v3, 14
	v_cmp_gt_i16_sdwa s[48:49], v11, v3 src0_sel:BYTE_0 src1_sel:DWORD
	s_and_b64 vcc, exec, s[48:49]
	s_cbranch_vccz .LBB7_608
; %bb.606:
	v_mov_b32_e32 v3, 15
	v_cmp_eq_u16_sdwa s[46:47], v11, v3 src0_sel:BYTE_0 src1_sel:DWORD
	s_and_b64 vcc, exec, s[46:47]
	s_cbranch_vccz .LBB7_611
; %bb.607:
	global_load_ushort v3, v[4:5], off
	s_mov_b64 s[0:1], -1
	s_mov_b64 s[46:47], 0
	s_waitcnt vmcnt(0)
	v_lshlrev_b32_e32 v3, 16, v3
	v_cvt_f64_f32_e32 v[6:7], v3
	s_branch .LBB7_612
.LBB7_608:
	s_mov_b64 s[48:49], -1
                                        ; implicit-def: $vgpr6_vgpr7
	s_branch .LBB7_613
.LBB7_609:
	s_or_saveexec_b64 s[52:53], s[52:53]
	v_pk_mov_b32 v[6:7], s[48:49], s[48:49] op_sel:[0,1]
	s_xor_b64 exec, exec, s[52:53]
	s_cbranch_execz .LBB7_590
.LBB7_610:
	v_cmp_ne_u16_e32 vcc, 0, v3
	s_andn2_b64 s[0:1], s[0:1], exec
	s_and_b64 s[48:49], vcc, exec
	v_pk_mov_b32 v[6:7], 0, 0
	s_or_b64 s[0:1], s[0:1], s[48:49]
	s_or_b64 exec, exec, s[52:53]
	s_and_saveexec_b64 s[48:49], s[0:1]
	s_cbranch_execnz .LBB7_591
	s_branch .LBB7_592
.LBB7_611:
	s_mov_b64 s[46:47], -1
                                        ; implicit-def: $vgpr6_vgpr7
.LBB7_612:
	s_mov_b64 s[48:49], 0
.LBB7_613:
	s_and_b64 vcc, exec, s[48:49]
	s_cbranch_vccz .LBB7_617
; %bb.614:
	v_mov_b32_e32 v3, 11
	v_cmp_eq_u16_sdwa s[46:47], v11, v3 src0_sel:BYTE_0 src1_sel:DWORD
	s_and_b64 vcc, exec, s[46:47]
	s_cbranch_vccz .LBB7_616
; %bb.615:
	global_load_ubyte v3, v[4:5], off
	v_mov_b32_e32 v7, 0x3ff00000
	v_mov_b32_e32 v6, 0
	s_mov_b64 s[0:1], -1
	s_mov_b64 s[46:47], 0
	s_waitcnt vmcnt(0)
	v_cmp_ne_u16_e32 vcc, 0, v3
	v_cndmask_b32_e32 v7, 0, v7, vcc
	s_branch .LBB7_617
.LBB7_616:
	s_mov_b64 s[46:47], -1
                                        ; implicit-def: $vgpr6_vgpr7
.LBB7_617:
	s_mov_b64 s[48:49], 0
.LBB7_618:
	s_and_b64 vcc, exec, s[48:49]
	s_cbranch_vccz .LBB7_667
; %bb.619:
	v_mov_b32_e32 v3, 5
	v_cmp_lt_i16_sdwa s[0:1], v11, v3 src0_sel:BYTE_0 src1_sel:DWORD
	s_and_b64 vcc, exec, s[0:1]
	s_cbranch_vccnz .LBB7_624
; %bb.620:
	v_mov_b32_e32 v3, 8
	v_cmp_lt_i16_sdwa s[0:1], v11, v3 src0_sel:BYTE_0 src1_sel:DWORD
	s_and_b64 vcc, exec, s[0:1]
	s_cbranch_vccnz .LBB7_625
	;; [unrolled: 5-line block ×3, first 2 shown]
; %bb.622:
	v_cmp_gt_i16_sdwa s[0:1], v11, v3 src0_sel:BYTE_0 src1_sel:DWORD
	s_and_b64 vcc, exec, s[0:1]
	s_cbranch_vccz .LBB7_627
; %bb.623:
	global_load_dwordx2 v[6:7], v[4:5], off
	s_mov_b64 s[0:1], 0
	s_branch .LBB7_628
.LBB7_624:
	s_mov_b64 s[0:1], -1
                                        ; implicit-def: $vgpr6_vgpr7
	s_branch .LBB7_646
.LBB7_625:
	s_mov_b64 s[0:1], -1
                                        ; implicit-def: $vgpr6_vgpr7
	s_branch .LBB7_634
.LBB7_626:
	s_mov_b64 s[0:1], -1
                                        ; implicit-def: $vgpr6_vgpr7
	s_branch .LBB7_631
.LBB7_627:
	s_mov_b64 s[0:1], -1
                                        ; implicit-def: $vgpr6_vgpr7
.LBB7_628:
	s_andn2_b64 vcc, exec, s[0:1]
	s_cbranch_vccnz .LBB7_630
; %bb.629:
	global_load_dword v3, v[4:5], off
	s_waitcnt vmcnt(0)
	v_cvt_f64_f32_e32 v[6:7], v3
.LBB7_630:
	s_mov_b64 s[0:1], 0
.LBB7_631:
	s_andn2_b64 vcc, exec, s[0:1]
	s_cbranch_vccnz .LBB7_633
; %bb.632:
	global_load_dword v3, v[4:5], off
	s_waitcnt vmcnt(0)
	v_cvt_f32_f16_e32 v3, v3
	v_cvt_f64_f32_e32 v[6:7], v3
.LBB7_633:
	s_mov_b64 s[0:1], 0
.LBB7_634:
	s_andn2_b64 vcc, exec, s[0:1]
	s_cbranch_vccnz .LBB7_645
; %bb.635:
	v_mov_b32_e32 v3, 6
	v_cmp_lt_i16_sdwa s[0:1], v11, v3 src0_sel:BYTE_0 src1_sel:DWORD
	s_and_b64 vcc, exec, s[0:1]
	s_cbranch_vccnz .LBB7_638
; %bb.636:
	v_cmp_gt_i16_sdwa s[0:1], v11, v3 src0_sel:BYTE_0 src1_sel:DWORD
	s_and_b64 vcc, exec, s[0:1]
	s_cbranch_vccz .LBB7_639
; %bb.637:
	global_load_dwordx2 v[6:7], v[4:5], off
	s_mov_b64 s[0:1], 0
	s_branch .LBB7_640
.LBB7_638:
	s_mov_b64 s[0:1], -1
                                        ; implicit-def: $vgpr6_vgpr7
	s_branch .LBB7_643
.LBB7_639:
	s_mov_b64 s[0:1], -1
                                        ; implicit-def: $vgpr6_vgpr7
.LBB7_640:
	s_andn2_b64 vcc, exec, s[0:1]
	s_cbranch_vccnz .LBB7_642
; %bb.641:
	global_load_dword v3, v[4:5], off
	s_waitcnt vmcnt(0)
	v_cvt_f64_f32_e32 v[6:7], v3
.LBB7_642:
	s_mov_b64 s[0:1], 0
.LBB7_643:
	s_andn2_b64 vcc, exec, s[0:1]
	s_cbranch_vccnz .LBB7_645
; %bb.644:
	global_load_ushort v3, v[4:5], off
	s_waitcnt vmcnt(0)
	v_cvt_f32_f16_e32 v3, v3
	v_cvt_f64_f32_e32 v[6:7], v3
.LBB7_645:
	s_mov_b64 s[0:1], 0
.LBB7_646:
	s_andn2_b64 vcc, exec, s[0:1]
	s_cbranch_vccnz .LBB7_666
; %bb.647:
	v_mov_b32_e32 v3, 2
	v_cmp_lt_i16_sdwa s[0:1], v11, v3 src0_sel:BYTE_0 src1_sel:DWORD
	s_and_b64 vcc, exec, s[0:1]
	s_cbranch_vccnz .LBB7_651
; %bb.648:
	v_mov_b32_e32 v3, 3
	v_cmp_lt_i16_sdwa s[0:1], v11, v3 src0_sel:BYTE_0 src1_sel:DWORD
	s_and_b64 vcc, exec, s[0:1]
	s_cbranch_vccnz .LBB7_652
; %bb.649:
	v_cmp_gt_i16_sdwa s[0:1], v11, v3 src0_sel:BYTE_0 src1_sel:DWORD
	s_and_b64 vcc, exec, s[0:1]
	s_cbranch_vccz .LBB7_653
; %bb.650:
	global_load_dwordx2 v[6:7], v[4:5], off
	s_mov_b64 s[0:1], 0
	s_waitcnt vmcnt(0)
	v_cvt_f64_i32_e32 v[12:13], v7
	v_cvt_f64_u32_e32 v[6:7], v6
	v_ldexp_f64 v[12:13], v[12:13], 32
	v_add_f64 v[6:7], v[12:13], v[6:7]
	s_branch .LBB7_654
.LBB7_651:
	s_mov_b64 s[0:1], -1
                                        ; implicit-def: $vgpr6_vgpr7
	s_branch .LBB7_660
.LBB7_652:
	s_mov_b64 s[0:1], -1
                                        ; implicit-def: $vgpr6_vgpr7
	s_branch .LBB7_657
.LBB7_653:
	s_mov_b64 s[0:1], -1
                                        ; implicit-def: $vgpr6_vgpr7
.LBB7_654:
	s_andn2_b64 vcc, exec, s[0:1]
	s_cbranch_vccnz .LBB7_656
; %bb.655:
	global_load_dword v3, v[4:5], off
	s_waitcnt vmcnt(0)
	v_cvt_f64_i32_e32 v[6:7], v3
.LBB7_656:
	s_mov_b64 s[0:1], 0
.LBB7_657:
	s_andn2_b64 vcc, exec, s[0:1]
	s_cbranch_vccnz .LBB7_659
; %bb.658:
	global_load_sshort v3, v[4:5], off
	s_waitcnt vmcnt(0)
	v_cvt_f64_i32_e32 v[6:7], v3
.LBB7_659:
	s_mov_b64 s[0:1], 0
.LBB7_660:
	s_andn2_b64 vcc, exec, s[0:1]
	s_cbranch_vccnz .LBB7_666
; %bb.661:
	v_mov_b32_e32 v3, 0
	v_cmp_gt_i16_sdwa s[0:1], v11, v3 src0_sel:BYTE_0 src1_sel:DWORD
	s_and_b64 vcc, exec, s[0:1]
	s_cbranch_vccz .LBB7_663
; %bb.662:
	global_load_sbyte v3, v[4:5], off
	s_mov_b64 s[0:1], 0
	s_waitcnt vmcnt(0)
	v_cvt_f64_i32_e32 v[6:7], v3
	s_branch .LBB7_664
.LBB7_663:
	s_mov_b64 s[0:1], -1
                                        ; implicit-def: $vgpr6_vgpr7
.LBB7_664:
	s_andn2_b64 vcc, exec, s[0:1]
	s_cbranch_vccnz .LBB7_666
; %bb.665:
	global_load_ubyte v3, v[4:5], off
	s_waitcnt vmcnt(0)
	v_cvt_f64_u32_e32 v[6:7], v3
.LBB7_666:
	s_mov_b64 s[0:1], -1
.LBB7_667:
	s_andn2_b64 vcc, exec, s[0:1]
	s_cbranch_vccnz .LBB7_675
; %bb.668:
	s_waitcnt vmcnt(0)
	v_mul_f64 v[4:5], v[0:1], v[6:7]
	v_cmp_lt_f64_e32 vcc, 0, v[0:1]
	v_cndmask_b32_e32 v1, v5, v1, vcc
	v_cndmask_b32_e32 v0, v4, v0, vcc
	v_mov_b32_e32 v3, s9
	v_add_co_u32_e32 v4, vcc, s8, v2
	v_mov_b32_e32 v2, 11
	v_addc_co_u32_e32 v5, vcc, 0, v3, vcc
	v_cmp_lt_i16_sdwa s[0:1], v10, v2 src0_sel:BYTE_0 src1_sel:DWORD
	s_mov_b64 s[48:49], 0
	s_mov_b64 s[52:53], -1
	s_and_b64 vcc, exec, s[0:1]
	s_mov_b64 s[0:1], s[36:37]
	s_cbranch_vccnz .LBB7_676
; %bb.669:
	v_mov_b32_e32 v2, 25
	v_cmp_gt_i16_sdwa s[0:1], v10, v2 src0_sel:BYTE_0 src1_sel:DWORD
	s_and_b64 vcc, exec, s[0:1]
	s_cbranch_vccz .LBB7_716
; %bb.670:
	v_mov_b32_e32 v2, 28
	v_cmp_gt_i16_sdwa s[0:1], v10, v2 src0_sel:BYTE_0 src1_sel:DWORD
	s_and_b64 vcc, exec, s[0:1]
	s_cbranch_vccz .LBB7_717
	;; [unrolled: 5-line block ×4, first 2 shown]
; %bb.673:
	v_mov_b32_e32 v2, 46
	v_cmp_eq_u16_sdwa s[48:49], v10, v2 src0_sel:BYTE_0 src1_sel:DWORD
	s_mov_b64 s[52:53], 0
	s_mov_b64 s[0:1], -1
	s_and_b64 vcc, exec, s[48:49]
	s_mov_b64 s[48:49], 0
	s_cbranch_vccz .LBB7_720
; %bb.674:
	v_cvt_f32_f64_e32 v2, v[0:1]
	v_bfe_u32 v3, v2, 16, 1
	s_movk_i32 s0, 0x7fff
	v_add3_u32 v3, v2, v3, s0
	v_lshrrev_b32_e32 v3, 16, v3
	v_mov_b32_e32 v6, 0x7fc0
	v_cmp_o_f32_e32 vcc, v2, v2
	v_cndmask_b32_e32 v2, v6, v3, vcc
	global_store_dword v[4:5], v2, off
	s_mov_b64 s[48:49], -1
	s_mov_b64 s[0:1], 0
	s_branch .LBB7_720
.LBB7_675:
	s_mov_b64 s[52:53], 0
                                        ; implicit-def: $vgpr16
	s_mov_b64 s[0:1], s[36:37]
	s_branch .LBB7_791
.LBB7_676:
	s_and_b64 vcc, exec, s[52:53]
	s_cbranch_vccz .LBB7_789
; %bb.677:
	v_mov_b32_e32 v2, 5
	v_cmp_lt_i16_sdwa s[52:53], v10, v2 src0_sel:BYTE_0 src1_sel:DWORD
	s_mov_b64 s[48:49], -1
	s_and_b64 vcc, exec, s[52:53]
	s_cbranch_vccnz .LBB7_698
; %bb.678:
	v_mov_b32_e32 v2, 8
	v_cmp_lt_i16_sdwa s[52:53], v10, v2 src0_sel:BYTE_0 src1_sel:DWORD
	s_and_b64 vcc, exec, s[52:53]
	s_cbranch_vccnz .LBB7_688
; %bb.679:
	v_mov_b32_e32 v2, 9
	v_cmp_lt_i16_sdwa s[52:53], v10, v2 src0_sel:BYTE_0 src1_sel:DWORD
	s_and_b64 vcc, exec, s[52:53]
	s_cbranch_vccnz .LBB7_685
; %bb.680:
	v_cmp_gt_i16_sdwa s[52:53], v10, v2 src0_sel:BYTE_0 src1_sel:DWORD
	s_and_b64 vcc, exec, s[52:53]
	s_cbranch_vccz .LBB7_682
; %bb.681:
	v_mov_b32_e32 v2, 0
	v_mov_b32_e32 v3, v2
	s_mov_b64 s[48:49], 0
	global_store_dwordx4 v[4:5], v[0:3], off
.LBB7_682:
	s_andn2_b64 vcc, exec, s[48:49]
	s_cbranch_vccnz .LBB7_684
; %bb.683:
	v_cvt_f32_f64_e32 v2, v[0:1]
	v_mov_b32_e32 v3, 0
	global_store_dwordx2 v[4:5], v[2:3], off
.LBB7_684:
	s_mov_b64 s[48:49], 0
.LBB7_685:
	s_andn2_b64 vcc, exec, s[48:49]
	s_cbranch_vccnz .LBB7_687
; %bb.686:
	v_cvt_f32_f64_e32 v2, v[0:1]
	v_cvt_f16_f32_e32 v2, v2
	global_store_dword v[4:5], v2, off
.LBB7_687:
	s_mov_b64 s[48:49], 0
.LBB7_688:
	s_andn2_b64 vcc, exec, s[48:49]
	s_cbranch_vccnz .LBB7_697
; %bb.689:
	v_mov_b32_e32 v2, 6
	v_cmp_lt_i16_sdwa s[52:53], v10, v2 src0_sel:BYTE_0 src1_sel:DWORD
	s_mov_b64 s[48:49], -1
	s_and_b64 vcc, exec, s[52:53]
	s_cbranch_vccnz .LBB7_695
; %bb.690:
	v_cmp_gt_i16_sdwa s[52:53], v10, v2 src0_sel:BYTE_0 src1_sel:DWORD
	s_and_b64 vcc, exec, s[52:53]
	s_cbranch_vccz .LBB7_692
; %bb.691:
	s_mov_b64 s[48:49], 0
	global_store_dwordx2 v[4:5], v[0:1], off
.LBB7_692:
	s_andn2_b64 vcc, exec, s[48:49]
	s_cbranch_vccnz .LBB7_694
; %bb.693:
	v_cvt_f32_f64_e32 v2, v[0:1]
	global_store_dword v[4:5], v2, off
.LBB7_694:
	s_mov_b64 s[48:49], 0
.LBB7_695:
	s_andn2_b64 vcc, exec, s[48:49]
	s_cbranch_vccnz .LBB7_697
; %bb.696:
	v_cvt_f32_f64_e32 v2, v[0:1]
	v_cvt_f16_f32_e32 v2, v2
	global_store_short v[4:5], v2, off
.LBB7_697:
	s_mov_b64 s[48:49], 0
.LBB7_698:
	s_andn2_b64 vcc, exec, s[48:49]
	s_cbranch_vccnz .LBB7_714
; %bb.699:
	v_mov_b32_e32 v2, 2
	v_cmp_lt_i16_sdwa s[52:53], v10, v2 src0_sel:BYTE_0 src1_sel:DWORD
	s_mov_b64 s[48:49], -1
	s_and_b64 vcc, exec, s[52:53]
	s_cbranch_vccnz .LBB7_709
; %bb.700:
	v_mov_b32_e32 v2, 3
	v_cmp_lt_i16_sdwa s[52:53], v10, v2 src0_sel:BYTE_0 src1_sel:DWORD
	s_and_b64 vcc, exec, s[52:53]
	s_cbranch_vccnz .LBB7_706
; %bb.701:
	v_cmp_gt_i16_sdwa s[52:53], v10, v2 src0_sel:BYTE_0 src1_sel:DWORD
	s_and_b64 vcc, exec, s[52:53]
	s_cbranch_vccz .LBB7_703
; %bb.702:
	v_trunc_f64_e32 v[2:3], v[0:1]
	s_movk_i32 s48, 0xffe0
	v_ldexp_f64 v[6:7], v[2:3], s48
	v_floor_f64_e32 v[6:7], v[6:7]
	v_fmac_f64_e32 v[2:3], 0xc1f00000, v[6:7]
	v_cvt_i32_f64_e32 v13, v[6:7]
	v_cvt_u32_f64_e32 v12, v[2:3]
	s_mov_b64 s[48:49], 0
	global_store_dwordx2 v[4:5], v[12:13], off
.LBB7_703:
	s_andn2_b64 vcc, exec, s[48:49]
	s_cbranch_vccnz .LBB7_705
; %bb.704:
	v_cvt_i32_f64_e32 v2, v[0:1]
	global_store_dword v[4:5], v2, off
.LBB7_705:
	s_mov_b64 s[48:49], 0
.LBB7_706:
	s_andn2_b64 vcc, exec, s[48:49]
	s_cbranch_vccnz .LBB7_708
; %bb.707:
	v_cvt_i32_f64_e32 v2, v[0:1]
	global_store_short v[4:5], v2, off
.LBB7_708:
	s_mov_b64 s[48:49], 0
.LBB7_709:
	s_andn2_b64 vcc, exec, s[48:49]
	s_cbranch_vccnz .LBB7_714
; %bb.710:
	v_mov_b32_e32 v2, 0
	v_cmp_gt_i16_sdwa s[52:53], v10, v2 src0_sel:BYTE_0 src1_sel:DWORD
	s_mov_b64 s[48:49], -1
	s_and_b64 vcc, exec, s[52:53]
	s_cbranch_vccz .LBB7_712
; %bb.711:
	v_cvt_i32_f64_e32 v2, v[0:1]
	s_mov_b64 s[48:49], 0
	global_store_byte v[4:5], v2, off
.LBB7_712:
	s_andn2_b64 vcc, exec, s[48:49]
	s_cbranch_vccnz .LBB7_714
; %bb.713:
	v_trunc_f64_e32 v[0:1], v[0:1]
	s_movk_i32 s48, 0xffe0
	v_ldexp_f64 v[2:3], v[0:1], s48
	v_floor_f64_e32 v[2:3], v[2:3]
	v_fmac_f64_e32 v[0:1], 0xc1f00000, v[2:3]
	v_cvt_u32_f64_e32 v0, v[0:1]
	global_store_byte v[4:5], v0, off
.LBB7_714:
	s_branch .LBB7_790
.LBB7_715:
	s_mov_b64 s[52:53], 0
	s_branch .LBB7_549
.LBB7_716:
	s_mov_b64 s[0:1], s[36:37]
	s_branch .LBB7_747
.LBB7_717:
	s_mov_b64 s[0:1], s[36:37]
	s_branch .LBB7_730
.LBB7_718:
	s_mov_b64 s[0:1], s[36:37]
	s_branch .LBB7_726
.LBB7_719:
	s_mov_b64 s[0:1], s[36:37]
.LBB7_720:
	s_and_b64 vcc, exec, s[52:53]
	s_cbranch_vccz .LBB7_725
; %bb.721:
	v_mov_b32_e32 v2, 44
	v_cmp_eq_u16_sdwa s[52:53], v10, v2 src0_sel:BYTE_0 src1_sel:DWORD
	s_mov_b64 s[0:1], -1
	s_and_b64 vcc, exec, s[52:53]
	s_cbranch_vccz .LBB7_725
; %bb.722:
	v_cvt_f32_f64_e32 v2, v[0:1]
	v_bfe_u32 v3, v2, 23, 8
	s_movk_i32 s0, 0xff
	v_cmp_ne_u32_e32 vcc, s0, v3
	v_mov_b32_e32 v6, 0xff
	s_and_saveexec_b64 s[48:49], vcc
; %bb.723:
	s_mov_b32 s0, 0x3fffff
	v_lshrrev_b32_e32 v6, 23, v2
	v_and_b32_e32 v7, 0x400000, v2
	v_and_or_b32 v2, v2, s0, v3
	v_cmp_ne_u32_e32 vcc, 0, v7
	v_cmp_ne_u32_e64 s[0:1], 0, v2
	s_and_b64 s[0:1], vcc, s[0:1]
	v_cndmask_b32_e64 v2, 0, 1, s[0:1]
	v_add_u32_e32 v6, v6, v2
; %bb.724:
	s_or_b64 exec, exec, s[48:49]
	s_mov_b64 s[48:49], -1
	s_mov_b64 s[0:1], 0
	global_store_byte v[4:5], v6, off
.LBB7_725:
	s_mov_b64 s[52:53], 0
.LBB7_726:
	s_and_b64 vcc, exec, s[52:53]
	s_cbranch_vccz .LBB7_729
; %bb.727:
	v_mov_b32_e32 v2, 29
	v_cmp_eq_u16_sdwa s[52:53], v10, v2 src0_sel:BYTE_0 src1_sel:DWORD
	s_mov_b64 s[0:1], -1
	s_and_b64 vcc, exec, s[52:53]
	s_cbranch_vccz .LBB7_729
; %bb.728:
	v_trunc_f64_e32 v[2:3], v[0:1]
	s_movk_i32 s0, 0xffe0
	v_ldexp_f64 v[6:7], v[2:3], s0
	v_floor_f64_e32 v[6:7], v[6:7]
	v_fmac_f64_e32 v[2:3], 0xc1f00000, v[6:7]
	v_cvt_u32_f64_e32 v13, v[6:7]
	v_cvt_u32_f64_e32 v12, v[2:3]
	global_store_dwordx2 v[4:5], v[12:13], off
	s_mov_b64 s[48:49], -1
	s_mov_b64 s[0:1], 0
.LBB7_729:
	s_mov_b64 s[52:53], 0
.LBB7_730:
	s_and_b64 vcc, exec, s[52:53]
	s_cbranch_vccz .LBB7_746
; %bb.731:
	v_mov_b32_e32 v2, 27
	v_cmp_lt_i16_sdwa s[52:53], v10, v2 src0_sel:BYTE_0 src1_sel:DWORD
	s_mov_b64 s[48:49], -1
	s_and_b64 vcc, exec, s[52:53]
	s_cbranch_vccnz .LBB7_737
; %bb.732:
	v_cmp_gt_i16_sdwa s[52:53], v10, v2 src0_sel:BYTE_0 src1_sel:DWORD
	s_and_b64 vcc, exec, s[52:53]
	v_cvt_u32_f64_e32 v2, v[0:1]
	s_cbranch_vccz .LBB7_734
; %bb.733:
	s_mov_b64 s[48:49], 0
	global_store_dword v[4:5], v2, off
.LBB7_734:
	s_andn2_b64 vcc, exec, s[48:49]
	s_cbranch_vccnz .LBB7_736
; %bb.735:
	global_store_short v[4:5], v2, off
.LBB7_736:
	s_mov_b64 s[48:49], 0
.LBB7_737:
	s_andn2_b64 vcc, exec, s[48:49]
	s_cbranch_vccnz .LBB7_745
; %bb.738:
	v_cvt_f32_f64_e32 v2, v[0:1]
	v_and_b32_e32 v3, 0x7fffffff, v2
	s_mov_b32 s48, 0x43800000
	v_cmp_gt_u32_e32 vcc, s48, v3
	v_mov_b32_e32 v6, 0x80
	s_and_saveexec_b64 s[48:49], vcc
	s_cbranch_execz .LBB7_744
; %bb.739:
	s_mov_b32 s52, 0x3bffffff
	v_cmp_lt_u32_e32 vcc, s52, v3
	s_mov_b64 s[52:53], 0
                                        ; implicit-def: $vgpr3
	s_and_saveexec_b64 s[54:55], vcc
	s_xor_b64 s[54:55], exec, s[54:55]
	s_cbranch_execz .LBB7_817
; %bb.740:
	v_bfe_u32 v3, v2, 20, 1
	s_mov_b32 s56, 0x487ffff
	v_add3_u32 v3, v2, v3, s56
	s_mov_b64 s[52:53], exec
	v_lshrrev_b32_e32 v3, 20, v3
	s_or_saveexec_b64 s[54:55], s[54:55]
                                        ; implicit-def: $sgpr56
	s_xor_b64 exec, exec, s[54:55]
	s_cbranch_execnz .LBB7_818
.LBB7_741:
	s_or_b64 exec, exec, s[54:55]
	v_mov_b32_e32 v6, s56
	s_and_saveexec_b64 s[54:55], s[52:53]
.LBB7_742:
	v_lshrrev_b32_e32 v2, 24, v2
	s_movk_i32 s52, 0x80
	v_and_or_b32 v6, v2, s52, v3
.LBB7_743:
	s_or_b64 exec, exec, s[54:55]
.LBB7_744:
	s_or_b64 exec, exec, s[48:49]
	global_store_byte v[4:5], v6, off
.LBB7_745:
	s_mov_b64 s[48:49], -1
.LBB7_746:
	s_mov_b64 s[52:53], 0
.LBB7_747:
	s_and_b64 vcc, exec, s[52:53]
	s_cbranch_vccz .LBB7_788
; %bb.748:
	v_mov_b32_e32 v2, 22
	v_cmp_gt_i16_sdwa s[54:55], v10, v2 src0_sel:BYTE_0 src1_sel:DWORD
	s_mov_b64 s[52:53], -1
	s_and_b64 vcc, exec, s[54:55]
	s_cbranch_vccz .LBB7_780
; %bb.749:
	v_mov_b32_e32 v2, 24
	v_cmp_lt_i16_sdwa s[52:53], v10, v2 src0_sel:BYTE_0 src1_sel:DWORD
	s_mov_b64 s[48:49], -1
	s_and_b64 vcc, exec, s[52:53]
	s_cbranch_vccnz .LBB7_769
; %bb.750:
	v_cmp_gt_i16_sdwa s[52:53], v10, v2 src0_sel:BYTE_0 src1_sel:DWORD
	s_and_b64 vcc, exec, s[52:53]
	s_cbranch_vccz .LBB7_758
; %bb.751:
	v_cvt_f32_f64_e32 v2, v[0:1]
	v_and_b32_e32 v3, 0x7fffffff, v2
	s_mov_b32 s48, 0x47800000
	v_cmp_gt_u32_e32 vcc, s48, v3
	v_mov_b32_e32 v6, 0x80
	s_and_saveexec_b64 s[48:49], vcc
	s_cbranch_execz .LBB7_757
; %bb.752:
	s_mov_b32 s52, 0x37ffffff
	v_cmp_lt_u32_e32 vcc, s52, v3
	s_mov_b64 s[52:53], 0
                                        ; implicit-def: $vgpr3
	s_and_saveexec_b64 s[54:55], vcc
	s_xor_b64 s[54:55], exec, s[54:55]
	s_cbranch_execz .LBB7_949
; %bb.753:
	v_bfe_u32 v3, v2, 21, 1
	s_mov_b32 s56, 0x88fffff
	v_add3_u32 v3, v2, v3, s56
	s_mov_b64 s[52:53], exec
	v_lshrrev_b32_e32 v3, 21, v3
	s_or_saveexec_b64 s[54:55], s[54:55]
                                        ; implicit-def: $sgpr56
	s_xor_b64 exec, exec, s[54:55]
	s_cbranch_execnz .LBB7_950
.LBB7_754:
	s_or_b64 exec, exec, s[54:55]
	v_mov_b32_e32 v6, s56
	s_and_saveexec_b64 s[54:55], s[52:53]
.LBB7_755:
	v_lshrrev_b32_e32 v2, 24, v2
	s_movk_i32 s52, 0x80
	v_and_or_b32 v6, v2, s52, v3
.LBB7_756:
	s_or_b64 exec, exec, s[54:55]
.LBB7_757:
	s_or_b64 exec, exec, s[48:49]
	s_mov_b64 s[48:49], 0
	global_store_byte v[4:5], v6, off
.LBB7_758:
	s_and_b64 vcc, exec, s[48:49]
	s_cbranch_vccz .LBB7_768
; %bb.759:
	v_cvt_f32_f64_e32 v2, v[0:1]
	v_and_b32_e32 v6, 0x7fffffff, v2
	s_mov_b32 s48, 0x43f00000
	v_cmp_gt_u32_e32 vcc, s48, v6
                                        ; implicit-def: $vgpr3
	s_and_saveexec_b64 s[48:49], vcc
	s_xor_b64 s[48:49], exec, s[48:49]
	s_cbranch_execz .LBB7_765
; %bb.760:
	s_mov_b32 s52, 0x3c7fffff
	v_cmp_lt_u32_e32 vcc, s52, v6
                                        ; implicit-def: $vgpr3
	s_and_saveexec_b64 s[52:53], vcc
	s_xor_b64 s[52:53], exec, s[52:53]
; %bb.761:
	v_bfe_u32 v3, v2, 20, 1
	s_mov_b32 s54, 0x407ffff
	v_add3_u32 v3, v2, v3, s54
	v_lshrrev_b32_e32 v6, 20, v3
	v_and_b32_e32 v3, 0xff00000, v3
	s_mov_b32 s54, 0x7f00000
	v_mov_b32_e32 v7, 0x7e
	v_cmp_ne_u32_e32 vcc, s54, v3
	v_cndmask_b32_e32 v3, v7, v6, vcc
; %bb.762:
	s_andn2_saveexec_b64 s[52:53], s[52:53]
; %bb.763:
	s_mov_b32 s54, 0x46800000
	v_add_f32_e64 v3, |v2|, s54
; %bb.764:
	s_or_b64 exec, exec, s[52:53]
                                        ; implicit-def: $vgpr6
.LBB7_765:
	s_andn2_saveexec_b64 s[48:49], s[48:49]
; %bb.766:
	s_mov_b32 s52, 0x7f800000
	v_mov_b32_e32 v3, 0x7e
	v_mov_b32_e32 v7, 0x7f
	v_cmp_lt_u32_e32 vcc, s52, v6
	v_cndmask_b32_e32 v3, v3, v7, vcc
; %bb.767:
	s_or_b64 exec, exec, s[48:49]
	v_lshrrev_b32_e32 v2, 24, v2
	s_movk_i32 s48, 0x80
	v_and_or_b32 v2, v2, s48, v3
	global_store_byte v[4:5], v2, off
.LBB7_768:
	s_mov_b64 s[48:49], 0
.LBB7_769:
	s_andn2_b64 vcc, exec, s[48:49]
	s_cbranch_vccnz .LBB7_779
; %bb.770:
	v_cvt_f32_f64_e32 v2, v[0:1]
	v_and_b32_e32 v6, 0x7fffffff, v2
	s_mov_b32 s48, 0x47800000
	v_cmp_gt_u32_e32 vcc, s48, v6
                                        ; implicit-def: $vgpr3
	s_and_saveexec_b64 s[48:49], vcc
	s_xor_b64 s[48:49], exec, s[48:49]
	s_cbranch_execz .LBB7_776
; %bb.771:
	s_mov_b32 s52, 0x387fffff
	v_cmp_lt_u32_e32 vcc, s52, v6
                                        ; implicit-def: $vgpr3
	s_and_saveexec_b64 s[52:53], vcc
	s_xor_b64 s[52:53], exec, s[52:53]
; %bb.772:
	v_bfe_u32 v3, v2, 21, 1
	s_mov_b32 s54, 0x80fffff
	v_add3_u32 v3, v2, v3, s54
	v_lshrrev_b32_e32 v3, 21, v3
; %bb.773:
	s_andn2_saveexec_b64 s[52:53], s[52:53]
; %bb.774:
	s_mov_b32 s54, 0x43000000
	v_add_f32_e64 v3, |v2|, s54
; %bb.775:
	s_or_b64 exec, exec, s[52:53]
                                        ; implicit-def: $vgpr6
.LBB7_776:
	s_andn2_saveexec_b64 s[48:49], s[48:49]
; %bb.777:
	s_mov_b32 s52, 0x7f800000
	v_mov_b32_e32 v3, 0x7c
	v_mov_b32_e32 v7, 0x7f
	v_cmp_lt_u32_e32 vcc, s52, v6
	v_cndmask_b32_e32 v3, v3, v7, vcc
; %bb.778:
	s_or_b64 exec, exec, s[48:49]
	v_lshrrev_b32_e32 v2, 24, v2
	s_movk_i32 s48, 0x80
	v_and_or_b32 v2, v2, s48, v3
	global_store_byte v[4:5], v2, off
.LBB7_779:
	s_mov_b64 s[52:53], 0
	s_mov_b64 s[48:49], -1
.LBB7_780:
	s_andn2_b64 vcc, exec, s[52:53]
	s_cbranch_vccnz .LBB7_788
; %bb.781:
	v_mov_b32_e32 v2, 14
	v_cmp_gt_i16_sdwa s[54:55], v10, v2 src0_sel:BYTE_0 src1_sel:DWORD
	s_mov_b64 s[52:53], -1
	s_and_b64 vcc, exec, s[54:55]
	s_cbranch_vccz .LBB7_785
; %bb.782:
	v_mov_b32_e32 v2, 15
	v_cmp_eq_u16_sdwa s[52:53], v10, v2 src0_sel:BYTE_0 src1_sel:DWORD
	s_mov_b64 s[0:1], -1
	s_and_b64 vcc, exec, s[52:53]
	s_cbranch_vccz .LBB7_784
; %bb.783:
	v_cvt_f32_f64_e32 v2, v[0:1]
	v_bfe_u32 v3, v2, 16, 1
	s_movk_i32 s0, 0x7fff
	v_add3_u32 v3, v2, v3, s0
	v_lshrrev_b32_e32 v3, 16, v3
	v_mov_b32_e32 v6, 0x7fc0
	v_cmp_o_f32_e32 vcc, v2, v2
	v_cndmask_b32_e32 v2, v6, v3, vcc
	global_store_short v[4:5], v2, off
	s_mov_b64 s[48:49], -1
	s_mov_b64 s[0:1], 0
.LBB7_784:
	s_mov_b64 s[52:53], 0
.LBB7_785:
	s_and_b64 vcc, exec, s[52:53]
	s_cbranch_vccz .LBB7_788
; %bb.786:
	v_mov_b32_e32 v2, 11
	v_cmp_eq_u16_sdwa s[52:53], v10, v2 src0_sel:BYTE_0 src1_sel:DWORD
	s_mov_b64 s[0:1], -1
	s_and_b64 vcc, exec, s[52:53]
	s_cbranch_vccz .LBB7_788
; %bb.787:
	v_cmp_neq_f64_e32 vcc, 0, v[0:1]
	s_mov_b64 s[0:1], 0
	v_cndmask_b32_e64 v2, 0, 1, vcc
	s_mov_b64 s[48:49], -1
	global_store_byte v[4:5], v2, off
.LBB7_788:
.LBB7_789:
	s_andn2_b64 vcc, exec, s[48:49]
	s_cbranch_vccnz .LBB7_715
.LBB7_790:
	v_add_u32_e32 v16, 0x80, v16
	s_mov_b64 s[52:53], -1
.LBB7_791:
	s_andn2_b64 s[48:49], s[36:37], exec
	s_and_b64 s[0:1], s[0:1], exec
	s_or_b64 s[48:49], s[48:49], s[0:1]
	s_andn2_b64 s[0:1], s[38:39], exec
	s_and_b64 s[46:47], s[46:47], exec
	s_or_b64 s[46:47], s[0:1], s[46:47]
	;; [unrolled: 3-line block ×3, first 2 shown]
	s_orn2_b64 s[0:1], s[52:53], exec
.LBB7_792:
	s_or_b64 exec, exec, s[50:51]
	s_mov_b64 s[52:53], 0
	s_mov_b64 s[54:55], 0
	s_mov_b64 s[56:57], 0
                                        ; implicit-def: $vgpr1
                                        ; implicit-def: $vgpr6_vgpr7
                                        ; implicit-def: $vgpr0
                                        ; implicit-def: $vgpr2
                                        ; implicit-def: $vgpr4_vgpr5
	s_and_saveexec_b64 s[50:51], s[0:1]
	s_cbranch_execz .LBB7_1285
; %bb.793:
	v_cmp_gt_i32_e32 vcc, s66, v16
	s_mov_b64 s[64:65], -1
	s_mov_b64 s[0:1], s[44:45]
	s_mov_b64 s[56:57], s[46:47]
	;; [unrolled: 1-line block ×3, first 2 shown]
	s_and_saveexec_b64 s[52:53], vcc
	s_cbranch_execz .LBB7_1191
; %bb.794:
	s_andn2_b64 vcc, exec, s[20:21]
	s_cbranch_vccnz .LBB7_801
; %bb.795:
	s_andn2_b64 vcc, exec, s[34:35]
	v_mov_b32_e32 v4, 0
	s_waitcnt vmcnt(0)
	v_mov_b32_e32 v0, 0
	v_mov_b32_e32 v2, 0
	s_cbranch_vccnz .LBB7_800
; %bb.796:
	s_add_i32 s0, s69, 1
	s_and_b32 s54, s0, 30
	s_add_u32 s0, s2, 0xffffffec
	s_addc_u32 s1, s3, -1
	v_mov_b32_e32 v2, 0
	v_mov_b32_e32 v1, v16
	;; [unrolled: 1-line block ×4, first 2 shown]
.LBB7_797:                              ; =>This Inner Loop Header: Depth=1
	s_mov_b64 s[64:65], s[0:1]
	s_load_dwordx4 s[56:59], s[64:65], 0x18
	s_load_dwordx2 s[70:71], s[64:65], 0x28
	s_load_dwordx2 s[72:73], s[64:65], 0xe8
	s_load_dwordx4 s[60:63], s[64:65], 0xd8
	s_add_u32 s0, s64, 24
	s_waitcnt lgkmcnt(0)
	v_mul_hi_u32 v3, s57, v1
	v_add_u32_e32 v3, v1, v3
	v_lshrrev_b32_e32 v3, s58, v3
	v_mul_lo_u32 v5, v3, s56
	v_mul_hi_u32 v6, s70, v3
	v_sub_u32_e32 v1, v1, v5
	v_add_u32_e32 v5, v3, v6
	v_mul_lo_u32 v6, v1, s60
	v_mul_lo_u32 v7, v1, s61
	;; [unrolled: 1-line block ×3, first 2 shown]
	v_lshrrev_b32_e32 v1, s71, v5
	v_mul_lo_u32 v5, v1, s59
	v_sub_u32_e32 v3, v3, v5
	s_addc_u32 s1, s65, 0
	s_add_i32 s54, s54, -2
	v_mul_lo_u32 v5, v3, s63
	v_mul_lo_u32 v12, v3, s72
	;; [unrolled: 1-line block ×3, first 2 shown]
	s_cmp_eq_u32 s54, 0
	v_add3_u32 v2, v6, v2, v5
	v_add3_u32 v4, v9, v4, v3
	;; [unrolled: 1-line block ×3, first 2 shown]
	s_cbranch_scc0 .LBB7_797
; %bb.798:
	s_bitcmp1_b32 s69, 0
	s_cselect_b64 s[54:55], -1, 0
	s_and_b64 vcc, exec, s[54:55]
	s_cbranch_vccnz .LBB7_800
; %bb.799:
	s_load_dwordx2 s[54:55], s[0:1], 0x18
	s_load_dword s56, s[0:1], 0x20
	s_load_dword s57, s[0:1], 0xe0
	s_nop 0
	s_load_dwordx2 s[0:1], s[0:1], 0xd8
	s_waitcnt lgkmcnt(0)
	v_mul_hi_u32 v3, s55, v1
	v_add_u32_e32 v3, v1, v3
	v_lshrrev_b32_e32 v3, s56, v3
	v_mul_lo_u32 v3, v3, s54
	v_sub_u32_e32 v5, v1, v3
	v_mad_u64_u32 v[2:3], s[54:55], v5, s0, v[2:3]
	v_mad_u64_u32 v[0:1], s[0:1], v5, s1, v[0:1]
	;; [unrolled: 1-line block ×3, first 2 shown]
.LBB7_800:
	s_mov_b64 s[0:1], 0
	s_branch .LBB7_802
.LBB7_801:
	s_mov_b64 s[0:1], -1
                                        ; implicit-def: $vgpr4
                                        ; implicit-def: $vgpr0
                                        ; implicit-def: $vgpr2
.LBB7_802:
	s_andn2_b64 vcc, exec, s[0:1]
	s_cbranch_vccnz .LBB7_805
; %bb.803:
	s_waitcnt vmcnt(0) lgkmcnt(0)
	v_mul_hi_u32 v0, s17, v16
	v_add_u32_e32 v0, v16, v0
	v_lshrrev_b32_e32 v1, s18, v0
	v_mul_lo_u32 v0, v1, s16
	v_sub_u32_e32 v0, v16, v0
	v_mul_lo_u32 v2, v0, s12
	v_mul_lo_u32 v4, v0, s14
	s_andn2_b64 vcc, exec, s[30:31]
	v_mul_lo_u32 v0, v0, s13
	s_cbranch_vccnz .LBB7_805
; %bb.804:
	v_mul_hi_u32 v3, s28, v1
	v_add_u32_e32 v3, v1, v3
	v_lshrrev_b32_e32 v3, s29, v3
	v_mul_lo_u32 v3, v3, s19
	v_sub_u32_e32 v5, v1, v3
	v_mad_u64_u32 v[2:3], s[0:1], v5, s15, v[2:3]
	v_mad_u64_u32 v[0:1], s[0:1], v5, s26, v[0:1]
	;; [unrolled: 1-line block ×3, first 2 shown]
.LBB7_805:
	s_waitcnt vmcnt(0) lgkmcnt(0)
	v_mov_b32_e32 v1, s11
	v_add_co_u32_e32 v6, vcc, s10, v0
	v_mov_b32_e32 v0, 11
	v_addc_co_u32_e32 v7, vcc, 0, v1, vcc
	v_cmp_lt_i16_sdwa s[0:1], v8, v0 src0_sel:BYTE_0 src1_sel:DWORD
	s_and_b64 vcc, exec, s[0:1]
	s_cbranch_vccnz .LBB7_812
; %bb.806:
	v_mov_b32_e32 v0, 25
	v_cmp_gt_i16_sdwa s[0:1], v8, v0 src0_sel:BYTE_0 src1_sel:DWORD
	s_and_b64 vcc, exec, s[0:1]
	s_cbranch_vccz .LBB7_813
; %bb.807:
	v_mov_b32_e32 v0, 28
	v_cmp_gt_i16_sdwa s[0:1], v8, v0 src0_sel:BYTE_0 src1_sel:DWORD
	s_and_b64 vcc, exec, s[0:1]
	s_cbranch_vccz .LBB7_814
	;; [unrolled: 5-line block ×4, first 2 shown]
; %bb.810:
	v_mov_b32_e32 v0, 46
	v_cmp_eq_u16_sdwa s[0:1], v8, v0 src0_sel:BYTE_0 src1_sel:DWORD
	s_mov_b64 s[56:57], 0
	s_and_b64 vcc, exec, s[0:1]
	s_cbranch_vccz .LBB7_819
; %bb.811:
	global_load_dword v0, v[6:7], off
	s_mov_b64 s[0:1], -1
	s_mov_b64 s[54:55], 0
	s_waitcnt vmcnt(0)
	v_lshlrev_b32_e32 v0, 16, v0
	v_cvt_f64_f32_e32 v[0:1], v0
	s_branch .LBB7_820
.LBB7_812:
	s_mov_b64 s[56:57], -1
	s_mov_b64 s[0:1], 0
                                        ; implicit-def: $vgpr0_vgpr1
	s_mov_b64 s[54:55], s[44:45]
	s_branch .LBB7_885
.LBB7_813:
	s_mov_b64 s[56:57], -1
	s_mov_b64 s[0:1], 0
	s_mov_b64 s[54:55], s[44:45]
                                        ; implicit-def: $vgpr0_vgpr1
	s_branch .LBB7_849
.LBB7_814:
	s_mov_b64 s[56:57], -1
	s_mov_b64 s[0:1], 0
	s_mov_b64 s[54:55], s[44:45]
                                        ; implicit-def: $vgpr0_vgpr1
	s_branch .LBB7_830
.LBB7_815:
	s_mov_b64 s[56:57], -1
	s_mov_b64 s[0:1], 0
	s_mov_b64 s[54:55], s[44:45]
                                        ; implicit-def: $vgpr0_vgpr1
	s_branch .LBB7_825
.LBB7_816:
	s_mov_b64 s[56:57], -1
	s_mov_b64 s[0:1], 0
	s_mov_b64 s[54:55], s[44:45]
                                        ; implicit-def: $vgpr0_vgpr1
	s_branch .LBB7_820
.LBB7_817:
	s_or_saveexec_b64 s[54:55], s[54:55]
                                        ; implicit-def: $sgpr56
	s_xor_b64 exec, exec, s[54:55]
	s_cbranch_execz .LBB7_741
.LBB7_818:
	s_mov_b32 s56, 0x46000000
	v_add_f32_e64 v3, |v2|, s56
	v_and_b32_e32 v3, 0xff, v3
	v_cmp_ne_u32_e32 vcc, 0, v3
	s_andn2_b64 s[52:53], s[52:53], exec
	s_and_b64 s[58:59], vcc, exec
	s_mov_b32 s56, 0
	s_or_b64 s[52:53], s[52:53], s[58:59]
	s_or_b64 exec, exec, s[54:55]
	v_mov_b32_e32 v6, s56
	s_and_saveexec_b64 s[54:55], s[52:53]
	s_cbranch_execnz .LBB7_742
	s_branch .LBB7_743
.LBB7_819:
	s_mov_b64 s[54:55], -1
                                        ; implicit-def: $vgpr0_vgpr1
	s_mov_b64 s[0:1], 0
.LBB7_820:
	s_and_b64 vcc, exec, s[56:57]
	s_cbranch_vccz .LBB7_824
; %bb.821:
	v_mov_b32_e32 v0, 44
	v_cmp_eq_u16_sdwa s[54:55], v8, v0 src0_sel:BYTE_0 src1_sel:DWORD
	s_and_b64 vcc, exec, s[54:55]
	s_cbranch_vccz .LBB7_823
; %bb.822:
	global_load_ubyte v3, v[6:7], off
	s_movk_i32 s54, 0xff
	v_bfrev_b32_e32 v5, 4
	v_mov_b32_e32 v9, 0x7ff80000
	v_bfrev_b32_e32 v12, 28
	s_mov_b64 s[0:1], -1
	s_waitcnt vmcnt(0)
	v_lshlrev_b32_e32 v0, 23, v3
	v_cvt_f64_f32_e32 v[0:1], v0
	v_cmp_ne_u32_e32 vcc, s54, v3
	v_cndmask_b32_e32 v0, v5, v0, vcc
	v_cndmask_b32_e32 v1, v9, v1, vcc
	v_cmp_ne_u32_e32 vcc, 0, v3
	v_cndmask_b32_e32 v1, v12, v1, vcc
	v_cndmask_b32_e32 v0, 0, v0, vcc
	s_mov_b64 s[54:55], 0
	s_branch .LBB7_824
.LBB7_823:
	s_mov_b64 s[54:55], -1
                                        ; implicit-def: $vgpr0_vgpr1
.LBB7_824:
	s_mov_b64 s[56:57], 0
.LBB7_825:
	s_and_b64 vcc, exec, s[56:57]
	s_cbranch_vccz .LBB7_829
; %bb.826:
	v_mov_b32_e32 v0, 29
	v_cmp_eq_u16_sdwa s[54:55], v8, v0 src0_sel:BYTE_0 src1_sel:DWORD
	s_and_b64 vcc, exec, s[54:55]
	s_cbranch_vccz .LBB7_828
; %bb.827:
	global_load_dwordx2 v[0:1], v[6:7], off
	s_mov_b64 s[0:1], -1
	s_mov_b64 s[54:55], 0
	s_mov_b64 s[56:57], 0
	s_waitcnt vmcnt(0)
	v_cvt_f64_u32_e32 v[12:13], v1
	v_cvt_f64_u32_e32 v[0:1], v0
	v_ldexp_f64 v[12:13], v[12:13], 32
	v_add_f64 v[0:1], v[12:13], v[0:1]
	s_branch .LBB7_830
.LBB7_828:
	s_mov_b64 s[54:55], -1
                                        ; implicit-def: $vgpr0_vgpr1
.LBB7_829:
	s_mov_b64 s[56:57], 0
.LBB7_830:
	s_and_b64 vcc, exec, s[56:57]
	s_cbranch_vccz .LBB7_848
; %bb.831:
	v_mov_b32_e32 v0, 27
	v_cmp_lt_i16_sdwa s[0:1], v8, v0 src0_sel:BYTE_0 src1_sel:DWORD
	s_and_b64 vcc, exec, s[0:1]
	s_cbranch_vccnz .LBB7_834
; %bb.832:
	v_cmp_gt_i16_sdwa s[0:1], v8, v0 src0_sel:BYTE_0 src1_sel:DWORD
	s_and_b64 vcc, exec, s[0:1]
	s_cbranch_vccz .LBB7_835
; %bb.833:
	global_load_dword v0, v[6:7], off
	s_mov_b64 s[0:1], 0
	s_waitcnt vmcnt(0)
	v_cvt_f64_u32_e32 v[0:1], v0
	s_branch .LBB7_836
.LBB7_834:
	s_mov_b64 s[0:1], -1
                                        ; implicit-def: $vgpr0_vgpr1
	s_branch .LBB7_839
.LBB7_835:
	s_mov_b64 s[0:1], -1
                                        ; implicit-def: $vgpr0_vgpr1
.LBB7_836:
	s_andn2_b64 vcc, exec, s[0:1]
	s_cbranch_vccnz .LBB7_838
; %bb.837:
	global_load_ushort v0, v[6:7], off
	s_waitcnt vmcnt(0)
	v_cvt_f64_u32_e32 v[0:1], v0
.LBB7_838:
	s_mov_b64 s[0:1], 0
.LBB7_839:
	s_andn2_b64 vcc, exec, s[0:1]
	s_cbranch_vccnz .LBB7_847
; %bb.840:
	global_load_ubyte v3, v[6:7], off
	s_movk_i32 s0, 0x7f
                                        ; implicit-def: $sgpr56_sgpr57
	s_waitcnt vmcnt(0)
	v_cmp_lt_i16_e32 vcc, s0, v3
	s_mov_b64 s[0:1], 0
	s_and_saveexec_b64 s[58:59], vcc
	s_xor_b64 s[58:59], exec, s[58:59]
	s_cbranch_execz .LBB7_861
; %bb.841:
	s_movk_i32 s0, 0x80
	v_cmp_eq_u16_e32 vcc, s0, v3
	s_mov_b64 s[60:61], -1
                                        ; implicit-def: $sgpr56_sgpr57
	s_and_saveexec_b64 s[0:1], vcc
; %bb.842:
	s_mov_b32 s57, 0x7ff80000
	s_brev_b32 s56, 4
	s_xor_b64 s[60:61], exec, -1
; %bb.843:
	s_or_b64 exec, exec, s[0:1]
	s_and_b64 s[0:1], s[60:61], exec
	s_or_saveexec_b64 s[58:59], s[58:59]
	v_pk_mov_b32 v[0:1], s[56:57], s[56:57] op_sel:[0,1]
	s_xor_b64 exec, exec, s[58:59]
	s_cbranch_execnz .LBB7_862
.LBB7_844:
	s_or_b64 exec, exec, s[58:59]
	s_and_saveexec_b64 s[56:57], s[0:1]
	s_cbranch_execz .LBB7_846
.LBB7_845:
	v_and_b32_e32 v1, 0xffff, v3
	v_lshlrev_b32_e32 v0, 24, v3
	v_and_b32_e32 v3, 7, v1
	v_ffbh_u32_e32 v9, v3
	v_min_u32_e32 v9, 32, v9
	v_subrev_u32_e32 v12, 28, v9
	v_bfe_u32 v5, v1, 3, 4
	v_lshlrev_b32_e32 v1, v12, v1
	v_sub_u32_e32 v9, 29, v9
	v_and_b32_e32 v1, 7, v1
	v_cmp_eq_u32_e32 vcc, 0, v5
	v_cndmask_b32_e32 v5, v5, v9, vcc
	v_cndmask_b32_e32 v1, v3, v1, vcc
	v_mov_b32_e32 v3, 0x3b800000
	v_lshlrev_b32_e32 v1, 20, v1
	v_and_b32_e32 v0, 0x80000000, v0
	v_lshl_add_u32 v3, v5, 23, v3
	v_or3_b32 v0, v0, v3, v1
	v_cvt_f64_f32_e32 v[0:1], v0
.LBB7_846:
	s_or_b64 exec, exec, s[56:57]
.LBB7_847:
	s_mov_b64 s[0:1], -1
.LBB7_848:
	s_mov_b64 s[56:57], 0
.LBB7_849:
	s_and_b64 vcc, exec, s[56:57]
	s_cbranch_vccz .LBB7_884
; %bb.850:
	v_mov_b32_e32 v0, 22
	v_cmp_gt_i16_sdwa s[56:57], v8, v0 src0_sel:BYTE_0 src1_sel:DWORD
	s_and_b64 vcc, exec, s[56:57]
	s_cbranch_vccz .LBB7_860
; %bb.851:
	v_mov_b32_e32 v0, 24
	v_cmp_lt_i16_sdwa s[0:1], v8, v0 src0_sel:BYTE_0 src1_sel:DWORD
	s_and_b64 vcc, exec, s[0:1]
	s_cbranch_vccnz .LBB7_863
; %bb.852:
	v_cmp_gt_i16_sdwa s[0:1], v8, v0 src0_sel:BYTE_0 src1_sel:DWORD
	s_and_b64 vcc, exec, s[0:1]
	s_cbranch_vccz .LBB7_864
; %bb.853:
	global_load_ubyte v3, v[6:7], off
	s_movk_i32 s0, 0x7f
                                        ; implicit-def: $sgpr56_sgpr57
	s_waitcnt vmcnt(0)
	v_cmp_lt_i16_e32 vcc, s0, v3
	s_mov_b64 s[0:1], 0
	s_and_saveexec_b64 s[58:59], vcc
	s_xor_b64 s[58:59], exec, s[58:59]
	s_cbranch_execz .LBB7_876
; %bb.854:
	s_movk_i32 s0, 0x80
	v_cmp_eq_u16_e32 vcc, s0, v3
	s_mov_b64 s[60:61], -1
                                        ; implicit-def: $sgpr56_sgpr57
	s_and_saveexec_b64 s[0:1], vcc
; %bb.855:
	s_mov_b32 s57, 0x7ff80000
	s_brev_b32 s56, 4
	s_xor_b64 s[60:61], exec, -1
; %bb.856:
	s_or_b64 exec, exec, s[0:1]
	s_and_b64 s[0:1], s[60:61], exec
	s_or_saveexec_b64 s[58:59], s[58:59]
	v_pk_mov_b32 v[0:1], s[56:57], s[56:57] op_sel:[0,1]
	s_xor_b64 exec, exec, s[58:59]
	s_cbranch_execnz .LBB7_877
.LBB7_857:
	s_or_b64 exec, exec, s[58:59]
	s_and_saveexec_b64 s[56:57], s[0:1]
	s_cbranch_execz .LBB7_859
.LBB7_858:
	v_and_b32_e32 v1, 0xffff, v3
	v_lshlrev_b32_e32 v0, 24, v3
	v_and_b32_e32 v3, 3, v1
	v_ffbh_u32_e32 v9, v3
	v_min_u32_e32 v9, 32, v9
	v_subrev_u32_e32 v12, 29, v9
	v_bfe_u32 v5, v1, 2, 5
	v_lshlrev_b32_e32 v1, v12, v1
	v_sub_u32_e32 v9, 30, v9
	v_and_b32_e32 v1, 3, v1
	v_cmp_eq_u32_e32 vcc, 0, v5
	v_cndmask_b32_e32 v5, v5, v9, vcc
	v_cndmask_b32_e32 v1, v3, v1, vcc
	v_mov_b32_e32 v3, 0x37800000
	v_lshlrev_b32_e32 v1, 21, v1
	v_and_b32_e32 v0, 0x80000000, v0
	v_lshl_add_u32 v3, v5, 23, v3
	v_or3_b32 v0, v0, v3, v1
	v_cvt_f64_f32_e32 v[0:1], v0
.LBB7_859:
	s_or_b64 exec, exec, s[56:57]
	s_mov_b64 s[0:1], 0
	s_branch .LBB7_865
.LBB7_860:
	s_mov_b64 s[56:57], -1
                                        ; implicit-def: $vgpr0_vgpr1
	s_branch .LBB7_871
.LBB7_861:
	s_or_saveexec_b64 s[58:59], s[58:59]
	v_pk_mov_b32 v[0:1], s[56:57], s[56:57] op_sel:[0,1]
	s_xor_b64 exec, exec, s[58:59]
	s_cbranch_execz .LBB7_844
.LBB7_862:
	v_cmp_ne_u16_e32 vcc, 0, v3
	s_andn2_b64 s[0:1], s[0:1], exec
	s_and_b64 s[56:57], vcc, exec
	v_pk_mov_b32 v[0:1], 0, 0
	s_or_b64 s[0:1], s[0:1], s[56:57]
	s_or_b64 exec, exec, s[58:59]
	s_and_saveexec_b64 s[56:57], s[0:1]
	s_cbranch_execnz .LBB7_845
	s_branch .LBB7_846
.LBB7_863:
	s_mov_b64 s[0:1], -1
                                        ; implicit-def: $vgpr0_vgpr1
	s_branch .LBB7_868
.LBB7_864:
	s_mov_b64 s[0:1], -1
                                        ; implicit-def: $vgpr0_vgpr1
.LBB7_865:
	s_and_b64 vcc, exec, s[0:1]
	s_cbranch_vccz .LBB7_867
; %bb.866:
	global_load_ubyte v0, v[6:7], off
	s_mov_b32 s0, 0x7f800000
	s_waitcnt vmcnt(0)
	v_lshlrev_b32_e32 v0, 24, v0
	v_and_b32_e32 v1, 0x7f000000, v0
	v_ffbh_u32_e32 v3, v1
	v_min_u32_e32 v3, 32, v3
	v_sub_u32_e64 v3, v3, 4 clamp
	v_lshlrev_b32_e32 v9, v3, v1
	v_lshlrev_b32_e32 v3, 23, v3
	v_lshrrev_b32_e32 v9, 4, v9
	v_add_u32_e32 v5, 0x1000000, v1
	v_sub_u32_e32 v3, v9, v3
	v_ashrrev_i32_e32 v5, 8, v5
	v_add_u32_e32 v3, 0x3c000000, v3
	v_and_or_b32 v3, v5, s0, v3
	v_cmp_ne_u32_e32 vcc, 0, v1
	v_cndmask_b32_e32 v1, 0, v3, vcc
	s_brev_b32 s0, 1
	v_and_or_b32 v0, v0, s0, v1
	v_cvt_f64_f32_e32 v[0:1], v0
.LBB7_867:
	s_mov_b64 s[0:1], 0
.LBB7_868:
	s_andn2_b64 vcc, exec, s[0:1]
	s_cbranch_vccnz .LBB7_870
; %bb.869:
	global_load_ubyte v0, v[6:7], off
	s_movk_i32 s0, 0x7f00
	s_brev_b32 s1, 16
	s_waitcnt vmcnt(0)
	v_lshlrev_b16_e32 v1, 8, v0
	v_lshlrev_b32_e32 v0, 25, v0
	v_lshrrev_b32_e32 v3, 4, v0
	v_and_or_b32 v5, v1, s0, 0.5
	v_or_b32_e32 v3, 0x70000000, v3
	v_add_f32_e32 v5, -0.5, v5
	v_mul_f32_e32 v3, 0x7800000, v3
	v_cmp_gt_u32_e32 vcc, s1, v0
	v_bfe_i32 v1, v1, 0, 16
	v_cndmask_b32_e32 v0, v3, v5, vcc
	s_brev_b32 s0, 1
	v_and_or_b32 v0, v1, s0, v0
	v_cvt_f64_f32_e32 v[0:1], v0
.LBB7_870:
	s_mov_b64 s[56:57], 0
	s_mov_b64 s[0:1], -1
.LBB7_871:
	s_andn2_b64 vcc, exec, s[56:57]
	s_cbranch_vccnz .LBB7_884
; %bb.872:
	v_mov_b32_e32 v0, 14
	v_cmp_gt_i16_sdwa s[56:57], v8, v0 src0_sel:BYTE_0 src1_sel:DWORD
	s_and_b64 vcc, exec, s[56:57]
	s_cbranch_vccz .LBB7_875
; %bb.873:
	v_mov_b32_e32 v0, 15
	v_cmp_eq_u16_sdwa s[54:55], v8, v0 src0_sel:BYTE_0 src1_sel:DWORD
	s_and_b64 vcc, exec, s[54:55]
	s_cbranch_vccz .LBB7_878
; %bb.874:
	global_load_ushort v0, v[6:7], off
	s_mov_b64 s[0:1], -1
	s_mov_b64 s[54:55], 0
	s_waitcnt vmcnt(0)
	v_lshlrev_b32_e32 v0, 16, v0
	v_cvt_f64_f32_e32 v[0:1], v0
	s_branch .LBB7_879
.LBB7_875:
	s_mov_b64 s[56:57], -1
                                        ; implicit-def: $vgpr0_vgpr1
	s_branch .LBB7_880
.LBB7_876:
	s_or_saveexec_b64 s[58:59], s[58:59]
	v_pk_mov_b32 v[0:1], s[56:57], s[56:57] op_sel:[0,1]
	s_xor_b64 exec, exec, s[58:59]
	s_cbranch_execz .LBB7_857
.LBB7_877:
	v_cmp_ne_u16_e32 vcc, 0, v3
	s_andn2_b64 s[0:1], s[0:1], exec
	s_and_b64 s[56:57], vcc, exec
	v_pk_mov_b32 v[0:1], 0, 0
	s_or_b64 s[0:1], s[0:1], s[56:57]
	s_or_b64 exec, exec, s[58:59]
	s_and_saveexec_b64 s[56:57], s[0:1]
	s_cbranch_execnz .LBB7_858
	s_branch .LBB7_859
.LBB7_878:
	s_mov_b64 s[54:55], -1
                                        ; implicit-def: $vgpr0_vgpr1
.LBB7_879:
	s_mov_b64 s[56:57], 0
.LBB7_880:
	s_and_b64 vcc, exec, s[56:57]
	s_cbranch_vccz .LBB7_884
; %bb.881:
	v_mov_b32_e32 v0, 11
	v_cmp_eq_u16_sdwa s[54:55], v8, v0 src0_sel:BYTE_0 src1_sel:DWORD
	s_and_b64 vcc, exec, s[54:55]
	s_cbranch_vccz .LBB7_883
; %bb.882:
	global_load_ubyte v1, v[6:7], off
	v_mov_b32_e32 v3, 0x3ff00000
	v_mov_b32_e32 v0, 0
	s_mov_b64 s[0:1], -1
	s_mov_b64 s[54:55], 0
	s_waitcnt vmcnt(0)
	v_cmp_ne_u16_e32 vcc, 0, v1
	v_cndmask_b32_e32 v1, 0, v3, vcc
	s_branch .LBB7_884
.LBB7_883:
	s_mov_b64 s[54:55], -1
                                        ; implicit-def: $vgpr0_vgpr1
.LBB7_884:
	s_mov_b64 s[56:57], 0
.LBB7_885:
	s_and_b64 vcc, exec, s[56:57]
	s_cbranch_vccz .LBB7_934
; %bb.886:
	v_mov_b32_e32 v0, 5
	v_cmp_lt_i16_sdwa s[0:1], v8, v0 src0_sel:BYTE_0 src1_sel:DWORD
	s_and_b64 vcc, exec, s[0:1]
	s_cbranch_vccnz .LBB7_891
; %bb.887:
	v_mov_b32_e32 v0, 8
	v_cmp_lt_i16_sdwa s[0:1], v8, v0 src0_sel:BYTE_0 src1_sel:DWORD
	s_and_b64 vcc, exec, s[0:1]
	s_cbranch_vccnz .LBB7_892
	;; [unrolled: 5-line block ×3, first 2 shown]
; %bb.889:
	v_cmp_gt_i16_sdwa s[0:1], v8, v0 src0_sel:BYTE_0 src1_sel:DWORD
	s_and_b64 vcc, exec, s[0:1]
	s_cbranch_vccz .LBB7_894
; %bb.890:
	global_load_dwordx2 v[0:1], v[6:7], off
	s_mov_b64 s[0:1], 0
	s_branch .LBB7_895
.LBB7_891:
	s_mov_b64 s[0:1], -1
                                        ; implicit-def: $vgpr0_vgpr1
	s_branch .LBB7_913
.LBB7_892:
	s_mov_b64 s[0:1], -1
                                        ; implicit-def: $vgpr0_vgpr1
	s_branch .LBB7_901
.LBB7_893:
	s_mov_b64 s[0:1], -1
                                        ; implicit-def: $vgpr0_vgpr1
	s_branch .LBB7_898
.LBB7_894:
	s_mov_b64 s[0:1], -1
                                        ; implicit-def: $vgpr0_vgpr1
.LBB7_895:
	s_andn2_b64 vcc, exec, s[0:1]
	s_cbranch_vccnz .LBB7_897
; %bb.896:
	global_load_dword v0, v[6:7], off
	s_waitcnt vmcnt(0)
	v_cvt_f64_f32_e32 v[0:1], v0
.LBB7_897:
	s_mov_b64 s[0:1], 0
.LBB7_898:
	s_andn2_b64 vcc, exec, s[0:1]
	s_cbranch_vccnz .LBB7_900
; %bb.899:
	global_load_dword v0, v[6:7], off
	s_waitcnt vmcnt(0)
	v_cvt_f32_f16_e32 v0, v0
	v_cvt_f64_f32_e32 v[0:1], v0
.LBB7_900:
	s_mov_b64 s[0:1], 0
.LBB7_901:
	s_andn2_b64 vcc, exec, s[0:1]
	s_cbranch_vccnz .LBB7_912
; %bb.902:
	s_waitcnt vmcnt(0)
	v_mov_b32_e32 v0, 6
	v_cmp_lt_i16_sdwa s[0:1], v8, v0 src0_sel:BYTE_0 src1_sel:DWORD
	s_and_b64 vcc, exec, s[0:1]
	s_cbranch_vccnz .LBB7_905
; %bb.903:
	v_cmp_gt_i16_sdwa s[0:1], v8, v0 src0_sel:BYTE_0 src1_sel:DWORD
	s_and_b64 vcc, exec, s[0:1]
	s_cbranch_vccz .LBB7_906
; %bb.904:
	global_load_dwordx2 v[0:1], v[6:7], off
	s_mov_b64 s[0:1], 0
	s_branch .LBB7_907
.LBB7_905:
	s_mov_b64 s[0:1], -1
                                        ; implicit-def: $vgpr0_vgpr1
	s_branch .LBB7_910
.LBB7_906:
	s_mov_b64 s[0:1], -1
                                        ; implicit-def: $vgpr0_vgpr1
.LBB7_907:
	s_andn2_b64 vcc, exec, s[0:1]
	s_cbranch_vccnz .LBB7_909
; %bb.908:
	global_load_dword v0, v[6:7], off
	s_waitcnt vmcnt(0)
	v_cvt_f64_f32_e32 v[0:1], v0
.LBB7_909:
	s_mov_b64 s[0:1], 0
.LBB7_910:
	s_andn2_b64 vcc, exec, s[0:1]
	s_cbranch_vccnz .LBB7_912
; %bb.911:
	global_load_ushort v0, v[6:7], off
	s_waitcnt vmcnt(0)
	v_cvt_f32_f16_e32 v0, v0
	v_cvt_f64_f32_e32 v[0:1], v0
.LBB7_912:
	s_mov_b64 s[0:1], 0
.LBB7_913:
	s_andn2_b64 vcc, exec, s[0:1]
	s_cbranch_vccnz .LBB7_933
; %bb.914:
	s_waitcnt vmcnt(0)
	v_mov_b32_e32 v0, 2
	v_cmp_lt_i16_sdwa s[0:1], v8, v0 src0_sel:BYTE_0 src1_sel:DWORD
	s_and_b64 vcc, exec, s[0:1]
	s_cbranch_vccnz .LBB7_918
; %bb.915:
	v_mov_b32_e32 v0, 3
	v_cmp_lt_i16_sdwa s[0:1], v8, v0 src0_sel:BYTE_0 src1_sel:DWORD
	s_and_b64 vcc, exec, s[0:1]
	s_cbranch_vccnz .LBB7_919
; %bb.916:
	v_cmp_gt_i16_sdwa s[0:1], v8, v0 src0_sel:BYTE_0 src1_sel:DWORD
	s_and_b64 vcc, exec, s[0:1]
	s_cbranch_vccz .LBB7_920
; %bb.917:
	global_load_dwordx2 v[0:1], v[6:7], off
	s_mov_b64 s[0:1], 0
	s_waitcnt vmcnt(0)
	v_cvt_f64_i32_e32 v[12:13], v1
	v_cvt_f64_u32_e32 v[0:1], v0
	v_ldexp_f64 v[12:13], v[12:13], 32
	v_add_f64 v[0:1], v[12:13], v[0:1]
	s_branch .LBB7_921
.LBB7_918:
	s_mov_b64 s[0:1], -1
                                        ; implicit-def: $vgpr0_vgpr1
	s_branch .LBB7_927
.LBB7_919:
	s_mov_b64 s[0:1], -1
                                        ; implicit-def: $vgpr0_vgpr1
	s_branch .LBB7_924
.LBB7_920:
	s_mov_b64 s[0:1], -1
                                        ; implicit-def: $vgpr0_vgpr1
.LBB7_921:
	s_andn2_b64 vcc, exec, s[0:1]
	s_cbranch_vccnz .LBB7_923
; %bb.922:
	global_load_dword v0, v[6:7], off
	s_waitcnt vmcnt(0)
	v_cvt_f64_i32_e32 v[0:1], v0
.LBB7_923:
	s_mov_b64 s[0:1], 0
.LBB7_924:
	s_andn2_b64 vcc, exec, s[0:1]
	s_cbranch_vccnz .LBB7_926
; %bb.925:
	global_load_sshort v0, v[6:7], off
	s_waitcnt vmcnt(0)
	v_cvt_f64_i32_e32 v[0:1], v0
.LBB7_926:
	s_mov_b64 s[0:1], 0
.LBB7_927:
	s_andn2_b64 vcc, exec, s[0:1]
	s_cbranch_vccnz .LBB7_933
; %bb.928:
	v_mov_b32_e32 v0, 0
	v_cmp_gt_i16_sdwa s[0:1], v8, v0 src0_sel:BYTE_0 src1_sel:DWORD
	s_and_b64 vcc, exec, s[0:1]
	s_cbranch_vccz .LBB7_930
; %bb.929:
	global_load_sbyte v0, v[6:7], off
	s_mov_b64 s[0:1], 0
	s_waitcnt vmcnt(0)
	v_cvt_f64_i32_e32 v[0:1], v0
	s_branch .LBB7_931
.LBB7_930:
	s_mov_b64 s[0:1], -1
                                        ; implicit-def: $vgpr0_vgpr1
.LBB7_931:
	s_andn2_b64 vcc, exec, s[0:1]
	s_cbranch_vccnz .LBB7_933
; %bb.932:
	global_load_ubyte v0, v[6:7], off
	s_waitcnt vmcnt(0)
	v_cvt_f64_u32_e32 v[0:1], v0
.LBB7_933:
	s_mov_b64 s[0:1], -1
.LBB7_934:
	s_andn2_b64 vcc, exec, s[0:1]
	s_cbranch_vccnz .LBB7_942
; %bb.935:
	v_mov_b32_e32 v3, s25
	v_add_co_u32_e32 v4, vcc, s24, v4
	v_addc_co_u32_e32 v5, vcc, 0, v3, vcc
	v_mov_b32_e32 v3, 11
	v_cmp_lt_i16_sdwa s[0:1], v11, v3 src0_sel:BYTE_0 src1_sel:DWORD
	s_and_b64 vcc, exec, s[0:1]
	s_cbranch_vccnz .LBB7_944
; %bb.936:
	v_mov_b32_e32 v3, 25
	v_cmp_gt_i16_sdwa s[0:1], v11, v3 src0_sel:BYTE_0 src1_sel:DWORD
	s_and_b64 vcc, exec, s[0:1]
	s_cbranch_vccz .LBB7_945
; %bb.937:
	v_mov_b32_e32 v3, 28
	v_cmp_gt_i16_sdwa s[0:1], v11, v3 src0_sel:BYTE_0 src1_sel:DWORD
	s_and_b64 vcc, exec, s[0:1]
	s_cbranch_vccz .LBB7_946
	;; [unrolled: 5-line block ×4, first 2 shown]
; %bb.940:
	v_mov_b32_e32 v3, 46
	v_cmp_eq_u16_sdwa s[0:1], v11, v3 src0_sel:BYTE_0 src1_sel:DWORD
	s_mov_b64 s[58:59], 0
	s_and_b64 vcc, exec, s[0:1]
	s_cbranch_vccz .LBB7_951
; %bb.941:
	global_load_dword v3, v[4:5], off
	s_mov_b64 s[0:1], -1
	s_mov_b64 s[56:57], 0
	s_waitcnt vmcnt(0)
	v_lshlrev_b32_e32 v3, 16, v3
	v_cvt_f64_f32_e32 v[6:7], v3
	s_branch .LBB7_952
.LBB7_942:
	s_mov_b64 s[60:61], 0
	s_mov_b64 s[0:1], s[48:49]
	;; [unrolled: 1-line block ×3, first 2 shown]
.LBB7_943:
                                        ; implicit-def: $vgpr16
	s_branch .LBB7_1190
.LBB7_944:
	s_mov_b64 s[58:59], -1
	s_mov_b64 s[0:1], 0
                                        ; implicit-def: $vgpr6_vgpr7
	s_mov_b64 s[56:57], s[46:47]
	s_branch .LBB7_1017
.LBB7_945:
	s_mov_b64 s[58:59], -1
	s_mov_b64 s[0:1], 0
	s_mov_b64 s[56:57], s[46:47]
                                        ; implicit-def: $vgpr6_vgpr7
	s_branch .LBB7_981
.LBB7_946:
	s_mov_b64 s[58:59], -1
	s_mov_b64 s[0:1], 0
	s_mov_b64 s[56:57], s[46:47]
                                        ; implicit-def: $vgpr6_vgpr7
	s_branch .LBB7_962
.LBB7_947:
	s_mov_b64 s[58:59], -1
	s_mov_b64 s[0:1], 0
	s_mov_b64 s[56:57], s[46:47]
                                        ; implicit-def: $vgpr6_vgpr7
	s_branch .LBB7_957
.LBB7_948:
	s_mov_b64 s[58:59], -1
	s_mov_b64 s[0:1], 0
	s_mov_b64 s[56:57], s[46:47]
                                        ; implicit-def: $vgpr6_vgpr7
	s_branch .LBB7_952
.LBB7_949:
	s_or_saveexec_b64 s[54:55], s[54:55]
                                        ; implicit-def: $sgpr56
	s_xor_b64 exec, exec, s[54:55]
	s_cbranch_execz .LBB7_754
.LBB7_950:
	s_mov_b32 s56, 0x42800000
	v_add_f32_e64 v3, |v2|, s56
	v_and_b32_e32 v3, 0xff, v3
	v_cmp_ne_u32_e32 vcc, 0, v3
	s_andn2_b64 s[52:53], s[52:53], exec
	s_and_b64 s[58:59], vcc, exec
	s_mov_b32 s56, 0
	s_or_b64 s[52:53], s[52:53], s[58:59]
	s_or_b64 exec, exec, s[54:55]
	v_mov_b32_e32 v6, s56
	s_and_saveexec_b64 s[54:55], s[52:53]
	s_cbranch_execnz .LBB7_755
	s_branch .LBB7_756
.LBB7_951:
	s_mov_b64 s[56:57], -1
                                        ; implicit-def: $vgpr6_vgpr7
	s_mov_b64 s[0:1], 0
.LBB7_952:
	s_and_b64 vcc, exec, s[58:59]
	s_cbranch_vccz .LBB7_956
; %bb.953:
	v_mov_b32_e32 v3, 44
	v_cmp_eq_u16_sdwa s[56:57], v11, v3 src0_sel:BYTE_0 src1_sel:DWORD
	s_and_b64 vcc, exec, s[56:57]
	s_cbranch_vccz .LBB7_955
; %bb.954:
	global_load_ubyte v3, v[4:5], off
	s_movk_i32 s56, 0xff
	v_bfrev_b32_e32 v9, 4
	v_mov_b32_e32 v12, 0x7ff80000
	v_bfrev_b32_e32 v13, 28
	s_mov_b64 s[0:1], -1
	s_waitcnt vmcnt(0)
	v_lshlrev_b32_e32 v6, 23, v3
	v_cvt_f64_f32_e32 v[6:7], v6
	v_cmp_ne_u32_e32 vcc, s56, v3
	v_cndmask_b32_e32 v6, v9, v6, vcc
	v_cndmask_b32_e32 v7, v12, v7, vcc
	v_cmp_ne_u32_e32 vcc, 0, v3
	v_cndmask_b32_e32 v7, v13, v7, vcc
	v_cndmask_b32_e32 v6, 0, v6, vcc
	s_mov_b64 s[56:57], 0
	s_branch .LBB7_956
.LBB7_955:
	s_mov_b64 s[56:57], -1
                                        ; implicit-def: $vgpr6_vgpr7
.LBB7_956:
	s_mov_b64 s[58:59], 0
.LBB7_957:
	s_and_b64 vcc, exec, s[58:59]
	s_cbranch_vccz .LBB7_961
; %bb.958:
	v_mov_b32_e32 v3, 29
	v_cmp_eq_u16_sdwa s[56:57], v11, v3 src0_sel:BYTE_0 src1_sel:DWORD
	s_and_b64 vcc, exec, s[56:57]
	s_cbranch_vccz .LBB7_960
; %bb.959:
	global_load_dwordx2 v[6:7], v[4:5], off
	s_mov_b64 s[0:1], -1
	s_mov_b64 s[56:57], 0
	s_mov_b64 s[58:59], 0
	s_waitcnt vmcnt(0)
	v_cvt_f64_u32_e32 v[12:13], v7
	v_cvt_f64_u32_e32 v[6:7], v6
	v_ldexp_f64 v[12:13], v[12:13], 32
	v_add_f64 v[6:7], v[12:13], v[6:7]
	s_branch .LBB7_962
.LBB7_960:
	s_mov_b64 s[56:57], -1
                                        ; implicit-def: $vgpr6_vgpr7
.LBB7_961:
	s_mov_b64 s[58:59], 0
.LBB7_962:
	s_and_b64 vcc, exec, s[58:59]
	s_cbranch_vccz .LBB7_980
; %bb.963:
	v_mov_b32_e32 v3, 27
	v_cmp_lt_i16_sdwa s[0:1], v11, v3 src0_sel:BYTE_0 src1_sel:DWORD
	s_and_b64 vcc, exec, s[0:1]
	s_cbranch_vccnz .LBB7_966
; %bb.964:
	v_cmp_gt_i16_sdwa s[0:1], v11, v3 src0_sel:BYTE_0 src1_sel:DWORD
	s_and_b64 vcc, exec, s[0:1]
	s_cbranch_vccz .LBB7_967
; %bb.965:
	global_load_dword v3, v[4:5], off
	s_mov_b64 s[0:1], 0
	s_waitcnt vmcnt(0)
	v_cvt_f64_u32_e32 v[6:7], v3
	s_branch .LBB7_968
.LBB7_966:
	s_mov_b64 s[0:1], -1
                                        ; implicit-def: $vgpr6_vgpr7
	s_branch .LBB7_971
.LBB7_967:
	s_mov_b64 s[0:1], -1
                                        ; implicit-def: $vgpr6_vgpr7
.LBB7_968:
	s_andn2_b64 vcc, exec, s[0:1]
	s_cbranch_vccnz .LBB7_970
; %bb.969:
	global_load_ushort v3, v[4:5], off
	s_waitcnt vmcnt(0)
	v_cvt_f64_u32_e32 v[6:7], v3
.LBB7_970:
	s_mov_b64 s[0:1], 0
.LBB7_971:
	s_andn2_b64 vcc, exec, s[0:1]
	s_cbranch_vccnz .LBB7_979
; %bb.972:
	global_load_ubyte v3, v[4:5], off
	s_movk_i32 s0, 0x7f
                                        ; implicit-def: $sgpr58_sgpr59
	s_waitcnt vmcnt(0)
	v_cmp_lt_i16_e32 vcc, s0, v3
	s_mov_b64 s[0:1], 0
	s_and_saveexec_b64 s[60:61], vcc
	s_xor_b64 s[60:61], exec, s[60:61]
	s_cbranch_execz .LBB7_993
; %bb.973:
	s_movk_i32 s0, 0x80
	v_cmp_eq_u16_e32 vcc, s0, v3
	s_mov_b64 s[62:63], -1
                                        ; implicit-def: $sgpr58_sgpr59
	s_and_saveexec_b64 s[0:1], vcc
; %bb.974:
	s_mov_b32 s59, 0x7ff80000
	s_brev_b32 s58, 4
	s_xor_b64 s[62:63], exec, -1
; %bb.975:
	s_or_b64 exec, exec, s[0:1]
	s_and_b64 s[0:1], s[62:63], exec
	s_or_saveexec_b64 s[60:61], s[60:61]
	v_pk_mov_b32 v[6:7], s[58:59], s[58:59] op_sel:[0,1]
	s_xor_b64 exec, exec, s[60:61]
	s_cbranch_execnz .LBB7_994
.LBB7_976:
	s_or_b64 exec, exec, s[60:61]
	s_and_saveexec_b64 s[58:59], s[0:1]
	s_cbranch_execz .LBB7_978
.LBB7_977:
	v_lshlrev_b32_e32 v6, 24, v3
	v_and_b32_e32 v3, 0xffff, v3
	v_and_b32_e32 v7, 7, v3
	v_ffbh_u32_e32 v12, v7
	v_min_u32_e32 v12, 32, v12
	v_subrev_u32_e32 v13, 28, v12
	v_bfe_u32 v9, v3, 3, 4
	v_lshlrev_b32_e32 v3, v13, v3
	v_sub_u32_e32 v12, 29, v12
	v_and_b32_e32 v3, 7, v3
	v_cmp_eq_u32_e32 vcc, 0, v9
	v_cndmask_b32_e32 v9, v9, v12, vcc
	v_cndmask_b32_e32 v3, v7, v3, vcc
	v_mov_b32_e32 v7, 0x3b800000
	v_lshlrev_b32_e32 v3, 20, v3
	v_and_b32_e32 v6, 0x80000000, v6
	v_lshl_add_u32 v7, v9, 23, v7
	v_or3_b32 v3, v6, v7, v3
	v_cvt_f64_f32_e32 v[6:7], v3
.LBB7_978:
	s_or_b64 exec, exec, s[58:59]
.LBB7_979:
	s_mov_b64 s[0:1], -1
.LBB7_980:
	s_mov_b64 s[58:59], 0
.LBB7_981:
	s_and_b64 vcc, exec, s[58:59]
	s_cbranch_vccz .LBB7_1016
; %bb.982:
	v_mov_b32_e32 v3, 22
	v_cmp_gt_i16_sdwa s[58:59], v11, v3 src0_sel:BYTE_0 src1_sel:DWORD
	s_and_b64 vcc, exec, s[58:59]
	s_cbranch_vccz .LBB7_992
; %bb.983:
	v_mov_b32_e32 v3, 24
	v_cmp_lt_i16_sdwa s[0:1], v11, v3 src0_sel:BYTE_0 src1_sel:DWORD
	s_and_b64 vcc, exec, s[0:1]
	s_cbranch_vccnz .LBB7_995
; %bb.984:
	v_cmp_gt_i16_sdwa s[0:1], v11, v3 src0_sel:BYTE_0 src1_sel:DWORD
	s_and_b64 vcc, exec, s[0:1]
	s_cbranch_vccz .LBB7_996
; %bb.985:
	global_load_ubyte v3, v[4:5], off
	s_movk_i32 s0, 0x7f
                                        ; implicit-def: $sgpr58_sgpr59
	s_waitcnt vmcnt(0)
	v_cmp_lt_i16_e32 vcc, s0, v3
	s_mov_b64 s[0:1], 0
	s_and_saveexec_b64 s[60:61], vcc
	s_xor_b64 s[60:61], exec, s[60:61]
	s_cbranch_execz .LBB7_1008
; %bb.986:
	s_movk_i32 s0, 0x80
	v_cmp_eq_u16_e32 vcc, s0, v3
	s_mov_b64 s[62:63], -1
                                        ; implicit-def: $sgpr58_sgpr59
	s_and_saveexec_b64 s[0:1], vcc
; %bb.987:
	s_mov_b32 s59, 0x7ff80000
	s_brev_b32 s58, 4
	s_xor_b64 s[62:63], exec, -1
; %bb.988:
	s_or_b64 exec, exec, s[0:1]
	s_and_b64 s[0:1], s[62:63], exec
	s_or_saveexec_b64 s[60:61], s[60:61]
	v_pk_mov_b32 v[6:7], s[58:59], s[58:59] op_sel:[0,1]
	s_xor_b64 exec, exec, s[60:61]
	s_cbranch_execnz .LBB7_1009
.LBB7_989:
	s_or_b64 exec, exec, s[60:61]
	s_and_saveexec_b64 s[58:59], s[0:1]
	s_cbranch_execz .LBB7_991
.LBB7_990:
	v_lshlrev_b32_e32 v6, 24, v3
	v_and_b32_e32 v3, 0xffff, v3
	v_and_b32_e32 v7, 3, v3
	v_ffbh_u32_e32 v12, v7
	v_min_u32_e32 v12, 32, v12
	v_subrev_u32_e32 v13, 29, v12
	v_bfe_u32 v9, v3, 2, 5
	v_lshlrev_b32_e32 v3, v13, v3
	v_sub_u32_e32 v12, 30, v12
	v_and_b32_e32 v3, 3, v3
	v_cmp_eq_u32_e32 vcc, 0, v9
	v_cndmask_b32_e32 v9, v9, v12, vcc
	v_cndmask_b32_e32 v3, v7, v3, vcc
	v_mov_b32_e32 v7, 0x37800000
	v_lshlrev_b32_e32 v3, 21, v3
	v_and_b32_e32 v6, 0x80000000, v6
	v_lshl_add_u32 v7, v9, 23, v7
	v_or3_b32 v3, v6, v7, v3
	v_cvt_f64_f32_e32 v[6:7], v3
.LBB7_991:
	s_or_b64 exec, exec, s[58:59]
	s_mov_b64 s[0:1], 0
	s_branch .LBB7_997
.LBB7_992:
	s_mov_b64 s[58:59], -1
                                        ; implicit-def: $vgpr6_vgpr7
	s_branch .LBB7_1003
.LBB7_993:
	s_or_saveexec_b64 s[60:61], s[60:61]
	v_pk_mov_b32 v[6:7], s[58:59], s[58:59] op_sel:[0,1]
	s_xor_b64 exec, exec, s[60:61]
	s_cbranch_execz .LBB7_976
.LBB7_994:
	v_cmp_ne_u16_e32 vcc, 0, v3
	s_andn2_b64 s[0:1], s[0:1], exec
	s_and_b64 s[58:59], vcc, exec
	v_pk_mov_b32 v[6:7], 0, 0
	s_or_b64 s[0:1], s[0:1], s[58:59]
	s_or_b64 exec, exec, s[60:61]
	s_and_saveexec_b64 s[58:59], s[0:1]
	s_cbranch_execnz .LBB7_977
	s_branch .LBB7_978
.LBB7_995:
	s_mov_b64 s[0:1], -1
                                        ; implicit-def: $vgpr6_vgpr7
	s_branch .LBB7_1000
.LBB7_996:
	s_mov_b64 s[0:1], -1
                                        ; implicit-def: $vgpr6_vgpr7
.LBB7_997:
	s_and_b64 vcc, exec, s[0:1]
	s_cbranch_vccz .LBB7_999
; %bb.998:
	global_load_ubyte v3, v[4:5], off
	s_mov_b32 s0, 0x7f800000
	s_waitcnt vmcnt(0)
	v_lshlrev_b32_e32 v3, 24, v3
	v_and_b32_e32 v6, 0x7f000000, v3
	v_ffbh_u32_e32 v7, v6
	v_min_u32_e32 v7, 32, v7
	v_sub_u32_e64 v7, v7, 4 clamp
	v_lshlrev_b32_e32 v12, v7, v6
	v_lshlrev_b32_e32 v7, 23, v7
	v_lshrrev_b32_e32 v12, 4, v12
	v_add_u32_e32 v9, 0x1000000, v6
	v_sub_u32_e32 v7, v12, v7
	v_ashrrev_i32_e32 v9, 8, v9
	v_add_u32_e32 v7, 0x3c000000, v7
	v_and_or_b32 v7, v9, s0, v7
	v_cmp_ne_u32_e32 vcc, 0, v6
	v_cndmask_b32_e32 v6, 0, v7, vcc
	s_brev_b32 s0, 1
	v_and_or_b32 v3, v3, s0, v6
	v_cvt_f64_f32_e32 v[6:7], v3
.LBB7_999:
	s_mov_b64 s[0:1], 0
.LBB7_1000:
	s_andn2_b64 vcc, exec, s[0:1]
	s_cbranch_vccnz .LBB7_1002
; %bb.1001:
	global_load_ubyte v3, v[4:5], off
	s_movk_i32 s0, 0x7f00
	s_brev_b32 s1, 16
	s_waitcnt vmcnt(0)
	v_lshlrev_b16_e32 v6, 8, v3
	v_lshlrev_b32_e32 v3, 25, v3
	v_lshrrev_b32_e32 v7, 4, v3
	v_and_or_b32 v9, v6, s0, 0.5
	v_or_b32_e32 v7, 0x70000000, v7
	v_add_f32_e32 v9, -0.5, v9
	v_mul_f32_e32 v7, 0x7800000, v7
	v_cmp_gt_u32_e32 vcc, s1, v3
	v_bfe_i32 v6, v6, 0, 16
	v_cndmask_b32_e32 v3, v7, v9, vcc
	s_brev_b32 s0, 1
	v_and_or_b32 v3, v6, s0, v3
	v_cvt_f64_f32_e32 v[6:7], v3
.LBB7_1002:
	s_mov_b64 s[58:59], 0
	s_mov_b64 s[0:1], -1
.LBB7_1003:
	s_andn2_b64 vcc, exec, s[58:59]
	s_cbranch_vccnz .LBB7_1016
; %bb.1004:
	v_mov_b32_e32 v3, 14
	v_cmp_gt_i16_sdwa s[58:59], v11, v3 src0_sel:BYTE_0 src1_sel:DWORD
	s_and_b64 vcc, exec, s[58:59]
	s_cbranch_vccz .LBB7_1007
; %bb.1005:
	v_mov_b32_e32 v3, 15
	v_cmp_eq_u16_sdwa s[56:57], v11, v3 src0_sel:BYTE_0 src1_sel:DWORD
	s_and_b64 vcc, exec, s[56:57]
	s_cbranch_vccz .LBB7_1010
; %bb.1006:
	global_load_ushort v3, v[4:5], off
	s_mov_b64 s[0:1], -1
	s_mov_b64 s[56:57], 0
	s_waitcnt vmcnt(0)
	v_lshlrev_b32_e32 v3, 16, v3
	v_cvt_f64_f32_e32 v[6:7], v3
	s_branch .LBB7_1011
.LBB7_1007:
	s_mov_b64 s[58:59], -1
                                        ; implicit-def: $vgpr6_vgpr7
	s_branch .LBB7_1012
.LBB7_1008:
	s_or_saveexec_b64 s[60:61], s[60:61]
	v_pk_mov_b32 v[6:7], s[58:59], s[58:59] op_sel:[0,1]
	s_xor_b64 exec, exec, s[60:61]
	s_cbranch_execz .LBB7_989
.LBB7_1009:
	v_cmp_ne_u16_e32 vcc, 0, v3
	s_andn2_b64 s[0:1], s[0:1], exec
	s_and_b64 s[58:59], vcc, exec
	v_pk_mov_b32 v[6:7], 0, 0
	s_or_b64 s[0:1], s[0:1], s[58:59]
	s_or_b64 exec, exec, s[60:61]
	s_and_saveexec_b64 s[58:59], s[0:1]
	s_cbranch_execnz .LBB7_990
	s_branch .LBB7_991
.LBB7_1010:
	s_mov_b64 s[56:57], -1
                                        ; implicit-def: $vgpr6_vgpr7
.LBB7_1011:
	s_mov_b64 s[58:59], 0
.LBB7_1012:
	s_and_b64 vcc, exec, s[58:59]
	s_cbranch_vccz .LBB7_1016
; %bb.1013:
	v_mov_b32_e32 v3, 11
	v_cmp_eq_u16_sdwa s[56:57], v11, v3 src0_sel:BYTE_0 src1_sel:DWORD
	s_and_b64 vcc, exec, s[56:57]
	s_cbranch_vccz .LBB7_1015
; %bb.1014:
	global_load_ubyte v3, v[4:5], off
	v_mov_b32_e32 v7, 0x3ff00000
	v_mov_b32_e32 v6, 0
	s_mov_b64 s[0:1], -1
	s_mov_b64 s[56:57], 0
	s_waitcnt vmcnt(0)
	v_cmp_ne_u16_e32 vcc, 0, v3
	v_cndmask_b32_e32 v7, 0, v7, vcc
	s_branch .LBB7_1016
.LBB7_1015:
	s_mov_b64 s[56:57], -1
                                        ; implicit-def: $vgpr6_vgpr7
.LBB7_1016:
	s_mov_b64 s[58:59], 0
.LBB7_1017:
	s_and_b64 vcc, exec, s[58:59]
	s_cbranch_vccz .LBB7_1066
; %bb.1018:
	v_mov_b32_e32 v3, 5
	v_cmp_lt_i16_sdwa s[0:1], v11, v3 src0_sel:BYTE_0 src1_sel:DWORD
	s_and_b64 vcc, exec, s[0:1]
	s_cbranch_vccnz .LBB7_1023
; %bb.1019:
	v_mov_b32_e32 v3, 8
	v_cmp_lt_i16_sdwa s[0:1], v11, v3 src0_sel:BYTE_0 src1_sel:DWORD
	s_and_b64 vcc, exec, s[0:1]
	s_cbranch_vccnz .LBB7_1024
	;; [unrolled: 5-line block ×3, first 2 shown]
; %bb.1021:
	v_cmp_gt_i16_sdwa s[0:1], v11, v3 src0_sel:BYTE_0 src1_sel:DWORD
	s_and_b64 vcc, exec, s[0:1]
	s_cbranch_vccz .LBB7_1026
; %bb.1022:
	global_load_dwordx2 v[6:7], v[4:5], off
	s_mov_b64 s[0:1], 0
	s_branch .LBB7_1027
.LBB7_1023:
	s_mov_b64 s[0:1], -1
                                        ; implicit-def: $vgpr6_vgpr7
	s_branch .LBB7_1045
.LBB7_1024:
	s_mov_b64 s[0:1], -1
                                        ; implicit-def: $vgpr6_vgpr7
	s_branch .LBB7_1033
.LBB7_1025:
	s_mov_b64 s[0:1], -1
                                        ; implicit-def: $vgpr6_vgpr7
	s_branch .LBB7_1030
.LBB7_1026:
	s_mov_b64 s[0:1], -1
                                        ; implicit-def: $vgpr6_vgpr7
.LBB7_1027:
	s_andn2_b64 vcc, exec, s[0:1]
	s_cbranch_vccnz .LBB7_1029
; %bb.1028:
	global_load_dword v3, v[4:5], off
	s_waitcnt vmcnt(0)
	v_cvt_f64_f32_e32 v[6:7], v3
.LBB7_1029:
	s_mov_b64 s[0:1], 0
.LBB7_1030:
	s_andn2_b64 vcc, exec, s[0:1]
	s_cbranch_vccnz .LBB7_1032
; %bb.1031:
	global_load_dword v3, v[4:5], off
	s_waitcnt vmcnt(0)
	v_cvt_f32_f16_e32 v3, v3
	v_cvt_f64_f32_e32 v[6:7], v3
.LBB7_1032:
	s_mov_b64 s[0:1], 0
.LBB7_1033:
	s_andn2_b64 vcc, exec, s[0:1]
	s_cbranch_vccnz .LBB7_1044
; %bb.1034:
	v_mov_b32_e32 v3, 6
	v_cmp_lt_i16_sdwa s[0:1], v11, v3 src0_sel:BYTE_0 src1_sel:DWORD
	s_and_b64 vcc, exec, s[0:1]
	s_cbranch_vccnz .LBB7_1037
; %bb.1035:
	v_cmp_gt_i16_sdwa s[0:1], v11, v3 src0_sel:BYTE_0 src1_sel:DWORD
	s_and_b64 vcc, exec, s[0:1]
	s_cbranch_vccz .LBB7_1038
; %bb.1036:
	global_load_dwordx2 v[6:7], v[4:5], off
	s_mov_b64 s[0:1], 0
	s_branch .LBB7_1039
.LBB7_1037:
	s_mov_b64 s[0:1], -1
                                        ; implicit-def: $vgpr6_vgpr7
	s_branch .LBB7_1042
.LBB7_1038:
	s_mov_b64 s[0:1], -1
                                        ; implicit-def: $vgpr6_vgpr7
.LBB7_1039:
	s_andn2_b64 vcc, exec, s[0:1]
	s_cbranch_vccnz .LBB7_1041
; %bb.1040:
	global_load_dword v3, v[4:5], off
	s_waitcnt vmcnt(0)
	v_cvt_f64_f32_e32 v[6:7], v3
.LBB7_1041:
	s_mov_b64 s[0:1], 0
.LBB7_1042:
	s_andn2_b64 vcc, exec, s[0:1]
	s_cbranch_vccnz .LBB7_1044
; %bb.1043:
	global_load_ushort v3, v[4:5], off
	s_waitcnt vmcnt(0)
	v_cvt_f32_f16_e32 v3, v3
	v_cvt_f64_f32_e32 v[6:7], v3
.LBB7_1044:
	s_mov_b64 s[0:1], 0
.LBB7_1045:
	s_andn2_b64 vcc, exec, s[0:1]
	s_cbranch_vccnz .LBB7_1065
; %bb.1046:
	v_mov_b32_e32 v3, 2
	v_cmp_lt_i16_sdwa s[0:1], v11, v3 src0_sel:BYTE_0 src1_sel:DWORD
	s_and_b64 vcc, exec, s[0:1]
	s_cbranch_vccnz .LBB7_1050
; %bb.1047:
	v_mov_b32_e32 v3, 3
	v_cmp_lt_i16_sdwa s[0:1], v11, v3 src0_sel:BYTE_0 src1_sel:DWORD
	s_and_b64 vcc, exec, s[0:1]
	s_cbranch_vccnz .LBB7_1051
; %bb.1048:
	v_cmp_gt_i16_sdwa s[0:1], v11, v3 src0_sel:BYTE_0 src1_sel:DWORD
	s_and_b64 vcc, exec, s[0:1]
	s_cbranch_vccz .LBB7_1052
; %bb.1049:
	global_load_dwordx2 v[6:7], v[4:5], off
	s_mov_b64 s[0:1], 0
	s_waitcnt vmcnt(0)
	v_cvt_f64_i32_e32 v[12:13], v7
	v_cvt_f64_u32_e32 v[6:7], v6
	v_ldexp_f64 v[12:13], v[12:13], 32
	v_add_f64 v[6:7], v[12:13], v[6:7]
	s_branch .LBB7_1053
.LBB7_1050:
	s_mov_b64 s[0:1], -1
                                        ; implicit-def: $vgpr6_vgpr7
	s_branch .LBB7_1059
.LBB7_1051:
	s_mov_b64 s[0:1], -1
                                        ; implicit-def: $vgpr6_vgpr7
	s_branch .LBB7_1056
.LBB7_1052:
	s_mov_b64 s[0:1], -1
                                        ; implicit-def: $vgpr6_vgpr7
.LBB7_1053:
	s_andn2_b64 vcc, exec, s[0:1]
	s_cbranch_vccnz .LBB7_1055
; %bb.1054:
	global_load_dword v3, v[4:5], off
	s_waitcnt vmcnt(0)
	v_cvt_f64_i32_e32 v[6:7], v3
.LBB7_1055:
	s_mov_b64 s[0:1], 0
.LBB7_1056:
	s_andn2_b64 vcc, exec, s[0:1]
	s_cbranch_vccnz .LBB7_1058
; %bb.1057:
	global_load_sshort v3, v[4:5], off
	s_waitcnt vmcnt(0)
	v_cvt_f64_i32_e32 v[6:7], v3
.LBB7_1058:
	s_mov_b64 s[0:1], 0
.LBB7_1059:
	s_andn2_b64 vcc, exec, s[0:1]
	s_cbranch_vccnz .LBB7_1065
; %bb.1060:
	v_mov_b32_e32 v3, 0
	v_cmp_gt_i16_sdwa s[0:1], v11, v3 src0_sel:BYTE_0 src1_sel:DWORD
	s_and_b64 vcc, exec, s[0:1]
	s_cbranch_vccz .LBB7_1062
; %bb.1061:
	global_load_sbyte v3, v[4:5], off
	s_mov_b64 s[0:1], 0
	s_waitcnt vmcnt(0)
	v_cvt_f64_i32_e32 v[6:7], v3
	s_branch .LBB7_1063
.LBB7_1062:
	s_mov_b64 s[0:1], -1
                                        ; implicit-def: $vgpr6_vgpr7
.LBB7_1063:
	s_andn2_b64 vcc, exec, s[0:1]
	s_cbranch_vccnz .LBB7_1065
; %bb.1064:
	global_load_ubyte v3, v[4:5], off
	s_waitcnt vmcnt(0)
	v_cvt_f64_u32_e32 v[6:7], v3
.LBB7_1065:
	s_mov_b64 s[0:1], -1
.LBB7_1066:
	s_andn2_b64 vcc, exec, s[0:1]
	s_cbranch_vccnz .LBB7_1074
; %bb.1067:
	s_waitcnt vmcnt(0)
	v_mul_f64 v[4:5], v[0:1], v[6:7]
	v_cmp_lt_f64_e32 vcc, 0, v[0:1]
	v_cndmask_b32_e32 v1, v5, v1, vcc
	v_cndmask_b32_e32 v0, v4, v0, vcc
	v_mov_b32_e32 v3, s9
	v_add_co_u32_e32 v4, vcc, s8, v2
	v_mov_b32_e32 v2, 11
	v_addc_co_u32_e32 v5, vcc, 0, v3, vcc
	v_cmp_lt_i16_sdwa s[0:1], v10, v2 src0_sel:BYTE_0 src1_sel:DWORD
	s_mov_b64 s[58:59], 0
	s_mov_b64 s[60:61], -1
	s_and_b64 vcc, exec, s[0:1]
	s_mov_b64 s[0:1], s[48:49]
	s_cbranch_vccnz .LBB7_1075
; %bb.1068:
	v_mov_b32_e32 v2, 25
	v_cmp_gt_i16_sdwa s[0:1], v10, v2 src0_sel:BYTE_0 src1_sel:DWORD
	s_and_b64 vcc, exec, s[0:1]
	s_cbranch_vccz .LBB7_1115
; %bb.1069:
	v_mov_b32_e32 v2, 28
	v_cmp_gt_i16_sdwa s[0:1], v10, v2 src0_sel:BYTE_0 src1_sel:DWORD
	s_and_b64 vcc, exec, s[0:1]
	s_cbranch_vccz .LBB7_1116
	;; [unrolled: 5-line block ×4, first 2 shown]
; %bb.1072:
	v_mov_b32_e32 v2, 46
	v_cmp_eq_u16_sdwa s[58:59], v10, v2 src0_sel:BYTE_0 src1_sel:DWORD
	s_mov_b64 s[60:61], 0
	s_mov_b64 s[0:1], -1
	s_and_b64 vcc, exec, s[58:59]
	s_mov_b64 s[58:59], 0
	s_cbranch_vccz .LBB7_1119
; %bb.1073:
	v_cvt_f32_f64_e32 v2, v[0:1]
	v_bfe_u32 v3, v2, 16, 1
	s_movk_i32 s0, 0x7fff
	v_add3_u32 v3, v2, v3, s0
	v_lshrrev_b32_e32 v3, 16, v3
	v_mov_b32_e32 v6, 0x7fc0
	v_cmp_o_f32_e32 vcc, v2, v2
	v_cndmask_b32_e32 v2, v6, v3, vcc
	global_store_dword v[4:5], v2, off
	s_mov_b64 s[58:59], -1
	s_mov_b64 s[0:1], 0
	s_branch .LBB7_1119
.LBB7_1074:
	s_mov_b64 s[60:61], 0
                                        ; implicit-def: $vgpr16
	s_mov_b64 s[0:1], s[48:49]
	s_branch .LBB7_1190
.LBB7_1075:
	s_and_b64 vcc, exec, s[60:61]
	s_cbranch_vccz .LBB7_1188
; %bb.1076:
	v_mov_b32_e32 v2, 5
	v_cmp_lt_i16_sdwa s[60:61], v10, v2 src0_sel:BYTE_0 src1_sel:DWORD
	s_mov_b64 s[58:59], -1
	s_and_b64 vcc, exec, s[60:61]
	s_cbranch_vccnz .LBB7_1097
; %bb.1077:
	v_mov_b32_e32 v2, 8
	v_cmp_lt_i16_sdwa s[60:61], v10, v2 src0_sel:BYTE_0 src1_sel:DWORD
	s_and_b64 vcc, exec, s[60:61]
	s_cbranch_vccnz .LBB7_1087
; %bb.1078:
	v_mov_b32_e32 v2, 9
	v_cmp_lt_i16_sdwa s[60:61], v10, v2 src0_sel:BYTE_0 src1_sel:DWORD
	s_and_b64 vcc, exec, s[60:61]
	s_cbranch_vccnz .LBB7_1084
; %bb.1079:
	v_cmp_gt_i16_sdwa s[60:61], v10, v2 src0_sel:BYTE_0 src1_sel:DWORD
	s_and_b64 vcc, exec, s[60:61]
	s_cbranch_vccz .LBB7_1081
; %bb.1080:
	v_mov_b32_e32 v2, 0
	v_mov_b32_e32 v3, v2
	s_mov_b64 s[58:59], 0
	global_store_dwordx4 v[4:5], v[0:3], off
.LBB7_1081:
	s_andn2_b64 vcc, exec, s[58:59]
	s_cbranch_vccnz .LBB7_1083
; %bb.1082:
	v_cvt_f32_f64_e32 v2, v[0:1]
	v_mov_b32_e32 v3, 0
	global_store_dwordx2 v[4:5], v[2:3], off
.LBB7_1083:
	s_mov_b64 s[58:59], 0
.LBB7_1084:
	s_andn2_b64 vcc, exec, s[58:59]
	s_cbranch_vccnz .LBB7_1086
; %bb.1085:
	v_cvt_f32_f64_e32 v2, v[0:1]
	v_cvt_f16_f32_e32 v2, v2
	global_store_dword v[4:5], v2, off
.LBB7_1086:
	s_mov_b64 s[58:59], 0
.LBB7_1087:
	s_andn2_b64 vcc, exec, s[58:59]
	s_cbranch_vccnz .LBB7_1096
; %bb.1088:
	v_mov_b32_e32 v2, 6
	v_cmp_lt_i16_sdwa s[60:61], v10, v2 src0_sel:BYTE_0 src1_sel:DWORD
	s_mov_b64 s[58:59], -1
	s_and_b64 vcc, exec, s[60:61]
	s_cbranch_vccnz .LBB7_1094
; %bb.1089:
	v_cmp_gt_i16_sdwa s[60:61], v10, v2 src0_sel:BYTE_0 src1_sel:DWORD
	s_and_b64 vcc, exec, s[60:61]
	s_cbranch_vccz .LBB7_1091
; %bb.1090:
	s_mov_b64 s[58:59], 0
	global_store_dwordx2 v[4:5], v[0:1], off
.LBB7_1091:
	s_andn2_b64 vcc, exec, s[58:59]
	s_cbranch_vccnz .LBB7_1093
; %bb.1092:
	v_cvt_f32_f64_e32 v2, v[0:1]
	global_store_dword v[4:5], v2, off
.LBB7_1093:
	s_mov_b64 s[58:59], 0
.LBB7_1094:
	s_andn2_b64 vcc, exec, s[58:59]
	s_cbranch_vccnz .LBB7_1096
; %bb.1095:
	v_cvt_f32_f64_e32 v2, v[0:1]
	v_cvt_f16_f32_e32 v2, v2
	global_store_short v[4:5], v2, off
.LBB7_1096:
	s_mov_b64 s[58:59], 0
.LBB7_1097:
	s_andn2_b64 vcc, exec, s[58:59]
	s_cbranch_vccnz .LBB7_1113
; %bb.1098:
	v_mov_b32_e32 v2, 2
	v_cmp_lt_i16_sdwa s[60:61], v10, v2 src0_sel:BYTE_0 src1_sel:DWORD
	s_mov_b64 s[58:59], -1
	s_and_b64 vcc, exec, s[60:61]
	s_cbranch_vccnz .LBB7_1108
; %bb.1099:
	v_mov_b32_e32 v2, 3
	v_cmp_lt_i16_sdwa s[60:61], v10, v2 src0_sel:BYTE_0 src1_sel:DWORD
	s_and_b64 vcc, exec, s[60:61]
	s_cbranch_vccnz .LBB7_1105
; %bb.1100:
	v_cmp_gt_i16_sdwa s[60:61], v10, v2 src0_sel:BYTE_0 src1_sel:DWORD
	s_and_b64 vcc, exec, s[60:61]
	s_cbranch_vccz .LBB7_1102
; %bb.1101:
	v_trunc_f64_e32 v[2:3], v[0:1]
	s_movk_i32 s58, 0xffe0
	v_ldexp_f64 v[6:7], v[2:3], s58
	v_floor_f64_e32 v[6:7], v[6:7]
	v_fmac_f64_e32 v[2:3], 0xc1f00000, v[6:7]
	v_cvt_i32_f64_e32 v13, v[6:7]
	v_cvt_u32_f64_e32 v12, v[2:3]
	s_mov_b64 s[58:59], 0
	global_store_dwordx2 v[4:5], v[12:13], off
.LBB7_1102:
	s_andn2_b64 vcc, exec, s[58:59]
	s_cbranch_vccnz .LBB7_1104
; %bb.1103:
	v_cvt_i32_f64_e32 v2, v[0:1]
	global_store_dword v[4:5], v2, off
.LBB7_1104:
	s_mov_b64 s[58:59], 0
.LBB7_1105:
	s_andn2_b64 vcc, exec, s[58:59]
	s_cbranch_vccnz .LBB7_1107
; %bb.1106:
	v_cvt_i32_f64_e32 v2, v[0:1]
	global_store_short v[4:5], v2, off
.LBB7_1107:
	s_mov_b64 s[58:59], 0
.LBB7_1108:
	s_andn2_b64 vcc, exec, s[58:59]
	s_cbranch_vccnz .LBB7_1113
; %bb.1109:
	v_mov_b32_e32 v2, 0
	v_cmp_gt_i16_sdwa s[60:61], v10, v2 src0_sel:BYTE_0 src1_sel:DWORD
	s_mov_b64 s[58:59], -1
	s_and_b64 vcc, exec, s[60:61]
	s_cbranch_vccz .LBB7_1111
; %bb.1110:
	v_cvt_i32_f64_e32 v2, v[0:1]
	s_mov_b64 s[58:59], 0
	global_store_byte v[4:5], v2, off
.LBB7_1111:
	s_andn2_b64 vcc, exec, s[58:59]
	s_cbranch_vccnz .LBB7_1113
; %bb.1112:
	v_trunc_f64_e32 v[0:1], v[0:1]
	s_movk_i32 s58, 0xffe0
	v_ldexp_f64 v[2:3], v[0:1], s58
	v_floor_f64_e32 v[2:3], v[2:3]
	v_fmac_f64_e32 v[0:1], 0xc1f00000, v[2:3]
	v_cvt_u32_f64_e32 v0, v[0:1]
	global_store_byte v[4:5], v0, off
.LBB7_1113:
	s_branch .LBB7_1189
.LBB7_1114:
	s_mov_b64 s[60:61], 0
	s_branch .LBB7_943
.LBB7_1115:
	s_mov_b64 s[0:1], s[48:49]
	s_branch .LBB7_1146
.LBB7_1116:
	s_mov_b64 s[0:1], s[48:49]
	s_branch .LBB7_1129
.LBB7_1117:
	s_mov_b64 s[0:1], s[48:49]
	s_branch .LBB7_1125
.LBB7_1118:
	s_mov_b64 s[0:1], s[48:49]
.LBB7_1119:
	s_and_b64 vcc, exec, s[60:61]
	s_cbranch_vccz .LBB7_1124
; %bb.1120:
	v_mov_b32_e32 v2, 44
	v_cmp_eq_u16_sdwa s[60:61], v10, v2 src0_sel:BYTE_0 src1_sel:DWORD
	s_mov_b64 s[0:1], -1
	s_and_b64 vcc, exec, s[60:61]
	s_cbranch_vccz .LBB7_1124
; %bb.1121:
	v_cvt_f32_f64_e32 v2, v[0:1]
	v_bfe_u32 v3, v2, 23, 8
	s_movk_i32 s0, 0xff
	v_cmp_ne_u32_e32 vcc, s0, v3
	v_mov_b32_e32 v6, 0xff
	s_and_saveexec_b64 s[58:59], vcc
; %bb.1122:
	s_mov_b32 s0, 0x3fffff
	v_lshrrev_b32_e32 v6, 23, v2
	v_and_b32_e32 v7, 0x400000, v2
	v_and_or_b32 v2, v2, s0, v3
	v_cmp_ne_u32_e32 vcc, 0, v7
	v_cmp_ne_u32_e64 s[0:1], 0, v2
	s_and_b64 s[0:1], vcc, s[0:1]
	v_cndmask_b32_e64 v2, 0, 1, s[0:1]
	v_add_u32_e32 v6, v6, v2
; %bb.1123:
	s_or_b64 exec, exec, s[58:59]
	s_mov_b64 s[58:59], -1
	s_mov_b64 s[0:1], 0
	global_store_byte v[4:5], v6, off
.LBB7_1124:
	s_mov_b64 s[60:61], 0
.LBB7_1125:
	s_and_b64 vcc, exec, s[60:61]
	s_cbranch_vccz .LBB7_1128
; %bb.1126:
	v_mov_b32_e32 v2, 29
	v_cmp_eq_u16_sdwa s[60:61], v10, v2 src0_sel:BYTE_0 src1_sel:DWORD
	s_mov_b64 s[0:1], -1
	s_and_b64 vcc, exec, s[60:61]
	s_cbranch_vccz .LBB7_1128
; %bb.1127:
	v_trunc_f64_e32 v[2:3], v[0:1]
	s_movk_i32 s0, 0xffe0
	v_ldexp_f64 v[6:7], v[2:3], s0
	v_floor_f64_e32 v[6:7], v[6:7]
	v_fmac_f64_e32 v[2:3], 0xc1f00000, v[6:7]
	v_cvt_u32_f64_e32 v13, v[6:7]
	v_cvt_u32_f64_e32 v12, v[2:3]
	global_store_dwordx2 v[4:5], v[12:13], off
	s_mov_b64 s[58:59], -1
	s_mov_b64 s[0:1], 0
.LBB7_1128:
	s_mov_b64 s[60:61], 0
.LBB7_1129:
	s_and_b64 vcc, exec, s[60:61]
	s_cbranch_vccz .LBB7_1145
; %bb.1130:
	v_mov_b32_e32 v2, 27
	v_cmp_lt_i16_sdwa s[60:61], v10, v2 src0_sel:BYTE_0 src1_sel:DWORD
	s_mov_b64 s[58:59], -1
	s_and_b64 vcc, exec, s[60:61]
	s_cbranch_vccnz .LBB7_1136
; %bb.1131:
	v_cmp_gt_i16_sdwa s[60:61], v10, v2 src0_sel:BYTE_0 src1_sel:DWORD
	s_and_b64 vcc, exec, s[60:61]
	s_cbranch_vccz .LBB7_1133
; %bb.1132:
	v_cvt_u32_f64_e32 v2, v[0:1]
	s_mov_b64 s[58:59], 0
	global_store_dword v[4:5], v2, off
.LBB7_1133:
	s_andn2_b64 vcc, exec, s[58:59]
	s_cbranch_vccnz .LBB7_1135
; %bb.1134:
	v_cvt_u32_f64_e32 v2, v[0:1]
	global_store_short v[4:5], v2, off
.LBB7_1135:
	s_mov_b64 s[58:59], 0
.LBB7_1136:
	s_andn2_b64 vcc, exec, s[58:59]
	s_cbranch_vccnz .LBB7_1144
; %bb.1137:
	v_cvt_f32_f64_e32 v2, v[0:1]
	v_and_b32_e32 v3, 0x7fffffff, v2
	s_mov_b32 s58, 0x43800000
	v_cmp_gt_u32_e32 vcc, s58, v3
	v_mov_b32_e32 v6, 0x80
	s_and_saveexec_b64 s[58:59], vcc
	s_cbranch_execz .LBB7_1143
; %bb.1138:
	s_mov_b32 s60, 0x3bffffff
	v_cmp_lt_u32_e32 vcc, s60, v3
	s_mov_b64 s[60:61], 0
                                        ; implicit-def: $vgpr3
	s_and_saveexec_b64 s[62:63], vcc
	s_xor_b64 s[62:63], exec, s[62:63]
	s_cbranch_execz .LBB7_1216
; %bb.1139:
	v_bfe_u32 v3, v2, 20, 1
	s_mov_b32 s64, 0x487ffff
	v_add3_u32 v3, v2, v3, s64
	s_mov_b64 s[60:61], exec
	v_lshrrev_b32_e32 v3, 20, v3
	s_or_saveexec_b64 s[62:63], s[62:63]
                                        ; implicit-def: $sgpr64
	s_xor_b64 exec, exec, s[62:63]
	s_cbranch_execnz .LBB7_1217
.LBB7_1140:
	s_or_b64 exec, exec, s[62:63]
	v_mov_b32_e32 v6, s64
	s_and_saveexec_b64 s[62:63], s[60:61]
.LBB7_1141:
	v_lshrrev_b32_e32 v2, 24, v2
	s_movk_i32 s60, 0x80
	v_and_or_b32 v6, v2, s60, v3
.LBB7_1142:
	s_or_b64 exec, exec, s[62:63]
.LBB7_1143:
	s_or_b64 exec, exec, s[58:59]
	global_store_byte v[4:5], v6, off
.LBB7_1144:
	s_mov_b64 s[58:59], -1
.LBB7_1145:
	s_mov_b64 s[60:61], 0
.LBB7_1146:
	s_and_b64 vcc, exec, s[60:61]
	s_cbranch_vccz .LBB7_1187
; %bb.1147:
	v_mov_b32_e32 v2, 22
	v_cmp_gt_i16_sdwa s[62:63], v10, v2 src0_sel:BYTE_0 src1_sel:DWORD
	s_mov_b64 s[60:61], -1
	s_and_b64 vcc, exec, s[62:63]
	s_cbranch_vccz .LBB7_1179
; %bb.1148:
	v_mov_b32_e32 v2, 24
	v_cmp_lt_i16_sdwa s[60:61], v10, v2 src0_sel:BYTE_0 src1_sel:DWORD
	s_mov_b64 s[58:59], -1
	s_and_b64 vcc, exec, s[60:61]
	s_cbranch_vccnz .LBB7_1168
; %bb.1149:
	v_cmp_gt_i16_sdwa s[60:61], v10, v2 src0_sel:BYTE_0 src1_sel:DWORD
	s_and_b64 vcc, exec, s[60:61]
	s_cbranch_vccz .LBB7_1157
; %bb.1150:
	v_cvt_f32_f64_e32 v2, v[0:1]
	v_and_b32_e32 v3, 0x7fffffff, v2
	s_mov_b32 s58, 0x47800000
	v_cmp_gt_u32_e32 vcc, s58, v3
	v_mov_b32_e32 v6, 0x80
	s_and_saveexec_b64 s[58:59], vcc
	s_cbranch_execz .LBB7_1156
; %bb.1151:
	s_mov_b32 s60, 0x37ffffff
	v_cmp_lt_u32_e32 vcc, s60, v3
	s_mov_b64 s[60:61], 0
                                        ; implicit-def: $vgpr3
	s_and_saveexec_b64 s[62:63], vcc
	s_xor_b64 s[62:63], exec, s[62:63]
	s_cbranch_execz .LBB7_2277
; %bb.1152:
	v_bfe_u32 v3, v2, 21, 1
	s_mov_b32 s64, 0x88fffff
	v_add3_u32 v3, v2, v3, s64
	s_mov_b64 s[60:61], exec
	v_lshrrev_b32_e32 v3, 21, v3
	s_or_saveexec_b64 s[62:63], s[62:63]
                                        ; implicit-def: $sgpr64
	s_xor_b64 exec, exec, s[62:63]
	s_cbranch_execnz .LBB7_2278
.LBB7_1153:
	s_or_b64 exec, exec, s[62:63]
	v_mov_b32_e32 v6, s64
	s_and_saveexec_b64 s[62:63], s[60:61]
.LBB7_1154:
	v_lshrrev_b32_e32 v2, 24, v2
	s_movk_i32 s60, 0x80
	v_and_or_b32 v6, v2, s60, v3
.LBB7_1155:
	s_or_b64 exec, exec, s[62:63]
.LBB7_1156:
	s_or_b64 exec, exec, s[58:59]
	s_mov_b64 s[58:59], 0
	global_store_byte v[4:5], v6, off
.LBB7_1157:
	s_and_b64 vcc, exec, s[58:59]
	s_cbranch_vccz .LBB7_1167
; %bb.1158:
	v_cvt_f32_f64_e32 v2, v[0:1]
	v_and_b32_e32 v6, 0x7fffffff, v2
	s_mov_b32 s58, 0x43f00000
	v_cmp_gt_u32_e32 vcc, s58, v6
                                        ; implicit-def: $vgpr3
	s_and_saveexec_b64 s[58:59], vcc
	s_xor_b64 s[58:59], exec, s[58:59]
	s_cbranch_execz .LBB7_1164
; %bb.1159:
	s_mov_b32 s60, 0x3c7fffff
	v_cmp_lt_u32_e32 vcc, s60, v6
                                        ; implicit-def: $vgpr3
	s_and_saveexec_b64 s[60:61], vcc
	s_xor_b64 s[60:61], exec, s[60:61]
; %bb.1160:
	v_bfe_u32 v3, v2, 20, 1
	s_mov_b32 s62, 0x407ffff
	v_add3_u32 v3, v2, v3, s62
	v_lshrrev_b32_e32 v6, 20, v3
	v_and_b32_e32 v3, 0xff00000, v3
	s_mov_b32 s62, 0x7f00000
	v_mov_b32_e32 v7, 0x7e
	v_cmp_ne_u32_e32 vcc, s62, v3
	v_cndmask_b32_e32 v3, v7, v6, vcc
; %bb.1161:
	s_andn2_saveexec_b64 s[60:61], s[60:61]
; %bb.1162:
	s_mov_b32 s62, 0x46800000
	v_add_f32_e64 v3, |v2|, s62
; %bb.1163:
	s_or_b64 exec, exec, s[60:61]
                                        ; implicit-def: $vgpr6
.LBB7_1164:
	s_andn2_saveexec_b64 s[58:59], s[58:59]
; %bb.1165:
	s_mov_b32 s60, 0x7f800000
	v_mov_b32_e32 v3, 0x7e
	v_mov_b32_e32 v7, 0x7f
	v_cmp_lt_u32_e32 vcc, s60, v6
	v_cndmask_b32_e32 v3, v3, v7, vcc
; %bb.1166:
	s_or_b64 exec, exec, s[58:59]
	v_lshrrev_b32_e32 v2, 24, v2
	s_movk_i32 s58, 0x80
	v_and_or_b32 v2, v2, s58, v3
	global_store_byte v[4:5], v2, off
.LBB7_1167:
	s_mov_b64 s[58:59], 0
.LBB7_1168:
	s_andn2_b64 vcc, exec, s[58:59]
	s_cbranch_vccnz .LBB7_1178
; %bb.1169:
	v_cvt_f32_f64_e32 v2, v[0:1]
	v_and_b32_e32 v6, 0x7fffffff, v2
	s_mov_b32 s58, 0x47800000
	v_cmp_gt_u32_e32 vcc, s58, v6
                                        ; implicit-def: $vgpr3
	s_and_saveexec_b64 s[58:59], vcc
	s_xor_b64 s[58:59], exec, s[58:59]
	s_cbranch_execz .LBB7_1175
; %bb.1170:
	s_mov_b32 s60, 0x387fffff
	v_cmp_lt_u32_e32 vcc, s60, v6
                                        ; implicit-def: $vgpr3
	s_and_saveexec_b64 s[60:61], vcc
	s_xor_b64 s[60:61], exec, s[60:61]
; %bb.1171:
	v_bfe_u32 v3, v2, 21, 1
	s_mov_b32 s62, 0x80fffff
	v_add3_u32 v3, v2, v3, s62
	v_lshrrev_b32_e32 v3, 21, v3
; %bb.1172:
	s_andn2_saveexec_b64 s[60:61], s[60:61]
; %bb.1173:
	s_mov_b32 s62, 0x43000000
	v_add_f32_e64 v3, |v2|, s62
; %bb.1174:
	s_or_b64 exec, exec, s[60:61]
                                        ; implicit-def: $vgpr6
.LBB7_1175:
	s_andn2_saveexec_b64 s[58:59], s[58:59]
; %bb.1176:
	s_mov_b32 s60, 0x7f800000
	v_mov_b32_e32 v3, 0x7c
	v_mov_b32_e32 v7, 0x7f
	v_cmp_lt_u32_e32 vcc, s60, v6
	v_cndmask_b32_e32 v3, v3, v7, vcc
; %bb.1177:
	s_or_b64 exec, exec, s[58:59]
	v_lshrrev_b32_e32 v2, 24, v2
	s_movk_i32 s58, 0x80
	v_and_or_b32 v2, v2, s58, v3
	global_store_byte v[4:5], v2, off
.LBB7_1178:
	s_mov_b64 s[60:61], 0
	s_mov_b64 s[58:59], -1
.LBB7_1179:
	s_andn2_b64 vcc, exec, s[60:61]
	s_cbranch_vccnz .LBB7_1187
; %bb.1180:
	v_mov_b32_e32 v2, 14
	v_cmp_gt_i16_sdwa s[62:63], v10, v2 src0_sel:BYTE_0 src1_sel:DWORD
	s_mov_b64 s[60:61], -1
	s_and_b64 vcc, exec, s[62:63]
	s_cbranch_vccz .LBB7_1184
; %bb.1181:
	v_mov_b32_e32 v2, 15
	v_cmp_eq_u16_sdwa s[60:61], v10, v2 src0_sel:BYTE_0 src1_sel:DWORD
	s_mov_b64 s[0:1], -1
	s_and_b64 vcc, exec, s[60:61]
	s_cbranch_vccz .LBB7_1183
; %bb.1182:
	v_cvt_f32_f64_e32 v2, v[0:1]
	v_bfe_u32 v3, v2, 16, 1
	s_movk_i32 s0, 0x7fff
	v_add3_u32 v3, v2, v3, s0
	v_lshrrev_b32_e32 v3, 16, v3
	v_mov_b32_e32 v6, 0x7fc0
	v_cmp_o_f32_e32 vcc, v2, v2
	v_cndmask_b32_e32 v2, v6, v3, vcc
	global_store_short v[4:5], v2, off
	s_mov_b64 s[58:59], -1
	s_mov_b64 s[0:1], 0
.LBB7_1183:
	s_mov_b64 s[60:61], 0
.LBB7_1184:
	s_and_b64 vcc, exec, s[60:61]
	s_cbranch_vccz .LBB7_1187
; %bb.1185:
	v_mov_b32_e32 v2, 11
	v_cmp_eq_u16_sdwa s[60:61], v10, v2 src0_sel:BYTE_0 src1_sel:DWORD
	s_mov_b64 s[0:1], -1
	s_and_b64 vcc, exec, s[60:61]
	s_cbranch_vccz .LBB7_1187
; %bb.1186:
	v_cmp_neq_f64_e32 vcc, 0, v[0:1]
	s_mov_b64 s[0:1], 0
	v_cndmask_b32_e64 v2, 0, 1, vcc
	s_mov_b64 s[58:59], -1
	global_store_byte v[4:5], v2, off
.LBB7_1187:
.LBB7_1188:
	s_andn2_b64 vcc, exec, s[58:59]
	s_cbranch_vccnz .LBB7_1114
.LBB7_1189:
	v_add_u32_e32 v16, 0x80, v16
	s_mov_b64 s[60:61], -1
.LBB7_1190:
	s_andn2_b64 s[58:59], s[48:49], exec
	s_and_b64 s[0:1], s[0:1], exec
	s_or_b64 s[58:59], s[58:59], s[0:1]
	s_andn2_b64 s[0:1], s[46:47], exec
	s_and_b64 s[56:57], s[56:57], exec
	s_or_b64 s[56:57], s[0:1], s[56:57]
	;; [unrolled: 3-line block ×3, first 2 shown]
	s_orn2_b64 s[64:65], s[60:61], exec
.LBB7_1191:
	s_or_b64 exec, exec, s[52:53]
	s_mov_b64 s[60:61], 0
	s_mov_b64 s[54:55], 0
	;; [unrolled: 1-line block ×3, first 2 shown]
                                        ; implicit-def: $vgpr1
                                        ; implicit-def: $vgpr6_vgpr7
                                        ; implicit-def: $vgpr0
                                        ; implicit-def: $vgpr2
                                        ; implicit-def: $vgpr4_vgpr5
	s_and_saveexec_b64 s[52:53], s[64:65]
	s_cbranch_execz .LBB7_1284
; %bb.1192:
	v_cmp_gt_i32_e32 vcc, s66, v16
	s_mov_b64 s[64:65], s[0:1]
	s_mov_b64 s[66:67], 0
                                        ; implicit-def: $vgpr1
                                        ; implicit-def: $vgpr6_vgpr7
                                        ; implicit-def: $vgpr0
                                        ; implicit-def: $vgpr2
                                        ; implicit-def: $vgpr4_vgpr5
	s_and_saveexec_b64 s[54:55], vcc
	s_cbranch_execz .LBB7_1283
; %bb.1193:
	s_andn2_b64 vcc, exec, s[20:21]
	s_cbranch_vccnz .LBB7_1200
; %bb.1194:
	s_andn2_b64 vcc, exec, s[34:35]
	s_waitcnt vmcnt(0)
	v_mov_b32_e32 v0, 0
	v_mov_b32_e32 v4, 0
	;; [unrolled: 1-line block ×3, first 2 shown]
	s_cbranch_vccnz .LBB7_1199
; %bb.1195:
	s_add_i32 s34, s69, 1
	s_and_b32 s60, s34, 30
	s_add_u32 s34, s2, 0xffffffec
	s_addc_u32 s35, s3, -1
	v_mov_b32_e32 v2, 0
	v_mov_b32_e32 v1, v16
	;; [unrolled: 1-line block ×4, first 2 shown]
.LBB7_1196:                             ; =>This Inner Loop Header: Depth=1
	s_mov_b64 s[62:63], s[34:35]
	s_load_dwordx4 s[64:67], s[62:63], 0x18
	s_load_dwordx2 s[70:71], s[62:63], 0x28
	s_load_dwordx2 s[76:77], s[62:63], 0xe8
	s_load_dwordx4 s[72:75], s[62:63], 0xd8
	s_add_u32 s34, s62, 24
	s_waitcnt lgkmcnt(0)
	v_mul_hi_u32 v3, s65, v1
	v_add_u32_e32 v3, v1, v3
	v_lshrrev_b32_e32 v3, s66, v3
	v_mul_lo_u32 v5, v3, s64
	v_mul_hi_u32 v6, s70, v3
	v_sub_u32_e32 v1, v1, v5
	v_add_u32_e32 v5, v3, v6
	v_mul_lo_u32 v6, v1, s72
	v_mul_lo_u32 v7, v1, s73
	;; [unrolled: 1-line block ×3, first 2 shown]
	v_lshrrev_b32_e32 v1, s71, v5
	v_mul_lo_u32 v5, v1, s67
	v_sub_u32_e32 v3, v3, v5
	s_addc_u32 s35, s63, 0
	s_add_i32 s60, s60, -2
	v_mul_lo_u32 v5, v3, s75
	v_mul_lo_u32 v12, v3, s76
	v_mul_lo_u32 v3, v3, s77
	s_cmp_eq_u32 s60, 0
	v_add3_u32 v2, v6, v2, v5
	v_add3_u32 v0, v9, v0, v3
	;; [unrolled: 1-line block ×3, first 2 shown]
	s_cbranch_scc0 .LBB7_1196
; %bb.1197:
	s_bitcmp1_b32 s69, 0
	s_cselect_b64 s[60:61], -1, 0
	s_and_b64 vcc, exec, s[60:61]
	s_cbranch_vccnz .LBB7_1199
; %bb.1198:
	s_load_dwordx2 s[60:61], s[34:35], 0x18
	s_load_dword s62, s[34:35], 0x20
	s_load_dword s63, s[34:35], 0xe0
	s_nop 0
	s_load_dwordx2 s[34:35], s[34:35], 0xd8
	s_waitcnt lgkmcnt(0)
	v_mul_hi_u32 v3, s61, v1
	v_add_u32_e32 v3, v1, v3
	v_lshrrev_b32_e32 v3, s62, v3
	v_mul_lo_u32 v3, v3, s60
	v_sub_u32_e32 v1, v1, v3
	v_mad_u64_u32 v[2:3], s[60:61], v1, s34, v[2:3]
	v_mad_u64_u32 v[4:5], s[34:35], v1, s35, v[4:5]
	;; [unrolled: 1-line block ×3, first 2 shown]
.LBB7_1199:
	s_mov_b64 s[34:35], 0
	s_branch .LBB7_1201
.LBB7_1200:
	s_mov_b64 s[34:35], -1
                                        ; implicit-def: $vgpr0
                                        ; implicit-def: $vgpr4
                                        ; implicit-def: $vgpr2
.LBB7_1201:
	s_andn2_b64 vcc, exec, s[34:35]
	s_cbranch_vccnz .LBB7_1204
; %bb.1202:
	s_waitcnt vmcnt(0) lgkmcnt(0)
	v_mul_hi_u32 v0, s17, v16
	v_add_u32_e32 v0, v16, v0
	v_lshrrev_b32_e32 v1, s18, v0
	v_mul_lo_u32 v0, v1, s16
	v_sub_u32_e32 v3, v16, v0
	v_mul_lo_u32 v2, v3, s12
	v_mul_lo_u32 v0, v3, s14
	s_andn2_b64 vcc, exec, s[30:31]
	v_mul_lo_u32 v4, v3, s13
	s_cbranch_vccnz .LBB7_1204
; %bb.1203:
	v_mul_hi_u32 v3, s28, v1
	v_add_u32_e32 v3, v1, v3
	v_lshrrev_b32_e32 v3, s29, v3
	v_mul_lo_u32 v3, v3, s19
	v_sub_u32_e32 v1, v1, v3
	v_mad_u64_u32 v[2:3], s[12:13], v1, s15, v[2:3]
	v_mad_u64_u32 v[4:5], s[12:13], v1, s26, v[4:5]
	;; [unrolled: 1-line block ×3, first 2 shown]
.LBB7_1204:
	s_waitcnt vmcnt(0) lgkmcnt(0)
	v_mov_b32_e32 v1, s11
	v_add_co_u32_e32 v6, vcc, s10, v4
	v_addc_co_u32_e32 v7, vcc, 0, v1, vcc
	v_and_b32_e32 v1, 0xff, v8
	v_cmp_gt_i16_e32 vcc, 11, v1
	s_cbranch_vccnz .LBB7_1211
; %bb.1205:
	v_cmp_lt_i16_e32 vcc, 25, v1
	s_mov_b64 s[12:13], 0
	s_cbranch_vccz .LBB7_1212
; %bb.1206:
	v_cmp_lt_i16_e32 vcc, 28, v1
	s_cbranch_vccz .LBB7_1213
; %bb.1207:
	v_cmp_lt_i16_e32 vcc, 43, v1
	;; [unrolled: 3-line block ×3, first 2 shown]
	s_cbranch_vccz .LBB7_1215
; %bb.1209:
	v_cmp_eq_u16_e32 vcc, 46, v1
	s_mov_b64 s[16:17], 0
	s_cbranch_vccz .LBB7_1218
; %bb.1210:
	global_load_dword v3, v[6:7], off
	s_mov_b64 s[10:11], 0
	s_mov_b64 s[14:15], -1
	s_waitcnt vmcnt(0)
	v_lshlrev_b32_e32 v3, 16, v3
	v_cvt_f64_f32_e32 v[4:5], v3
	s_branch .LBB7_1219
.LBB7_1211:
	s_mov_b64 s[16:17], -1
	s_mov_b64 s[14:15], 0
	s_mov_b64 s[12:13], 0
	;; [unrolled: 1-line block ×3, first 2 shown]
                                        ; implicit-def: $vgpr4_vgpr5
	s_branch .LBB7_1282
.LBB7_1212:
	s_mov_b64 s[16:17], -1
	s_mov_b64 s[14:15], 0
	s_mov_b64 s[10:11], s[0:1]
                                        ; implicit-def: $vgpr4_vgpr5
	s_branch .LBB7_1248
.LBB7_1213:
	s_mov_b64 s[16:17], -1
	s_mov_b64 s[14:15], 0
	s_mov_b64 s[10:11], s[0:1]
                                        ; implicit-def: $vgpr4_vgpr5
	s_branch .LBB7_1229
.LBB7_1214:
	s_mov_b64 s[16:17], -1
	s_mov_b64 s[14:15], 0
	s_mov_b64 s[10:11], s[0:1]
                                        ; implicit-def: $vgpr4_vgpr5
	s_branch .LBB7_1224
.LBB7_1215:
	s_mov_b64 s[16:17], -1
	s_mov_b64 s[14:15], 0
	s_mov_b64 s[10:11], s[0:1]
                                        ; implicit-def: $vgpr4_vgpr5
	s_branch .LBB7_1219
.LBB7_1216:
	s_or_saveexec_b64 s[62:63], s[62:63]
                                        ; implicit-def: $sgpr64
	s_xor_b64 exec, exec, s[62:63]
	s_cbranch_execz .LBB7_1140
.LBB7_1217:
	s_mov_b32 s64, 0x46000000
	v_add_f32_e64 v3, |v2|, s64
	v_and_b32_e32 v3, 0xff, v3
	v_cmp_ne_u32_e32 vcc, 0, v3
	s_andn2_b64 s[60:61], s[60:61], exec
	s_and_b64 s[70:71], vcc, exec
	s_mov_b32 s64, 0
	s_or_b64 s[60:61], s[60:61], s[70:71]
	s_or_b64 exec, exec, s[62:63]
	v_mov_b32_e32 v6, s64
	s_and_saveexec_b64 s[62:63], s[60:61]
	s_cbranch_execnz .LBB7_1141
	s_branch .LBB7_1142
.LBB7_1218:
	s_mov_b64 s[10:11], -1
                                        ; implicit-def: $vgpr4_vgpr5
	s_mov_b64 s[14:15], 0
.LBB7_1219:
	s_and_b64 vcc, exec, s[16:17]
	s_cbranch_vccz .LBB7_1223
; %bb.1220:
	v_cmp_eq_u16_e32 vcc, 44, v1
	s_cbranch_vccz .LBB7_1222
; %bb.1221:
	global_load_ubyte v3, v[6:7], off
	s_movk_i32 s14, 0xff
	v_bfrev_b32_e32 v8, 4
	v_mov_b32_e32 v9, 0x7ff80000
	v_bfrev_b32_e32 v12, 28
	s_mov_b64 s[10:11], 0
	s_waitcnt vmcnt(0)
	v_lshlrev_b32_e32 v4, 23, v3
	v_cvt_f64_f32_e32 v[4:5], v4
	v_cmp_ne_u32_e32 vcc, s14, v3
	v_cndmask_b32_e32 v4, v8, v4, vcc
	v_cndmask_b32_e32 v5, v9, v5, vcc
	v_cmp_ne_u32_e32 vcc, 0, v3
	v_cndmask_b32_e32 v5, v12, v5, vcc
	v_cndmask_b32_e32 v4, 0, v4, vcc
	s_mov_b64 s[14:15], -1
	s_branch .LBB7_1223
.LBB7_1222:
	s_mov_b64 s[10:11], -1
                                        ; implicit-def: $vgpr4_vgpr5
.LBB7_1223:
	s_mov_b64 s[16:17], 0
.LBB7_1224:
	s_and_b64 vcc, exec, s[16:17]
	s_cbranch_vccz .LBB7_1228
; %bb.1225:
	v_cmp_eq_u16_e32 vcc, 29, v1
	s_cbranch_vccz .LBB7_1227
; %bb.1226:
	global_load_dwordx2 v[4:5], v[6:7], off
	s_mov_b64 s[10:11], 0
	s_mov_b64 s[14:15], -1
	s_mov_b64 s[16:17], 0
	s_waitcnt vmcnt(0)
	v_cvt_f64_u32_e32 v[8:9], v5
	v_cvt_f64_u32_e32 v[4:5], v4
	v_ldexp_f64 v[8:9], v[8:9], 32
	v_add_f64 v[4:5], v[8:9], v[4:5]
	s_branch .LBB7_1229
.LBB7_1227:
	s_mov_b64 s[10:11], -1
                                        ; implicit-def: $vgpr4_vgpr5
.LBB7_1228:
	s_mov_b64 s[16:17], 0
.LBB7_1229:
	s_and_b64 vcc, exec, s[16:17]
	s_cbranch_vccz .LBB7_1247
; %bb.1230:
	v_cmp_gt_i16_e32 vcc, 27, v1
	s_cbranch_vccnz .LBB7_1233
; %bb.1231:
	v_cmp_lt_i16_e32 vcc, 27, v1
	s_cbranch_vccz .LBB7_1234
; %bb.1232:
	global_load_dword v3, v[6:7], off
	s_mov_b64 s[14:15], 0
	s_waitcnt vmcnt(0)
	v_cvt_f64_u32_e32 v[4:5], v3
	s_branch .LBB7_1235
.LBB7_1233:
	s_mov_b64 s[14:15], -1
                                        ; implicit-def: $vgpr4_vgpr5
	s_branch .LBB7_1238
.LBB7_1234:
	s_mov_b64 s[14:15], -1
                                        ; implicit-def: $vgpr4_vgpr5
.LBB7_1235:
	s_andn2_b64 vcc, exec, s[14:15]
	s_cbranch_vccnz .LBB7_1237
; %bb.1236:
	global_load_ushort v3, v[6:7], off
	s_waitcnt vmcnt(0)
	v_cvt_f64_u32_e32 v[4:5], v3
.LBB7_1237:
	s_mov_b64 s[14:15], 0
.LBB7_1238:
	s_andn2_b64 vcc, exec, s[14:15]
	s_cbranch_vccnz .LBB7_1246
; %bb.1239:
	global_load_ubyte v3, v[6:7], off
	s_movk_i32 s14, 0x7f
                                        ; implicit-def: $sgpr16_sgpr17
	s_waitcnt vmcnt(0)
	v_cmp_lt_i16_e32 vcc, s14, v3
	s_mov_b64 s[14:15], 0
	s_and_saveexec_b64 s[18:19], vcc
	s_xor_b64 s[18:19], exec, s[18:19]
	s_cbranch_execz .LBB7_1260
; %bb.1240:
	s_movk_i32 s14, 0x80
	v_cmp_eq_u16_e32 vcc, s14, v3
	s_mov_b64 s[26:27], -1
                                        ; implicit-def: $sgpr16_sgpr17
	s_and_saveexec_b64 s[14:15], vcc
; %bb.1241:
	s_mov_b32 s17, 0x7ff80000
	s_brev_b32 s16, 4
	s_xor_b64 s[26:27], exec, -1
; %bb.1242:
	s_or_b64 exec, exec, s[14:15]
	s_and_b64 s[14:15], s[26:27], exec
	s_or_saveexec_b64 s[18:19], s[18:19]
	v_pk_mov_b32 v[4:5], s[16:17], s[16:17] op_sel:[0,1]
	s_xor_b64 exec, exec, s[18:19]
	s_cbranch_execnz .LBB7_1261
.LBB7_1243:
	s_or_b64 exec, exec, s[18:19]
	s_and_saveexec_b64 s[16:17], s[14:15]
	s_cbranch_execz .LBB7_1245
.LBB7_1244:
	v_lshlrev_b32_e32 v4, 24, v3
	v_and_b32_e32 v3, 0xffff, v3
	v_and_b32_e32 v5, 7, v3
	v_ffbh_u32_e32 v9, v5
	v_min_u32_e32 v9, 32, v9
	v_subrev_u32_e32 v12, 28, v9
	v_bfe_u32 v8, v3, 3, 4
	v_lshlrev_b32_e32 v3, v12, v3
	v_sub_u32_e32 v9, 29, v9
	v_and_b32_e32 v3, 7, v3
	v_cmp_eq_u32_e32 vcc, 0, v8
	v_cndmask_b32_e32 v8, v8, v9, vcc
	v_cndmask_b32_e32 v3, v5, v3, vcc
	v_mov_b32_e32 v5, 0x3b800000
	v_lshlrev_b32_e32 v3, 20, v3
	v_and_b32_e32 v4, 0x80000000, v4
	v_lshl_add_u32 v5, v8, 23, v5
	v_or3_b32 v3, v4, v5, v3
	v_cvt_f64_f32_e32 v[4:5], v3
.LBB7_1245:
	s_or_b64 exec, exec, s[16:17]
.LBB7_1246:
	s_mov_b64 s[14:15], -1
.LBB7_1247:
	s_mov_b64 s[16:17], 0
.LBB7_1248:
	s_and_b64 vcc, exec, s[16:17]
	s_cbranch_vccz .LBB7_1281
; %bb.1249:
	v_cmp_lt_i16_e32 vcc, 22, v1
	s_cbranch_vccz .LBB7_1259
; %bb.1250:
	v_cmp_gt_i16_e32 vcc, 24, v1
	s_cbranch_vccnz .LBB7_1262
; %bb.1251:
	v_cmp_lt_i16_e32 vcc, 24, v1
	s_cbranch_vccz .LBB7_1263
; %bb.1252:
	global_load_ubyte v3, v[6:7], off
	s_movk_i32 s12, 0x7f
                                        ; implicit-def: $sgpr14_sgpr15
	s_waitcnt vmcnt(0)
	v_cmp_lt_i16_e32 vcc, s12, v3
	s_mov_b64 s[12:13], 0
	s_and_saveexec_b64 s[16:17], vcc
	s_xor_b64 s[16:17], exec, s[16:17]
	s_cbranch_execz .LBB7_1275
; %bb.1253:
	s_movk_i32 s12, 0x80
	v_cmp_eq_u16_e32 vcc, s12, v3
	s_mov_b64 s[18:19], -1
                                        ; implicit-def: $sgpr14_sgpr15
	s_and_saveexec_b64 s[12:13], vcc
; %bb.1254:
	s_mov_b32 s15, 0x7ff80000
	s_brev_b32 s14, 4
	s_xor_b64 s[18:19], exec, -1
; %bb.1255:
	s_or_b64 exec, exec, s[12:13]
	s_and_b64 s[12:13], s[18:19], exec
	s_or_saveexec_b64 s[16:17], s[16:17]
	v_pk_mov_b32 v[4:5], s[14:15], s[14:15] op_sel:[0,1]
	s_xor_b64 exec, exec, s[16:17]
	s_cbranch_execnz .LBB7_1276
.LBB7_1256:
	s_or_b64 exec, exec, s[16:17]
	s_and_saveexec_b64 s[14:15], s[12:13]
	s_cbranch_execz .LBB7_1258
.LBB7_1257:
	v_lshlrev_b32_e32 v4, 24, v3
	v_and_b32_e32 v3, 0xffff, v3
	v_and_b32_e32 v5, 3, v3
	v_ffbh_u32_e32 v9, v5
	v_min_u32_e32 v9, 32, v9
	v_subrev_u32_e32 v12, 29, v9
	v_bfe_u32 v8, v3, 2, 5
	v_lshlrev_b32_e32 v3, v12, v3
	v_sub_u32_e32 v9, 30, v9
	v_and_b32_e32 v3, 3, v3
	v_cmp_eq_u32_e32 vcc, 0, v8
	v_cndmask_b32_e32 v8, v8, v9, vcc
	v_cndmask_b32_e32 v3, v5, v3, vcc
	v_mov_b32_e32 v5, 0x37800000
	v_lshlrev_b32_e32 v3, 21, v3
	v_and_b32_e32 v4, 0x80000000, v4
	v_lshl_add_u32 v5, v8, 23, v5
	v_or3_b32 v3, v4, v5, v3
	v_cvt_f64_f32_e32 v[4:5], v3
.LBB7_1258:
	s_or_b64 exec, exec, s[14:15]
	s_mov_b64 s[12:13], 0
	s_branch .LBB7_1264
.LBB7_1259:
	s_mov_b64 s[12:13], -1
                                        ; implicit-def: $vgpr4_vgpr5
	s_branch .LBB7_1270
.LBB7_1260:
	s_or_saveexec_b64 s[18:19], s[18:19]
	v_pk_mov_b32 v[4:5], s[16:17], s[16:17] op_sel:[0,1]
	s_xor_b64 exec, exec, s[18:19]
	s_cbranch_execz .LBB7_1243
.LBB7_1261:
	v_cmp_ne_u16_e32 vcc, 0, v3
	s_andn2_b64 s[14:15], s[14:15], exec
	s_and_b64 s[16:17], vcc, exec
	v_pk_mov_b32 v[4:5], 0, 0
	s_or_b64 s[14:15], s[14:15], s[16:17]
	s_or_b64 exec, exec, s[18:19]
	s_and_saveexec_b64 s[16:17], s[14:15]
	s_cbranch_execnz .LBB7_1244
	s_branch .LBB7_1245
.LBB7_1262:
	s_mov_b64 s[12:13], -1
                                        ; implicit-def: $vgpr4_vgpr5
	s_branch .LBB7_1267
.LBB7_1263:
	s_mov_b64 s[12:13], -1
                                        ; implicit-def: $vgpr4_vgpr5
.LBB7_1264:
	s_and_b64 vcc, exec, s[12:13]
	s_cbranch_vccz .LBB7_1266
; %bb.1265:
	global_load_ubyte v3, v[6:7], off
	s_mov_b32 s12, 0x7f800000
	s_waitcnt vmcnt(0)
	v_lshlrev_b32_e32 v3, 24, v3
	v_and_b32_e32 v4, 0x7f000000, v3
	v_ffbh_u32_e32 v5, v4
	v_min_u32_e32 v5, 32, v5
	v_sub_u32_e64 v5, v5, 4 clamp
	v_lshlrev_b32_e32 v9, v5, v4
	v_lshlrev_b32_e32 v5, 23, v5
	v_lshrrev_b32_e32 v9, 4, v9
	v_add_u32_e32 v8, 0x1000000, v4
	v_sub_u32_e32 v5, v9, v5
	v_ashrrev_i32_e32 v8, 8, v8
	v_add_u32_e32 v5, 0x3c000000, v5
	v_and_or_b32 v5, v8, s12, v5
	v_cmp_ne_u32_e32 vcc, 0, v4
	v_cndmask_b32_e32 v4, 0, v5, vcc
	s_brev_b32 s12, 1
	v_and_or_b32 v3, v3, s12, v4
	v_cvt_f64_f32_e32 v[4:5], v3
.LBB7_1266:
	s_mov_b64 s[12:13], 0
.LBB7_1267:
	s_andn2_b64 vcc, exec, s[12:13]
	s_cbranch_vccnz .LBB7_1269
; %bb.1268:
	global_load_ubyte v3, v[6:7], off
	s_movk_i32 s12, 0x7f00
	s_brev_b32 s13, 16
	s_waitcnt vmcnt(0)
	v_lshlrev_b16_e32 v4, 8, v3
	v_lshlrev_b32_e32 v3, 25, v3
	v_lshrrev_b32_e32 v5, 4, v3
	v_and_or_b32 v8, v4, s12, 0.5
	v_or_b32_e32 v5, 0x70000000, v5
	v_add_f32_e32 v8, -0.5, v8
	v_mul_f32_e32 v5, 0x7800000, v5
	v_cmp_gt_u32_e32 vcc, s13, v3
	v_bfe_i32 v4, v4, 0, 16
	v_cndmask_b32_e32 v3, v5, v8, vcc
	s_brev_b32 s12, 1
	v_and_or_b32 v3, v4, s12, v3
	v_cvt_f64_f32_e32 v[4:5], v3
.LBB7_1269:
	s_mov_b64 s[12:13], 0
	s_mov_b64 s[14:15], -1
.LBB7_1270:
	s_andn2_b64 vcc, exec, s[12:13]
	s_mov_b64 s[12:13], 0
	s_cbranch_vccnz .LBB7_1281
; %bb.1271:
	v_cmp_lt_i16_e32 vcc, 14, v1
	s_cbranch_vccz .LBB7_1274
; %bb.1272:
	v_cmp_eq_u16_e32 vcc, 15, v1
	s_cbranch_vccz .LBB7_1277
; %bb.1273:
	global_load_ushort v3, v[6:7], off
	s_mov_b64 s[10:11], 0
	s_mov_b64 s[14:15], -1
	s_waitcnt vmcnt(0)
	v_lshlrev_b32_e32 v3, 16, v3
	v_cvt_f64_f32_e32 v[4:5], v3
	s_branch .LBB7_1278
.LBB7_1274:
	s_mov_b64 s[16:17], -1
                                        ; implicit-def: $vgpr4_vgpr5
	s_branch .LBB7_1279
.LBB7_1275:
	s_or_saveexec_b64 s[16:17], s[16:17]
	v_pk_mov_b32 v[4:5], s[14:15], s[14:15] op_sel:[0,1]
	s_xor_b64 exec, exec, s[16:17]
	s_cbranch_execz .LBB7_1256
.LBB7_1276:
	v_cmp_ne_u16_e32 vcc, 0, v3
	s_andn2_b64 s[12:13], s[12:13], exec
	s_and_b64 s[14:15], vcc, exec
	v_pk_mov_b32 v[4:5], 0, 0
	s_or_b64 s[12:13], s[12:13], s[14:15]
	s_or_b64 exec, exec, s[16:17]
	s_and_saveexec_b64 s[14:15], s[12:13]
	s_cbranch_execnz .LBB7_1257
	s_branch .LBB7_1258
.LBB7_1277:
	s_mov_b64 s[10:11], -1
                                        ; implicit-def: $vgpr4_vgpr5
.LBB7_1278:
	s_mov_b64 s[16:17], 0
.LBB7_1279:
	s_and_b64 vcc, exec, s[16:17]
	s_cbranch_vccz .LBB7_1281
; %bb.1280:
	v_cmp_ne_u16_e32 vcc, 11, v1
	s_andn2_b64 s[10:11], s[10:11], exec
	s_and_b64 s[16:17], vcc, exec
	s_mov_b64 s[12:13], -1
	s_or_b64 s[10:11], s[10:11], s[16:17]
                                        ; implicit-def: $vgpr4_vgpr5
.LBB7_1281:
	s_mov_b64 s[16:17], 0
.LBB7_1282:
	s_and_b64 s[60:61], s[12:13], exec
	s_andn2_b64 s[12:13], s[0:1], exec
	s_and_b64 s[10:11], s[10:11], exec
	s_and_b64 s[62:63], s[14:15], exec
	;; [unrolled: 1-line block ×3, first 2 shown]
	s_or_b64 s[64:65], s[12:13], s[10:11]
.LBB7_1283:
	s_or_b64 exec, exec, s[54:55]
	s_andn2_b64 s[0:1], s[0:1], exec
	s_waitcnt lgkmcnt(0)
	s_and_b64 s[10:11], s[64:65], exec
	s_and_b64 s[62:63], s[62:63], exec
	;; [unrolled: 1-line block ×4, first 2 shown]
	s_or_b64 s[0:1], s[0:1], s[10:11]
.LBB7_1284:
	s_or_b64 exec, exec, s[52:53]
	s_waitcnt lgkmcnt(0)
	s_andn2_b64 s[10:11], s[48:49], exec
	s_and_b64 s[12:13], s[58:59], exec
	s_or_b64 s[48:49], s[10:11], s[12:13]
	s_andn2_b64 s[10:11], s[46:47], exec
	s_and_b64 s[12:13], s[56:57], exec
	s_or_b64 s[46:47], s[10:11], s[12:13]
	s_andn2_b64 s[10:11], s[44:45], exec
	s_and_b64 s[0:1], s[0:1], exec
	s_and_b64 s[56:57], s[62:63], exec
	;; [unrolled: 1-line block ×4, first 2 shown]
	s_or_b64 s[44:45], s[10:11], s[0:1]
.LBB7_1285:
	s_or_b64 exec, exec, s[50:51]
	s_andn2_b64 s[0:1], s[36:37], exec
	s_waitcnt lgkmcnt(0)
	s_and_b64 s[10:11], s[48:49], exec
	s_or_b64 s[36:37], s[0:1], s[10:11]
	s_andn2_b64 s[0:1], s[38:39], exec
	s_and_b64 s[10:11], s[46:47], exec
	s_or_b64 s[38:39], s[0:1], s[10:11]
	s_andn2_b64 s[0:1], s[40:41], exec
	s_and_b64 s[10:11], s[44:45], exec
	s_and_b64 s[48:49], s[56:57], exec
	;; [unrolled: 1-line block ×4, first 2 shown]
	s_or_b64 s[40:41], s[0:1], s[10:11]
	s_or_b64 exec, exec, s[42:43]
	s_mov_b64 s[10:11], 0
	s_and_saveexec_b64 s[0:1], s[40:41]
	s_cbranch_execz .LBB7_404
.LBB7_1286:
	s_mov_b64 s[10:11], exec
	s_andn2_b64 s[46:47], s[46:47], exec
	s_trap 2
                                        ; implicit-def: $vgpr4_vgpr5
	s_or_b64 exec, exec, s[0:1]
	s_and_saveexec_b64 s[0:1], s[46:47]
	s_xor_b64 s[0:1], exec, s[0:1]
	s_cbranch_execnz .LBB7_405
.LBB7_1287:
	s_or_b64 exec, exec, s[0:1]
	s_and_saveexec_b64 s[0:1], s[50:51]
	s_cbranch_execz .LBB7_1333
.LBB7_1288:
	s_waitcnt vmcnt(0)
	v_cmp_gt_i16_e32 vcc, 5, v1
	s_cbranch_vccnz .LBB7_1293
; %bb.1289:
	v_cmp_gt_i16_e32 vcc, 8, v1
	s_cbranch_vccnz .LBB7_1294
; %bb.1290:
	;; [unrolled: 3-line block ×3, first 2 shown]
	v_cmp_lt_i16_e32 vcc, 9, v1
	s_cbranch_vccz .LBB7_1296
; %bb.1292:
	global_load_dwordx2 v[4:5], v[6:7], off
	s_mov_b64 s[12:13], 0
	s_branch .LBB7_1297
.LBB7_1293:
                                        ; implicit-def: $vgpr4_vgpr5
	s_branch .LBB7_1314
.LBB7_1294:
                                        ; implicit-def: $vgpr4_vgpr5
	s_branch .LBB7_1303
.LBB7_1295:
	s_mov_b64 s[12:13], -1
                                        ; implicit-def: $vgpr4_vgpr5
	s_branch .LBB7_1300
.LBB7_1296:
	s_mov_b64 s[12:13], -1
                                        ; implicit-def: $vgpr4_vgpr5
.LBB7_1297:
	s_andn2_b64 vcc, exec, s[12:13]
	s_cbranch_vccnz .LBB7_1299
; %bb.1298:
	global_load_dword v3, v[6:7], off
	s_waitcnt vmcnt(0)
	v_cvt_f64_f32_e32 v[4:5], v3
.LBB7_1299:
	s_mov_b64 s[12:13], 0
.LBB7_1300:
	s_andn2_b64 vcc, exec, s[12:13]
	s_cbranch_vccnz .LBB7_1302
; %bb.1301:
	global_load_dword v3, v[6:7], off
	s_waitcnt vmcnt(0)
	v_cvt_f32_f16_e32 v3, v3
	v_cvt_f64_f32_e32 v[4:5], v3
.LBB7_1302:
	s_cbranch_execnz .LBB7_1313
.LBB7_1303:
	v_cmp_gt_i16_e32 vcc, 6, v1
	s_cbranch_vccnz .LBB7_1306
; %bb.1304:
	v_cmp_lt_i16_e32 vcc, 6, v1
	s_cbranch_vccz .LBB7_1307
; %bb.1305:
	global_load_dwordx2 v[4:5], v[6:7], off
	s_mov_b64 s[12:13], 0
	s_branch .LBB7_1308
.LBB7_1306:
	s_mov_b64 s[12:13], -1
                                        ; implicit-def: $vgpr4_vgpr5
	s_branch .LBB7_1311
.LBB7_1307:
	s_mov_b64 s[12:13], -1
                                        ; implicit-def: $vgpr4_vgpr5
.LBB7_1308:
	s_andn2_b64 vcc, exec, s[12:13]
	s_cbranch_vccnz .LBB7_1310
; %bb.1309:
	global_load_dword v3, v[6:7], off
	s_waitcnt vmcnt(0)
	v_cvt_f64_f32_e32 v[4:5], v3
.LBB7_1310:
	s_mov_b64 s[12:13], 0
.LBB7_1311:
	s_andn2_b64 vcc, exec, s[12:13]
	s_cbranch_vccnz .LBB7_1313
; %bb.1312:
	global_load_ushort v3, v[6:7], off
	s_waitcnt vmcnt(0)
	v_cvt_f32_f16_e32 v3, v3
	v_cvt_f64_f32_e32 v[4:5], v3
.LBB7_1313:
	s_cbranch_execnz .LBB7_1332
.LBB7_1314:
	v_cmp_gt_i16_e32 vcc, 2, v1
	s_cbranch_vccnz .LBB7_1318
; %bb.1315:
	v_cmp_gt_i16_e32 vcc, 3, v1
	s_cbranch_vccnz .LBB7_1319
; %bb.1316:
	v_cmp_lt_i16_e32 vcc, 3, v1
	s_cbranch_vccz .LBB7_1320
; %bb.1317:
	global_load_dwordx2 v[4:5], v[6:7], off
	s_mov_b64 s[12:13], 0
	s_waitcnt vmcnt(0)
	v_cvt_f64_i32_e32 v[8:9], v5
	v_cvt_f64_u32_e32 v[4:5], v4
	v_ldexp_f64 v[8:9], v[8:9], 32
	v_add_f64 v[4:5], v[8:9], v[4:5]
	s_branch .LBB7_1321
.LBB7_1318:
                                        ; implicit-def: $vgpr4_vgpr5
	s_branch .LBB7_1327
.LBB7_1319:
	s_mov_b64 s[12:13], -1
                                        ; implicit-def: $vgpr4_vgpr5
	s_branch .LBB7_1324
.LBB7_1320:
	s_mov_b64 s[12:13], -1
                                        ; implicit-def: $vgpr4_vgpr5
.LBB7_1321:
	s_andn2_b64 vcc, exec, s[12:13]
	s_cbranch_vccnz .LBB7_1323
; %bb.1322:
	global_load_dword v3, v[6:7], off
	s_waitcnt vmcnt(0)
	v_cvt_f64_i32_e32 v[4:5], v3
.LBB7_1323:
	s_mov_b64 s[12:13], 0
.LBB7_1324:
	s_andn2_b64 vcc, exec, s[12:13]
	s_cbranch_vccnz .LBB7_1326
; %bb.1325:
	global_load_sshort v3, v[6:7], off
	s_waitcnt vmcnt(0)
	v_cvt_f64_i32_e32 v[4:5], v3
.LBB7_1326:
	s_cbranch_execnz .LBB7_1332
.LBB7_1327:
	v_cmp_lt_i16_e32 vcc, 0, v1
	s_cbranch_vccz .LBB7_1329
; %bb.1328:
	global_load_sbyte v1, v[6:7], off
	s_mov_b64 s[12:13], 0
	s_waitcnt vmcnt(0)
	v_cvt_f64_i32_e32 v[4:5], v1
	s_branch .LBB7_1330
.LBB7_1329:
	s_mov_b64 s[12:13], -1
                                        ; implicit-def: $vgpr4_vgpr5
.LBB7_1330:
	s_andn2_b64 vcc, exec, s[12:13]
	s_cbranch_vccnz .LBB7_1332
; %bb.1331:
	global_load_ubyte v1, v[6:7], off
	s_waitcnt vmcnt(0)
	v_cvt_f64_u32_e32 v[4:5], v1
.LBB7_1332:
	s_or_b64 s[48:49], s[48:49], exec
.LBB7_1333:
	s_or_b64 exec, exec, s[0:1]
	s_mov_b64 s[14:15], 0
	s_mov_b64 s[18:19], 0
	;; [unrolled: 1-line block ×3, first 2 shown]
                                        ; implicit-def: $vgpr1
                                        ; implicit-def: $vgpr6_vgpr7
                                        ; implicit-def: $vgpr8_vgpr9
	s_and_saveexec_b64 s[0:1], s[48:49]
	s_cbranch_execz .LBB7_1341
; %bb.1334:
	s_waitcnt vmcnt(0)
	v_mov_b32_e32 v1, s25
	v_add_co_u32_e32 v6, vcc, s24, v0
	v_addc_co_u32_e32 v7, vcc, 0, v1, vcc
	v_and_b32_e32 v1, 0xff, v11
	v_cmp_gt_i16_e32 vcc, 11, v1
	s_cbranch_vccnz .LBB7_1344
; %bb.1335:
	v_cmp_lt_i16_e32 vcc, 25, v1
	s_cbranch_vccz .LBB7_1345
; %bb.1336:
	v_cmp_lt_i16_e32 vcc, 28, v1
	s_cbranch_vccz .LBB7_1346
	;; [unrolled: 3-line block ×4, first 2 shown]
; %bb.1339:
	v_cmp_eq_u16_e32 vcc, 46, v1
	s_cbranch_vccz .LBB7_1349
; %bb.1340:
	global_load_dword v0, v[6:7], off
	s_mov_b64 s[12:13], 0
	s_mov_b64 s[16:17], -1
	s_waitcnt vmcnt(0)
	v_lshlrev_b32_e32 v0, 16, v0
	v_cvt_f64_f32_e32 v[8:9], v0
	s_branch .LBB7_1351
.LBB7_1341:
	s_or_b64 exec, exec, s[0:1]
	s_and_saveexec_b64 s[0:1], s[38:39]
	s_cbranch_execnz .LBB7_1414
.LBB7_1342:
	s_or_b64 exec, exec, s[0:1]
	s_and_saveexec_b64 s[0:1], s[14:15]
	s_xor_b64 s[0:1], exec, s[0:1]
	s_cbranch_execz .LBB7_1415
.LBB7_1343:
	s_waitcnt vmcnt(0)
	global_load_ubyte v0, v[6:7], off
	v_mov_b32_e32 v3, 0x3ff00000
	v_mov_b32_e32 v8, 0
	s_or_b64 s[16:17], s[16:17], exec
	s_waitcnt vmcnt(0)
	v_cmp_ne_u16_e32 vcc, 0, v0
	v_cndmask_b32_e32 v9, 0, v3, vcc
	s_or_b64 exec, exec, s[0:1]
	s_and_saveexec_b64 s[0:1], s[18:19]
	s_cbranch_execz .LBB7_1461
	s_branch .LBB7_1416
.LBB7_1344:
	s_mov_b64 s[18:19], -1
                                        ; implicit-def: $vgpr8_vgpr9
	s_mov_b64 s[12:13], s[38:39]
	s_branch .LBB7_1413
.LBB7_1345:
	s_mov_b64 s[12:13], s[38:39]
                                        ; implicit-def: $vgpr8_vgpr9
	s_cbranch_execnz .LBB7_1380
	s_branch .LBB7_1412
.LBB7_1346:
	s_mov_b64 s[18:19], -1
	s_mov_b64 s[12:13], s[38:39]
                                        ; implicit-def: $vgpr8_vgpr9
	s_branch .LBB7_1361
.LBB7_1347:
	s_mov_b64 s[18:19], -1
	s_mov_b64 s[12:13], s[38:39]
                                        ; implicit-def: $vgpr8_vgpr9
	s_branch .LBB7_1356
.LBB7_1348:
	s_mov_b64 s[18:19], -1
	s_mov_b64 s[12:13], s[38:39]
	s_branch .LBB7_1350
.LBB7_1349:
	s_mov_b64 s[12:13], -1
.LBB7_1350:
                                        ; implicit-def: $vgpr8_vgpr9
.LBB7_1351:
	s_and_b64 vcc, exec, s[18:19]
	s_cbranch_vccz .LBB7_1355
; %bb.1352:
	v_cmp_eq_u16_e32 vcc, 44, v1
	s_cbranch_vccz .LBB7_1354
; %bb.1353:
	global_load_ubyte v0, v[6:7], off
	s_movk_i32 s16, 0xff
	v_bfrev_b32_e32 v3, 4
	v_mov_b32_e32 v11, 0x7ff80000
	v_bfrev_b32_e32 v12, 28
	s_mov_b64 s[12:13], 0
	s_waitcnt vmcnt(0)
	v_lshlrev_b32_e32 v8, 23, v0
	v_cvt_f64_f32_e32 v[8:9], v8
	v_cmp_ne_u32_e32 vcc, s16, v0
	v_cndmask_b32_e32 v3, v3, v8, vcc
	v_cndmask_b32_e32 v8, v11, v9, vcc
	v_cmp_ne_u32_e32 vcc, 0, v0
	v_cndmask_b32_e32 v9, v12, v8, vcc
	v_cndmask_b32_e32 v8, 0, v3, vcc
	s_mov_b64 s[16:17], -1
	s_branch .LBB7_1355
.LBB7_1354:
	s_mov_b64 s[12:13], -1
                                        ; implicit-def: $vgpr8_vgpr9
.LBB7_1355:
	s_mov_b64 s[18:19], 0
.LBB7_1356:
	s_and_b64 vcc, exec, s[18:19]
	s_cbranch_vccz .LBB7_1360
; %bb.1357:
	v_cmp_eq_u16_e32 vcc, 29, v1
	s_cbranch_vccz .LBB7_1359
; %bb.1358:
	global_load_dwordx2 v[8:9], v[6:7], off
	s_mov_b64 s[12:13], 0
	s_mov_b64 s[16:17], -1
	s_mov_b64 s[18:19], 0
	s_waitcnt vmcnt(0)
	v_cvt_f64_u32_e32 v[12:13], v9
	v_cvt_f64_u32_e32 v[8:9], v8
	v_ldexp_f64 v[12:13], v[12:13], 32
	v_add_f64 v[8:9], v[12:13], v[8:9]
	s_branch .LBB7_1361
.LBB7_1359:
	s_mov_b64 s[12:13], -1
                                        ; implicit-def: $vgpr8_vgpr9
.LBB7_1360:
	s_mov_b64 s[18:19], 0
.LBB7_1361:
	s_and_b64 vcc, exec, s[18:19]
	s_cbranch_vccz .LBB7_1379
; %bb.1362:
	v_cmp_gt_i16_e32 vcc, 27, v1
	s_cbranch_vccnz .LBB7_1365
; %bb.1363:
	v_cmp_lt_i16_e32 vcc, 27, v1
	s_cbranch_vccz .LBB7_1366
; %bb.1364:
	global_load_dword v0, v[6:7], off
	s_mov_b64 s[16:17], 0
	s_waitcnt vmcnt(0)
	v_cvt_f64_u32_e32 v[8:9], v0
	s_branch .LBB7_1367
.LBB7_1365:
	s_mov_b64 s[16:17], -1
                                        ; implicit-def: $vgpr8_vgpr9
	s_branch .LBB7_1370
.LBB7_1366:
	s_mov_b64 s[16:17], -1
                                        ; implicit-def: $vgpr8_vgpr9
.LBB7_1367:
	s_andn2_b64 vcc, exec, s[16:17]
	s_cbranch_vccnz .LBB7_1369
; %bb.1368:
	global_load_ushort v0, v[6:7], off
	s_waitcnt vmcnt(0)
	v_cvt_f64_u32_e32 v[8:9], v0
.LBB7_1369:
	s_mov_b64 s[16:17], 0
.LBB7_1370:
	s_andn2_b64 vcc, exec, s[16:17]
	s_cbranch_vccnz .LBB7_1378
; %bb.1371:
	global_load_ubyte v0, v[6:7], off
	s_movk_i32 s16, 0x7f
                                        ; implicit-def: $sgpr18_sgpr19
	s_waitcnt vmcnt(0)
	v_cmp_lt_i16_e32 vcc, s16, v0
	s_mov_b64 s[16:17], 0
	s_and_saveexec_b64 s[24:25], vcc
	s_xor_b64 s[24:25], exec, s[24:25]
	s_cbranch_execz .LBB7_1391
; %bb.1372:
	s_movk_i32 s16, 0x80
	v_cmp_eq_u16_e32 vcc, s16, v0
	s_mov_b64 s[26:27], -1
                                        ; implicit-def: $sgpr18_sgpr19
	s_and_saveexec_b64 s[16:17], vcc
; %bb.1373:
	s_mov_b32 s19, 0x7ff80000
	s_brev_b32 s18, 4
	s_xor_b64 s[26:27], exec, -1
; %bb.1374:
	s_or_b64 exec, exec, s[16:17]
	s_and_b64 s[16:17], s[26:27], exec
	s_or_saveexec_b64 s[24:25], s[24:25]
	v_pk_mov_b32 v[8:9], s[18:19], s[18:19] op_sel:[0,1]
	s_xor_b64 exec, exec, s[24:25]
	s_cbranch_execnz .LBB7_1392
.LBB7_1375:
	s_or_b64 exec, exec, s[24:25]
	s_and_saveexec_b64 s[18:19], s[16:17]
	s_cbranch_execz .LBB7_1377
.LBB7_1376:
	v_lshlrev_b32_e32 v3, 24, v0
	v_and_b32_e32 v0, 0xffff, v0
	v_and_b32_e32 v8, 7, v0
	v_ffbh_u32_e32 v11, v8
	v_min_u32_e32 v11, 32, v11
	v_subrev_u32_e32 v12, 28, v11
	v_bfe_u32 v9, v0, 3, 4
	v_lshlrev_b32_e32 v0, v12, v0
	v_sub_u32_e32 v11, 29, v11
	v_and_b32_e32 v0, 7, v0
	v_cmp_eq_u32_e32 vcc, 0, v9
	v_cndmask_b32_e32 v9, v9, v11, vcc
	v_cndmask_b32_e32 v0, v8, v0, vcc
	v_mov_b32_e32 v8, 0x3b800000
	v_lshlrev_b32_e32 v0, 20, v0
	v_and_b32_e32 v3, 0x80000000, v3
	v_lshl_add_u32 v8, v9, 23, v8
	v_or3_b32 v0, v3, v8, v0
	v_cvt_f64_f32_e32 v[8:9], v0
.LBB7_1377:
	s_or_b64 exec, exec, s[18:19]
.LBB7_1378:
	s_mov_b64 s[16:17], -1
.LBB7_1379:
	s_branch .LBB7_1412
.LBB7_1380:
	v_cmp_lt_i16_e32 vcc, 22, v1
	s_cbranch_vccz .LBB7_1390
; %bb.1381:
	v_cmp_gt_i16_e32 vcc, 24, v1
	s_cbranch_vccnz .LBB7_1393
; %bb.1382:
	v_cmp_lt_i16_e32 vcc, 24, v1
	s_cbranch_vccz .LBB7_1394
; %bb.1383:
	global_load_ubyte v0, v[6:7], off
	s_movk_i32 s14, 0x7f
                                        ; implicit-def: $sgpr16_sgpr17
	s_waitcnt vmcnt(0)
	v_cmp_lt_i16_e32 vcc, s14, v0
	s_mov_b64 s[14:15], 0
	s_and_saveexec_b64 s[18:19], vcc
	s_xor_b64 s[18:19], exec, s[18:19]
	s_cbranch_execz .LBB7_1406
; %bb.1384:
	s_movk_i32 s14, 0x80
	v_cmp_eq_u16_e32 vcc, s14, v0
	s_mov_b64 s[24:25], -1
                                        ; implicit-def: $sgpr16_sgpr17
	s_and_saveexec_b64 s[14:15], vcc
; %bb.1385:
	s_mov_b32 s17, 0x7ff80000
	s_brev_b32 s16, 4
	s_xor_b64 s[24:25], exec, -1
; %bb.1386:
	s_or_b64 exec, exec, s[14:15]
	s_and_b64 s[14:15], s[24:25], exec
	s_or_saveexec_b64 s[18:19], s[18:19]
	v_pk_mov_b32 v[8:9], s[16:17], s[16:17] op_sel:[0,1]
	s_xor_b64 exec, exec, s[18:19]
	s_cbranch_execnz .LBB7_1407
.LBB7_1387:
	s_or_b64 exec, exec, s[18:19]
	s_and_saveexec_b64 s[16:17], s[14:15]
	s_cbranch_execz .LBB7_1389
.LBB7_1388:
	v_lshlrev_b32_e32 v3, 24, v0
	v_and_b32_e32 v0, 0xffff, v0
	v_and_b32_e32 v8, 3, v0
	v_ffbh_u32_e32 v11, v8
	v_min_u32_e32 v11, 32, v11
	v_subrev_u32_e32 v12, 29, v11
	v_bfe_u32 v9, v0, 2, 5
	v_lshlrev_b32_e32 v0, v12, v0
	v_sub_u32_e32 v11, 30, v11
	v_and_b32_e32 v0, 3, v0
	v_cmp_eq_u32_e32 vcc, 0, v9
	v_cndmask_b32_e32 v9, v9, v11, vcc
	v_cndmask_b32_e32 v0, v8, v0, vcc
	v_mov_b32_e32 v8, 0x37800000
	v_lshlrev_b32_e32 v0, 21, v0
	v_and_b32_e32 v3, 0x80000000, v3
	v_lshl_add_u32 v8, v9, 23, v8
	v_or3_b32 v0, v3, v8, v0
	v_cvt_f64_f32_e32 v[8:9], v0
.LBB7_1389:
	s_or_b64 exec, exec, s[16:17]
	s_mov_b64 s[14:15], 0
	s_branch .LBB7_1395
.LBB7_1390:
	s_mov_b64 s[14:15], -1
                                        ; implicit-def: $vgpr8_vgpr9
	s_branch .LBB7_1401
.LBB7_1391:
	s_or_saveexec_b64 s[24:25], s[24:25]
	v_pk_mov_b32 v[8:9], s[18:19], s[18:19] op_sel:[0,1]
	s_xor_b64 exec, exec, s[24:25]
	s_cbranch_execz .LBB7_1375
.LBB7_1392:
	v_cmp_ne_u16_e32 vcc, 0, v0
	s_andn2_b64 s[16:17], s[16:17], exec
	s_and_b64 s[18:19], vcc, exec
	v_pk_mov_b32 v[8:9], 0, 0
	s_or_b64 s[16:17], s[16:17], s[18:19]
	s_or_b64 exec, exec, s[24:25]
	s_and_saveexec_b64 s[18:19], s[16:17]
	s_cbranch_execnz .LBB7_1376
	s_branch .LBB7_1377
.LBB7_1393:
	s_mov_b64 s[14:15], -1
                                        ; implicit-def: $vgpr8_vgpr9
	s_branch .LBB7_1398
.LBB7_1394:
	s_mov_b64 s[14:15], -1
                                        ; implicit-def: $vgpr8_vgpr9
.LBB7_1395:
	s_and_b64 vcc, exec, s[14:15]
	s_cbranch_vccz .LBB7_1397
; %bb.1396:
	global_load_ubyte v0, v[6:7], off
	s_mov_b32 s14, 0x7f800000
	s_waitcnt vmcnt(0)
	v_lshlrev_b32_e32 v0, 24, v0
	v_and_b32_e32 v3, 0x7f000000, v0
	v_ffbh_u32_e32 v8, v3
	v_min_u32_e32 v8, 32, v8
	v_sub_u32_e64 v8, v8, 4 clamp
	v_lshlrev_b32_e32 v11, v8, v3
	v_lshlrev_b32_e32 v8, 23, v8
	v_lshrrev_b32_e32 v11, 4, v11
	v_add_u32_e32 v9, 0x1000000, v3
	v_sub_u32_e32 v8, v11, v8
	v_ashrrev_i32_e32 v9, 8, v9
	v_add_u32_e32 v8, 0x3c000000, v8
	v_and_or_b32 v8, v9, s14, v8
	v_cmp_ne_u32_e32 vcc, 0, v3
	v_cndmask_b32_e32 v3, 0, v8, vcc
	s_brev_b32 s14, 1
	v_and_or_b32 v0, v0, s14, v3
	v_cvt_f64_f32_e32 v[8:9], v0
.LBB7_1397:
	s_mov_b64 s[14:15], 0
.LBB7_1398:
	s_andn2_b64 vcc, exec, s[14:15]
	s_cbranch_vccnz .LBB7_1400
; %bb.1399:
	global_load_ubyte v0, v[6:7], off
	s_movk_i32 s14, 0x7f00
	s_brev_b32 s15, 16
	s_waitcnt vmcnt(0)
	v_lshlrev_b16_e32 v3, 8, v0
	v_lshlrev_b32_e32 v0, 25, v0
	v_lshrrev_b32_e32 v8, 4, v0
	v_and_or_b32 v9, v3, s14, 0.5
	v_or_b32_e32 v8, 0x70000000, v8
	v_add_f32_e32 v9, -0.5, v9
	v_mul_f32_e32 v8, 0x7800000, v8
	v_cmp_gt_u32_e32 vcc, s15, v0
	v_bfe_i32 v3, v3, 0, 16
	v_cndmask_b32_e32 v0, v8, v9, vcc
	s_brev_b32 s14, 1
	v_and_or_b32 v0, v3, s14, v0
	v_cvt_f64_f32_e32 v[8:9], v0
.LBB7_1400:
	s_mov_b64 s[14:15], 0
	s_mov_b64 s[16:17], -1
.LBB7_1401:
	s_andn2_b64 vcc, exec, s[14:15]
	s_mov_b64 s[14:15], 0
	s_cbranch_vccnz .LBB7_1412
; %bb.1402:
	v_cmp_lt_i16_e32 vcc, 14, v1
	s_cbranch_vccz .LBB7_1405
; %bb.1403:
	v_cmp_eq_u16_e32 vcc, 15, v1
	s_cbranch_vccz .LBB7_1408
; %bb.1404:
	global_load_ushort v0, v[6:7], off
	s_mov_b64 s[12:13], 0
	s_mov_b64 s[16:17], -1
	s_waitcnt vmcnt(0)
	v_lshlrev_b32_e32 v0, 16, v0
	v_cvt_f64_f32_e32 v[8:9], v0
	s_branch .LBB7_1409
.LBB7_1405:
	s_mov_b64 s[18:19], -1
                                        ; implicit-def: $vgpr8_vgpr9
	s_branch .LBB7_1410
.LBB7_1406:
	s_or_saveexec_b64 s[18:19], s[18:19]
	v_pk_mov_b32 v[8:9], s[16:17], s[16:17] op_sel:[0,1]
	s_xor_b64 exec, exec, s[18:19]
	s_cbranch_execz .LBB7_1387
.LBB7_1407:
	v_cmp_ne_u16_e32 vcc, 0, v0
	s_andn2_b64 s[14:15], s[14:15], exec
	s_and_b64 s[16:17], vcc, exec
	v_pk_mov_b32 v[8:9], 0, 0
	s_or_b64 s[14:15], s[14:15], s[16:17]
	s_or_b64 exec, exec, s[18:19]
	s_and_saveexec_b64 s[16:17], s[14:15]
	s_cbranch_execnz .LBB7_1388
	s_branch .LBB7_1389
.LBB7_1408:
	s_mov_b64 s[12:13], -1
                                        ; implicit-def: $vgpr8_vgpr9
.LBB7_1409:
	s_mov_b64 s[18:19], 0
.LBB7_1410:
	s_and_b64 vcc, exec, s[18:19]
	s_cbranch_vccz .LBB7_1412
; %bb.1411:
	v_cmp_ne_u16_e32 vcc, 11, v1
	s_andn2_b64 s[12:13], s[12:13], exec
	s_and_b64 s[18:19], vcc, exec
	s_mov_b64 s[14:15], -1
	s_or_b64 s[12:13], s[12:13], s[18:19]
                                        ; implicit-def: $vgpr8_vgpr9
.LBB7_1412:
	s_mov_b64 s[18:19], 0
.LBB7_1413:
	s_andn2_b64 s[24:25], s[38:39], exec
	s_and_b64 s[12:13], s[12:13], exec
	s_and_b64 s[16:17], s[16:17], exec
	s_and_b64 s[18:19], s[18:19], exec
	s_and_b64 s[14:15], s[14:15], exec
	s_or_b64 s[38:39], s[24:25], s[12:13]
	s_or_b64 exec, exec, s[0:1]
	s_and_saveexec_b64 s[0:1], s[38:39]
	s_cbranch_execz .LBB7_1342
.LBB7_1414:
	s_or_b64 s[10:11], s[10:11], exec
	s_andn2_b64 s[14:15], s[14:15], exec
	s_trap 2
                                        ; implicit-def: $vgpr8_vgpr9
	s_or_b64 exec, exec, s[0:1]
	s_and_saveexec_b64 s[0:1], s[14:15]
	s_xor_b64 s[0:1], exec, s[0:1]
	s_cbranch_execnz .LBB7_1343
.LBB7_1415:
	s_or_b64 exec, exec, s[0:1]
	s_and_saveexec_b64 s[0:1], s[18:19]
	s_cbranch_execz .LBB7_1461
.LBB7_1416:
	s_waitcnt vmcnt(0)
	v_cmp_gt_i16_e32 vcc, 5, v1
	s_cbranch_vccnz .LBB7_1421
; %bb.1417:
	v_cmp_gt_i16_e32 vcc, 8, v1
	s_cbranch_vccnz .LBB7_1422
; %bb.1418:
	;; [unrolled: 3-line block ×3, first 2 shown]
	v_cmp_lt_i16_e32 vcc, 9, v1
	s_cbranch_vccz .LBB7_1424
; %bb.1420:
	global_load_dwordx2 v[8:9], v[6:7], off
	s_mov_b64 s[12:13], 0
	s_branch .LBB7_1425
.LBB7_1421:
                                        ; implicit-def: $vgpr8_vgpr9
	s_branch .LBB7_1442
.LBB7_1422:
                                        ; implicit-def: $vgpr8_vgpr9
	s_branch .LBB7_1431
.LBB7_1423:
	s_mov_b64 s[12:13], -1
                                        ; implicit-def: $vgpr8_vgpr9
	s_branch .LBB7_1428
.LBB7_1424:
	s_mov_b64 s[12:13], -1
                                        ; implicit-def: $vgpr8_vgpr9
.LBB7_1425:
	s_andn2_b64 vcc, exec, s[12:13]
	s_cbranch_vccnz .LBB7_1427
; %bb.1426:
	global_load_dword v0, v[6:7], off
	s_waitcnt vmcnt(0)
	v_cvt_f64_f32_e32 v[8:9], v0
.LBB7_1427:
	s_mov_b64 s[12:13], 0
.LBB7_1428:
	s_andn2_b64 vcc, exec, s[12:13]
	s_cbranch_vccnz .LBB7_1430
; %bb.1429:
	global_load_dword v0, v[6:7], off
	s_waitcnt vmcnt(0)
	v_cvt_f32_f16_e32 v0, v0
	v_cvt_f64_f32_e32 v[8:9], v0
.LBB7_1430:
	s_cbranch_execnz .LBB7_1441
.LBB7_1431:
	v_cmp_gt_i16_e32 vcc, 6, v1
	s_cbranch_vccnz .LBB7_1434
; %bb.1432:
	v_cmp_lt_i16_e32 vcc, 6, v1
	s_cbranch_vccz .LBB7_1435
; %bb.1433:
	global_load_dwordx2 v[8:9], v[6:7], off
	s_mov_b64 s[12:13], 0
	s_branch .LBB7_1436
.LBB7_1434:
	s_mov_b64 s[12:13], -1
                                        ; implicit-def: $vgpr8_vgpr9
	s_branch .LBB7_1439
.LBB7_1435:
	s_mov_b64 s[12:13], -1
                                        ; implicit-def: $vgpr8_vgpr9
.LBB7_1436:
	s_andn2_b64 vcc, exec, s[12:13]
	s_cbranch_vccnz .LBB7_1438
; %bb.1437:
	global_load_dword v0, v[6:7], off
	s_waitcnt vmcnt(0)
	v_cvt_f64_f32_e32 v[8:9], v0
.LBB7_1438:
	s_mov_b64 s[12:13], 0
.LBB7_1439:
	s_andn2_b64 vcc, exec, s[12:13]
	s_cbranch_vccnz .LBB7_1441
; %bb.1440:
	global_load_ushort v0, v[6:7], off
	s_waitcnt vmcnt(0)
	v_cvt_f32_f16_e32 v0, v0
	v_cvt_f64_f32_e32 v[8:9], v0
.LBB7_1441:
	s_cbranch_execnz .LBB7_1460
.LBB7_1442:
	v_cmp_gt_i16_e32 vcc, 2, v1
	s_cbranch_vccnz .LBB7_1446
; %bb.1443:
	v_cmp_gt_i16_e32 vcc, 3, v1
	s_cbranch_vccnz .LBB7_1447
; %bb.1444:
	v_cmp_lt_i16_e32 vcc, 3, v1
	s_cbranch_vccz .LBB7_1448
; %bb.1445:
	global_load_dwordx2 v[8:9], v[6:7], off
	s_mov_b64 s[12:13], 0
	s_waitcnt vmcnt(0)
	v_cvt_f64_i32_e32 v[12:13], v9
	v_cvt_f64_u32_e32 v[8:9], v8
	v_ldexp_f64 v[12:13], v[12:13], 32
	v_add_f64 v[8:9], v[12:13], v[8:9]
	s_branch .LBB7_1449
.LBB7_1446:
                                        ; implicit-def: $vgpr8_vgpr9
	s_branch .LBB7_1455
.LBB7_1447:
	s_mov_b64 s[12:13], -1
                                        ; implicit-def: $vgpr8_vgpr9
	s_branch .LBB7_1452
.LBB7_1448:
	s_mov_b64 s[12:13], -1
                                        ; implicit-def: $vgpr8_vgpr9
.LBB7_1449:
	s_andn2_b64 vcc, exec, s[12:13]
	s_cbranch_vccnz .LBB7_1451
; %bb.1450:
	global_load_dword v0, v[6:7], off
	s_waitcnt vmcnt(0)
	v_cvt_f64_i32_e32 v[8:9], v0
.LBB7_1451:
	s_mov_b64 s[12:13], 0
.LBB7_1452:
	s_andn2_b64 vcc, exec, s[12:13]
	s_cbranch_vccnz .LBB7_1454
; %bb.1453:
	global_load_sshort v0, v[6:7], off
	s_waitcnt vmcnt(0)
	v_cvt_f64_i32_e32 v[8:9], v0
.LBB7_1454:
	s_cbranch_execnz .LBB7_1460
.LBB7_1455:
	v_cmp_lt_i16_e32 vcc, 0, v1
	s_cbranch_vccz .LBB7_1457
; %bb.1456:
	global_load_sbyte v0, v[6:7], off
	s_mov_b64 s[12:13], 0
	s_waitcnt vmcnt(0)
	v_cvt_f64_i32_e32 v[8:9], v0
	s_branch .LBB7_1458
.LBB7_1457:
	s_mov_b64 s[12:13], -1
                                        ; implicit-def: $vgpr8_vgpr9
.LBB7_1458:
	s_andn2_b64 vcc, exec, s[12:13]
	s_cbranch_vccnz .LBB7_1460
; %bb.1459:
	global_load_ubyte v0, v[6:7], off
	s_waitcnt vmcnt(0)
	v_cvt_f64_u32_e32 v[8:9], v0
.LBB7_1460:
	s_or_b64 s[16:17], s[16:17], exec
.LBB7_1461:
	s_or_b64 exec, exec, s[0:1]
	s_mov_b64 s[14:15], 0
	s_mov_b64 s[18:19], 0
                                        ; implicit-def: $vgpr11
                                        ; implicit-def: $vgpr6_vgpr7
                                        ; implicit-def: $vgpr0_vgpr1
	s_and_saveexec_b64 s[12:13], s[16:17]
	s_cbranch_execz .LBB7_1536
; %bb.1462:
	s_waitcnt vmcnt(0)
	v_mul_f64 v[0:1], v[4:5], v[8:9]
	v_cmp_lt_f64_e32 vcc, 0, v[4:5]
	v_cndmask_b32_e32 v1, v1, v5, vcc
	v_cndmask_b32_e32 v0, v0, v4, vcc
	v_mov_b32_e32 v3, s9
	v_add_co_u32_e32 v6, vcc, s8, v2
	v_addc_co_u32_e32 v7, vcc, 0, v3, vcc
	v_and_b32_e32 v11, 0xff, v10
	v_cmp_gt_i16_e32 vcc, 11, v11
	s_mov_b64 s[8:9], -1
	s_mov_b64 s[0:1], s[36:37]
	s_cbranch_vccnz .LBB7_1540
; %bb.1463:
	v_cmp_lt_i16_e32 vcc, 25, v11
	s_mov_b64 s[14:15], -1
	s_mov_b64 s[0:1], s[36:37]
	s_cbranch_vccz .LBB7_1496
; %bb.1464:
	v_cmp_lt_i16_e32 vcc, 28, v11
	s_mov_b64 s[0:1], s[36:37]
	s_cbranch_vccz .LBB7_1480
; %bb.1465:
	v_cmp_lt_i16_e32 vcc, 43, v11
	;; [unrolled: 4-line block ×3, first 2 shown]
	s_mov_b64 s[0:1], s[36:37]
	s_cbranch_vccz .LBB7_1470
; %bb.1467:
	v_cmp_eq_u16_e32 vcc, 46, v11
	s_mov_b64 s[0:1], -1
	s_cbranch_vccz .LBB7_1469
; %bb.1468:
	v_cvt_f32_f64_e32 v2, v[0:1]
	v_bfe_u32 v3, v2, 16, 1
	s_movk_i32 s0, 0x7fff
	v_add3_u32 v3, v2, v3, s0
	v_lshrrev_b32_e32 v3, 16, v3
	v_mov_b32_e32 v4, 0x7fc0
	v_cmp_o_f32_e32 vcc, v2, v2
	v_cndmask_b32_e32 v2, v4, v3, vcc
	global_store_dword v[6:7], v2, off
	s_mov_b64 s[0:1], 0
.LBB7_1469:
	s_mov_b64 s[8:9], 0
.LBB7_1470:
	s_and_b64 vcc, exec, s[8:9]
	s_cbranch_vccz .LBB7_1475
; %bb.1471:
	v_cmp_eq_u16_e32 vcc, 44, v11
	s_mov_b64 s[0:1], -1
	s_cbranch_vccz .LBB7_1475
; %bb.1472:
	v_cvt_f32_f64_e32 v2, v[0:1]
	v_bfe_u32 v3, v2, 23, 8
	s_movk_i32 s0, 0xff
	v_cmp_ne_u32_e32 vcc, s0, v3
	v_mov_b32_e32 v4, 0xff
	s_and_saveexec_b64 s[8:9], vcc
; %bb.1473:
	s_mov_b32 s0, 0x3fffff
	v_lshrrev_b32_e32 v4, 23, v2
	v_and_b32_e32 v5, 0x400000, v2
	v_and_or_b32 v2, v2, s0, v3
	v_cmp_ne_u32_e32 vcc, 0, v5
	v_cmp_ne_u32_e64 s[0:1], 0, v2
	s_and_b64 s[0:1], vcc, s[0:1]
	v_cndmask_b32_e64 v2, 0, 1, s[0:1]
	v_add_u32_e32 v4, v4, v2
; %bb.1474:
	s_or_b64 exec, exec, s[8:9]
	global_store_byte v[6:7], v4, off
	s_mov_b64 s[0:1], 0
.LBB7_1475:
	s_mov_b64 s[8:9], 0
.LBB7_1476:
	s_and_b64 vcc, exec, s[8:9]
	s_cbranch_vccz .LBB7_1479
; %bb.1477:
	v_cmp_eq_u16_e32 vcc, 29, v11
	s_mov_b64 s[0:1], -1
	s_cbranch_vccz .LBB7_1479
; %bb.1478:
	v_trunc_f64_e32 v[2:3], v[0:1]
	s_movk_i32 s0, 0xffe0
	v_ldexp_f64 v[4:5], v[2:3], s0
	v_floor_f64_e32 v[4:5], v[4:5]
	v_fmac_f64_e32 v[2:3], 0xc1f00000, v[4:5]
	v_cvt_u32_f64_e32 v9, v[4:5]
	v_cvt_u32_f64_e32 v8, v[2:3]
	global_store_dwordx2 v[6:7], v[8:9], off
	s_mov_b64 s[0:1], 0
.LBB7_1479:
	s_mov_b64 s[8:9], 0
.LBB7_1480:
	s_and_b64 vcc, exec, s[8:9]
	s_cbranch_vccz .LBB7_1495
; %bb.1481:
	v_cmp_gt_i16_e32 vcc, 27, v11
	s_mov_b64 s[8:9], -1
	s_cbranch_vccnz .LBB7_1487
; %bb.1482:
	v_cmp_lt_i16_e32 vcc, 27, v11
	s_cbranch_vccz .LBB7_1484
; %bb.1483:
	v_cvt_u32_f64_e32 v2, v[0:1]
	s_mov_b64 s[8:9], 0
	global_store_dword v[6:7], v2, off
.LBB7_1484:
	s_andn2_b64 vcc, exec, s[8:9]
	s_cbranch_vccnz .LBB7_1486
; %bb.1485:
	v_cvt_u32_f64_e32 v2, v[0:1]
	global_store_short v[6:7], v2, off
.LBB7_1486:
	s_mov_b64 s[8:9], 0
.LBB7_1487:
	s_andn2_b64 vcc, exec, s[8:9]
	s_cbranch_vccnz .LBB7_1495
; %bb.1488:
	v_cvt_f32_f64_e32 v2, v[0:1]
	v_and_b32_e32 v3, 0x7fffffff, v2
	s_mov_b32 s8, 0x43800000
	v_cmp_gt_u32_e32 vcc, s8, v3
	v_mov_b32_e32 v4, 0x80
	s_and_saveexec_b64 s[8:9], vcc
	s_cbranch_execz .LBB7_1494
; %bb.1489:
	s_mov_b32 s14, 0x3bffffff
	v_cmp_lt_u32_e32 vcc, s14, v3
	s_mov_b64 s[14:15], 0
                                        ; implicit-def: $vgpr3
	s_and_saveexec_b64 s[16:17], vcc
	s_xor_b64 s[16:17], exec, s[16:17]
	s_cbranch_execz .LBB7_1635
; %bb.1490:
	v_bfe_u32 v3, v2, 20, 1
	s_mov_b32 s18, 0x487ffff
	v_add3_u32 v3, v2, v3, s18
	s_mov_b64 s[14:15], exec
	v_lshrrev_b32_e32 v3, 20, v3
	s_or_saveexec_b64 s[16:17], s[16:17]
                                        ; implicit-def: $sgpr18
	s_xor_b64 exec, exec, s[16:17]
	s_cbranch_execnz .LBB7_1636
.LBB7_1491:
	s_or_b64 exec, exec, s[16:17]
	v_mov_b32_e32 v4, s18
	s_and_saveexec_b64 s[16:17], s[14:15]
.LBB7_1492:
	v_lshrrev_b32_e32 v2, 24, v2
	s_movk_i32 s14, 0x80
	v_and_or_b32 v4, v2, s14, v3
.LBB7_1493:
	s_or_b64 exec, exec, s[16:17]
.LBB7_1494:
	s_or_b64 exec, exec, s[8:9]
	global_store_byte v[6:7], v4, off
.LBB7_1495:
	s_mov_b64 s[14:15], 0
.LBB7_1496:
	s_mov_b64 s[8:9], 0
	s_and_b64 vcc, exec, s[14:15]
	s_cbranch_vccz .LBB7_1539
; %bb.1497:
	v_cmp_lt_i16_e32 vcc, 22, v11
	s_mov_b64 s[14:15], -1
	s_cbranch_vccz .LBB7_1529
; %bb.1498:
	v_cmp_gt_i16_e32 vcc, 24, v11
	s_cbranch_vccnz .LBB7_1518
; %bb.1499:
	v_cmp_lt_i16_e32 vcc, 24, v11
	s_cbranch_vccz .LBB7_1507
; %bb.1500:
	v_cvt_f32_f64_e32 v2, v[0:1]
	v_and_b32_e32 v3, 0x7fffffff, v2
	s_mov_b32 s14, 0x47800000
	v_cmp_gt_u32_e32 vcc, s14, v3
	v_mov_b32_e32 v4, 0x80
	s_and_saveexec_b64 s[14:15], vcc
	s_cbranch_execz .LBB7_1506
; %bb.1501:
	s_mov_b32 s16, 0x37ffffff
	v_cmp_lt_u32_e32 vcc, s16, v3
	s_mov_b64 s[16:17], 0
                                        ; implicit-def: $vgpr3
	s_and_saveexec_b64 s[18:19], vcc
	s_xor_b64 s[18:19], exec, s[18:19]
	s_cbranch_execz .LBB7_1760
; %bb.1502:
	v_bfe_u32 v3, v2, 21, 1
	s_mov_b32 s24, 0x88fffff
	v_add3_u32 v3, v2, v3, s24
	s_mov_b64 s[16:17], exec
	v_lshrrev_b32_e32 v3, 21, v3
	s_or_saveexec_b64 s[18:19], s[18:19]
                                        ; implicit-def: $sgpr24
	s_xor_b64 exec, exec, s[18:19]
	s_cbranch_execnz .LBB7_1761
.LBB7_1503:
	s_or_b64 exec, exec, s[18:19]
	v_mov_b32_e32 v4, s24
	s_and_saveexec_b64 s[18:19], s[16:17]
.LBB7_1504:
	v_lshrrev_b32_e32 v2, 24, v2
	s_movk_i32 s16, 0x80
	v_and_or_b32 v4, v2, s16, v3
.LBB7_1505:
	s_or_b64 exec, exec, s[18:19]
.LBB7_1506:
	s_or_b64 exec, exec, s[14:15]
	s_mov_b64 s[14:15], 0
	global_store_byte v[6:7], v4, off
.LBB7_1507:
	s_and_b64 vcc, exec, s[14:15]
	s_cbranch_vccz .LBB7_1517
; %bb.1508:
	v_cvt_f32_f64_e32 v2, v[0:1]
	v_and_b32_e32 v4, 0x7fffffff, v2
	s_mov_b32 s14, 0x43f00000
	v_cmp_gt_u32_e32 vcc, s14, v4
                                        ; implicit-def: $vgpr3
	s_and_saveexec_b64 s[14:15], vcc
	s_xor_b64 s[14:15], exec, s[14:15]
	s_cbranch_execz .LBB7_1514
; %bb.1509:
	s_mov_b32 s16, 0x3c7fffff
	v_cmp_lt_u32_e32 vcc, s16, v4
                                        ; implicit-def: $vgpr3
	s_and_saveexec_b64 s[16:17], vcc
	s_xor_b64 s[16:17], exec, s[16:17]
; %bb.1510:
	v_bfe_u32 v3, v2, 20, 1
	s_mov_b32 s18, 0x407ffff
	v_add3_u32 v3, v2, v3, s18
	v_lshrrev_b32_e32 v4, 20, v3
	v_and_b32_e32 v3, 0xff00000, v3
	s_mov_b32 s18, 0x7f00000
	v_mov_b32_e32 v5, 0x7e
	v_cmp_ne_u32_e32 vcc, s18, v3
	v_cndmask_b32_e32 v3, v5, v4, vcc
; %bb.1511:
	s_andn2_saveexec_b64 s[16:17], s[16:17]
; %bb.1512:
	s_mov_b32 s18, 0x46800000
	v_add_f32_e64 v3, |v2|, s18
; %bb.1513:
	s_or_b64 exec, exec, s[16:17]
                                        ; implicit-def: $vgpr4
.LBB7_1514:
	s_andn2_saveexec_b64 s[14:15], s[14:15]
; %bb.1515:
	s_mov_b32 s16, 0x7f800000
	v_mov_b32_e32 v3, 0x7e
	v_mov_b32_e32 v5, 0x7f
	v_cmp_lt_u32_e32 vcc, s16, v4
	v_cndmask_b32_e32 v3, v3, v5, vcc
; %bb.1516:
	s_or_b64 exec, exec, s[14:15]
	v_lshrrev_b32_e32 v2, 24, v2
	s_movk_i32 s14, 0x80
	v_and_or_b32 v2, v2, s14, v3
	global_store_byte v[6:7], v2, off
.LBB7_1517:
	s_mov_b64 s[14:15], 0
.LBB7_1518:
	s_andn2_b64 vcc, exec, s[14:15]
	s_cbranch_vccnz .LBB7_1528
; %bb.1519:
	v_cvt_f32_f64_e32 v2, v[0:1]
	v_and_b32_e32 v4, 0x7fffffff, v2
	s_mov_b32 s14, 0x47800000
	v_cmp_gt_u32_e32 vcc, s14, v4
                                        ; implicit-def: $vgpr3
	s_and_saveexec_b64 s[14:15], vcc
	s_xor_b64 s[14:15], exec, s[14:15]
	s_cbranch_execz .LBB7_1525
; %bb.1520:
	s_mov_b32 s16, 0x387fffff
	v_cmp_lt_u32_e32 vcc, s16, v4
                                        ; implicit-def: $vgpr3
	s_and_saveexec_b64 s[16:17], vcc
	s_xor_b64 s[16:17], exec, s[16:17]
; %bb.1521:
	v_bfe_u32 v3, v2, 21, 1
	s_mov_b32 s18, 0x80fffff
	v_add3_u32 v3, v2, v3, s18
	v_lshrrev_b32_e32 v3, 21, v3
; %bb.1522:
	s_andn2_saveexec_b64 s[16:17], s[16:17]
; %bb.1523:
	s_mov_b32 s18, 0x43000000
	v_add_f32_e64 v3, |v2|, s18
; %bb.1524:
	s_or_b64 exec, exec, s[16:17]
                                        ; implicit-def: $vgpr4
.LBB7_1525:
	s_andn2_saveexec_b64 s[14:15], s[14:15]
; %bb.1526:
	s_mov_b32 s16, 0x7f800000
	v_mov_b32_e32 v3, 0x7c
	v_mov_b32_e32 v5, 0x7f
	v_cmp_lt_u32_e32 vcc, s16, v4
	v_cndmask_b32_e32 v3, v3, v5, vcc
; %bb.1527:
	s_or_b64 exec, exec, s[14:15]
	v_lshrrev_b32_e32 v2, 24, v2
	s_movk_i32 s14, 0x80
	v_and_or_b32 v2, v2, s14, v3
	global_store_byte v[6:7], v2, off
.LBB7_1528:
	s_mov_b64 s[14:15], 0
.LBB7_1529:
	s_andn2_b64 vcc, exec, s[14:15]
	s_mov_b64 s[14:15], 0
	s_cbranch_vccnz .LBB7_1540
; %bb.1530:
	v_cmp_lt_i16_e32 vcc, 14, v11
	s_mov_b64 s[16:17], -1
	s_cbranch_vccz .LBB7_1534
; %bb.1531:
	v_cmp_eq_u16_e32 vcc, 15, v11
	s_mov_b64 s[0:1], -1
	s_cbranch_vccz .LBB7_1533
; %bb.1532:
	v_cvt_f32_f64_e32 v2, v[0:1]
	v_bfe_u32 v3, v2, 16, 1
	s_movk_i32 s0, 0x7fff
	v_add3_u32 v3, v2, v3, s0
	v_lshrrev_b32_e32 v3, 16, v3
	v_mov_b32_e32 v4, 0x7fc0
	v_cmp_o_f32_e32 vcc, v2, v2
	v_cndmask_b32_e32 v2, v4, v3, vcc
	global_store_short v[6:7], v2, off
	s_mov_b64 s[0:1], 0
.LBB7_1533:
	s_mov_b64 s[16:17], 0
.LBB7_1534:
	s_and_b64 vcc, exec, s[16:17]
	s_cbranch_vccz .LBB7_1540
; %bb.1535:
	v_cmp_ne_u16_e32 vcc, 11, v11
	s_andn2_b64 s[0:1], s[0:1], exec
	s_and_b64 s[16:17], vcc, exec
	s_mov_b64 s[14:15], -1
	s_or_b64 s[0:1], s[0:1], s[16:17]
	s_branch .LBB7_1540
.LBB7_1536:
	s_or_b64 exec, exec, s[12:13]
	s_and_saveexec_b64 s[0:1], s[36:37]
	s_cbranch_execnz .LBB7_1541
.LBB7_1537:
	s_or_b64 exec, exec, s[0:1]
	s_and_saveexec_b64 s[0:1], s[14:15]
	s_xor_b64 s[0:1], exec, s[0:1]
	s_cbranch_execz .LBB7_1542
.LBB7_1538:
	s_waitcnt vmcnt(0)
	v_cmp_neq_f64_e32 vcc, 0, v[0:1]
	v_cndmask_b32_e64 v2, 0, 1, vcc
	global_store_byte v[6:7], v2, off
	s_or_b64 exec, exec, s[0:1]
	s_and_saveexec_b64 s[0:1], s[18:19]
	s_xor_b64 s[0:1], exec, s[0:1]
	s_cbranch_execz .LBB7_1580
	s_branch .LBB7_1543
.LBB7_1539:
	s_mov_b64 s[14:15], 0
.LBB7_1540:
	s_and_b64 s[18:19], s[8:9], exec
	s_andn2_b64 s[8:9], s[36:37], exec
	s_and_b64 s[0:1], s[0:1], exec
	s_and_b64 s[14:15], s[14:15], exec
	s_or_b64 s[36:37], s[8:9], s[0:1]
	s_or_b64 exec, exec, s[12:13]
	s_and_saveexec_b64 s[0:1], s[36:37]
	s_cbranch_execz .LBB7_1537
.LBB7_1541:
	s_or_b64 s[10:11], s[10:11], exec
	s_andn2_b64 s[14:15], s[14:15], exec
	s_trap 2
	s_or_b64 exec, exec, s[0:1]
	s_and_saveexec_b64 s[0:1], s[14:15]
	s_xor_b64 s[0:1], exec, s[0:1]
	s_cbranch_execnz .LBB7_1538
.LBB7_1542:
	s_or_b64 exec, exec, s[0:1]
	s_and_saveexec_b64 s[0:1], s[18:19]
	s_xor_b64 s[0:1], exec, s[0:1]
	s_cbranch_execz .LBB7_1580
.LBB7_1543:
	s_waitcnt vmcnt(0)
	v_cmp_gt_i16_e32 vcc, 5, v11
	s_mov_b64 s[8:9], -1
	s_cbranch_vccnz .LBB7_1564
; %bb.1544:
	v_cmp_gt_i16_e32 vcc, 8, v11
	s_cbranch_vccnz .LBB7_1554
; %bb.1545:
	v_cmp_gt_i16_e32 vcc, 9, v11
	s_cbranch_vccnz .LBB7_1551
; %bb.1546:
	v_cmp_lt_i16_e32 vcc, 9, v11
	s_cbranch_vccz .LBB7_1548
; %bb.1547:
	v_mov_b32_e32 v2, 0
	v_mov_b32_e32 v3, v2
	s_mov_b64 s[8:9], 0
	global_store_dwordx4 v[6:7], v[0:3], off
.LBB7_1548:
	s_andn2_b64 vcc, exec, s[8:9]
	s_cbranch_vccnz .LBB7_1550
; %bb.1549:
	v_cvt_f32_f64_e32 v2, v[0:1]
	v_mov_b32_e32 v3, 0
	global_store_dwordx2 v[6:7], v[2:3], off
.LBB7_1550:
	s_mov_b64 s[8:9], 0
.LBB7_1551:
	s_andn2_b64 vcc, exec, s[8:9]
	s_cbranch_vccnz .LBB7_1553
; %bb.1552:
	v_cvt_f32_f64_e32 v2, v[0:1]
	v_cvt_f16_f32_e32 v2, v2
	global_store_dword v[6:7], v2, off
.LBB7_1553:
	s_mov_b64 s[8:9], 0
.LBB7_1554:
	s_andn2_b64 vcc, exec, s[8:9]
	s_cbranch_vccnz .LBB7_1563
; %bb.1555:
	v_cmp_gt_i16_e32 vcc, 6, v11
	s_mov_b64 s[8:9], -1
	s_cbranch_vccnz .LBB7_1561
; %bb.1556:
	v_cmp_lt_i16_e32 vcc, 6, v11
	s_cbranch_vccz .LBB7_1558
; %bb.1557:
	s_mov_b64 s[8:9], 0
	global_store_dwordx2 v[6:7], v[0:1], off
.LBB7_1558:
	s_andn2_b64 vcc, exec, s[8:9]
	s_cbranch_vccnz .LBB7_1560
; %bb.1559:
	v_cvt_f32_f64_e32 v2, v[0:1]
	global_store_dword v[6:7], v2, off
.LBB7_1560:
	s_mov_b64 s[8:9], 0
.LBB7_1561:
	s_andn2_b64 vcc, exec, s[8:9]
	s_cbranch_vccnz .LBB7_1563
; %bb.1562:
	v_cvt_f32_f64_e32 v2, v[0:1]
	v_cvt_f16_f32_e32 v2, v2
	global_store_short v[6:7], v2, off
.LBB7_1563:
	s_mov_b64 s[8:9], 0
.LBB7_1564:
	s_andn2_b64 vcc, exec, s[8:9]
	s_cbranch_vccnz .LBB7_1580
; %bb.1565:
	v_cmp_gt_i16_e32 vcc, 2, v11
	s_mov_b64 s[8:9], -1
	s_cbranch_vccnz .LBB7_1575
; %bb.1566:
	v_cmp_gt_i16_e32 vcc, 3, v11
	s_cbranch_vccnz .LBB7_1572
; %bb.1567:
	v_cmp_lt_i16_e32 vcc, 3, v11
	s_cbranch_vccz .LBB7_1569
; %bb.1568:
	v_trunc_f64_e32 v[2:3], v[0:1]
	s_movk_i32 s8, 0xffe0
	v_ldexp_f64 v[4:5], v[2:3], s8
	v_floor_f64_e32 v[4:5], v[4:5]
	v_fmac_f64_e32 v[2:3], 0xc1f00000, v[4:5]
	v_cvt_i32_f64_e32 v9, v[4:5]
	v_cvt_u32_f64_e32 v8, v[2:3]
	s_mov_b64 s[8:9], 0
	global_store_dwordx2 v[6:7], v[8:9], off
.LBB7_1569:
	s_andn2_b64 vcc, exec, s[8:9]
	s_cbranch_vccnz .LBB7_1571
; %bb.1570:
	v_cvt_i32_f64_e32 v2, v[0:1]
	global_store_dword v[6:7], v2, off
.LBB7_1571:
	s_mov_b64 s[8:9], 0
.LBB7_1572:
	s_andn2_b64 vcc, exec, s[8:9]
	s_cbranch_vccnz .LBB7_1574
; %bb.1573:
	v_cvt_i32_f64_e32 v2, v[0:1]
	global_store_short v[6:7], v2, off
.LBB7_1574:
	s_mov_b64 s[8:9], 0
.LBB7_1575:
	s_andn2_b64 vcc, exec, s[8:9]
	s_cbranch_vccnz .LBB7_1580
; %bb.1576:
	v_cmp_lt_i16_e32 vcc, 0, v11
	s_mov_b64 s[8:9], -1
	s_cbranch_vccz .LBB7_1578
; %bb.1577:
	v_cvt_i32_f64_e32 v2, v[0:1]
	s_mov_b64 s[8:9], 0
	global_store_byte v[6:7], v2, off
.LBB7_1578:
	s_andn2_b64 vcc, exec, s[8:9]
	s_cbranch_vccnz .LBB7_1580
; %bb.1579:
	v_trunc_f64_e32 v[0:1], v[0:1]
	s_movk_i32 s8, 0xffe0
	v_ldexp_f64 v[2:3], v[0:1], s8
	v_floor_f64_e32 v[2:3], v[2:3]
	v_fmac_f64_e32 v[0:1], 0xc1f00000, v[2:3]
	v_cvt_u32_f64_e32 v0, v[0:1]
	global_store_byte v[6:7], v0, off
.LBB7_1580:
	s_or_b64 exec, exec, s[0:1]
	s_and_b64 s[12:13], s[10:11], exec
                                        ; implicit-def: $vgpr24
                                        ; implicit-def: $vgpr16
.LBB7_1581:
	s_or_saveexec_b64 s[14:15], s[22:23]
	s_mov_b64 s[0:1], 0
                                        ; implicit-def: $vgpr4_vgpr5
                                        ; implicit-def: $vgpr6
                                        ; implicit-def: $vgpr0_vgpr1
	s_xor_b64 exec, exec, s[14:15]
	s_cbranch_execz .LBB7_2952
; %bb.1582:
	s_waitcnt vmcnt(0)
	v_cndmask_b32_e64 v0, 0, 1, s[20:21]
	v_cmp_ne_u32_e64 s[0:1], 1, v0
	s_andn2_b64 vcc, exec, s[20:21]
	s_cbranch_vccnz .LBB7_1588
; %bb.1583:
	s_cmp_lg_u32 s33, 0
	v_mov_b32_e32 v12, 0
	v_mov_b32_e32 v0, 0
	;; [unrolled: 1-line block ×3, first 2 shown]
	s_cbranch_scc0 .LBB7_1589
; %bb.1584:
	s_min_u32 s8, s68, 15
	s_add_i32 s6, s8, 1
	s_and_b32 s9, s6, 30
	s_add_u32 s6, s2, 0xffffffec
	s_addc_u32 s7, s3, -1
	v_mov_b32_e32 v2, 0
	v_mov_b32_e32 v1, v16
	;; [unrolled: 1-line block ×4, first 2 shown]
.LBB7_1585:                             ; =>This Inner Loop Header: Depth=1
	s_mov_b64 s[10:11], s[6:7]
	s_load_dwordx4 s[16:19], s[10:11], 0x18
	s_load_dwordx2 s[24:25], s[10:11], 0x28
	s_load_dwordx2 s[26:27], s[10:11], 0xe8
	s_load_dwordx4 s[20:23], s[10:11], 0xd8
	s_add_u32 s6, s10, 24
	s_waitcnt lgkmcnt(0)
	v_mul_hi_u32 v3, s17, v1
	v_add_u32_e32 v3, v1, v3
	v_lshrrev_b32_e32 v3, s18, v3
	v_mul_lo_u32 v4, v3, s16
	v_mul_hi_u32 v5, s24, v3
	v_sub_u32_e32 v1, v1, v4
	v_add_u32_e32 v4, v3, v5
	v_mul_lo_u32 v5, v1, s20
	v_mul_lo_u32 v6, v1, s21
	v_mul_lo_u32 v7, v1, s22
	v_lshrrev_b32_e32 v1, s25, v4
	v_mul_lo_u32 v4, v1, s19
	v_sub_u32_e32 v3, v3, v4
	s_addc_u32 s7, s11, 0
	s_add_i32 s9, s9, -2
	v_mul_lo_u32 v4, v3, s23
	v_mul_lo_u32 v8, v3, s26
	;; [unrolled: 1-line block ×3, first 2 shown]
	s_cmp_lg_u32 s9, 0
	v_add3_u32 v2, v5, v2, v4
	v_add3_u32 v12, v7, v12, v3
	;; [unrolled: 1-line block ×3, first 2 shown]
	s_cbranch_scc1 .LBB7_1585
; %bb.1586:
	s_bitcmp1_b32 s8, 0
	s_cselect_b64 s[8:9], -1, 0
	s_and_b64 vcc, exec, s[8:9]
	s_cbranch_vccnz .LBB7_1589
; %bb.1587:
	s_load_dwordx2 s[8:9], s[6:7], 0x18
	s_load_dword s16, s[6:7], 0x20
	s_load_dword s17, s[6:7], 0xe0
	s_load_dwordx2 s[10:11], s[6:7], 0xd8
	s_waitcnt lgkmcnt(0)
	v_mul_hi_u32 v3, s9, v1
	v_add_u32_e32 v3, v1, v3
	v_lshrrev_b32_e32 v3, s16, v3
	v_mul_lo_u32 v3, v3, s8
	v_sub_u32_e32 v4, v1, v3
	v_mad_u64_u32 v[2:3], s[6:7], v4, s10, v[2:3]
	v_mad_u64_u32 v[0:1], s[6:7], v4, s11, v[0:1]
	;; [unrolled: 1-line block ×3, first 2 shown]
	s_cbranch_execz .LBB7_1590
	s_branch .LBB7_1592
.LBB7_1588:
                                        ; implicit-def: $vgpr12
                                        ; implicit-def: $vgpr0
                                        ; implicit-def: $vgpr2
	s_branch .LBB7_1590
.LBB7_1589:
	s_cbranch_execnz .LBB7_1592
.LBB7_1590:
	s_load_dwordx4 s[8:11], s[2:3], 0x4
	s_load_dwordx4 s[16:19], s[2:3], 0xc4
	s_cmp_lt_u32 s33, 2
	s_waitcnt lgkmcnt(0)
	v_mul_hi_u32 v0, s9, v16
	v_add_u32_e32 v0, v16, v0
	v_lshrrev_b32_e32 v1, s10, v0
	v_mul_lo_u32 v0, v1, s8
	v_sub_u32_e32 v0, v16, v0
	v_mul_lo_u32 v2, v0, s16
	v_mul_lo_u32 v12, v0, s18
	;; [unrolled: 1-line block ×3, first 2 shown]
	s_cbranch_scc1 .LBB7_1592
; %bb.1591:
	s_load_dwordx4 s[8:11], s[2:3], 0x10
	s_load_dwordx4 s[16:19], s[2:3], 0xd0
	s_waitcnt lgkmcnt(0)
	v_mul_hi_u32 v3, s9, v1
	v_add_u32_e32 v3, v1, v3
	v_lshrrev_b32_e32 v3, s10, v3
	v_mul_lo_u32 v3, v3, s8
	v_sub_u32_e32 v4, v1, v3
	v_mad_u64_u32 v[2:3], s[6:7], v4, s16, v[2:3]
	v_mad_u64_u32 v[0:1], s[6:7], v4, s17, v[0:1]
	;; [unrolled: 1-line block ×3, first 2 shown]
.LBB7_1592:
	s_and_b64 vcc, exec, s[0:1]
	v_add_u32_e32 v1, 0x80, v16
	s_cbranch_vccnz .LBB7_1598
; %bb.1593:
	s_cmp_lg_u32 s33, 0
	v_mov_b32_e32 v18, 0
	v_mov_b32_e32 v14, 0
	;; [unrolled: 1-line block ×3, first 2 shown]
	s_cbranch_scc0 .LBB7_1599
; %bb.1594:
	s_min_u32 s8, s68, 15
	s_add_i32 s6, s8, 1
	s_and_b32 s9, s6, 30
	s_add_u32 s6, s2, 0xffffffec
	s_addc_u32 s7, s3, -1
	v_mov_b32_e32 v8, 0
	v_mov_b32_e32 v3, v1
	;; [unrolled: 1-line block ×4, first 2 shown]
.LBB7_1595:                             ; =>This Inner Loop Header: Depth=1
	s_mov_b64 s[10:11], s[6:7]
	s_load_dwordx4 s[16:19], s[10:11], 0x18
	s_load_dwordx2 s[24:25], s[10:11], 0x28
	s_load_dwordx2 s[26:27], s[10:11], 0xe8
	s_load_dwordx4 s[20:23], s[10:11], 0xd8
	s_add_u32 s6, s10, 24
	s_waitcnt lgkmcnt(0)
	v_mul_hi_u32 v4, s17, v3
	v_add_u32_e32 v4, v3, v4
	v_lshrrev_b32_e32 v4, s18, v4
	v_mul_lo_u32 v5, v4, s16
	v_mul_hi_u32 v6, s24, v4
	v_sub_u32_e32 v3, v3, v5
	v_add_u32_e32 v5, v4, v6
	v_mul_lo_u32 v6, v3, s20
	v_mul_lo_u32 v7, v3, s21
	;; [unrolled: 1-line block ×3, first 2 shown]
	v_lshrrev_b32_e32 v3, s25, v5
	v_mul_lo_u32 v5, v3, s19
	v_sub_u32_e32 v4, v4, v5
	s_addc_u32 s7, s11, 0
	s_add_i32 s9, s9, -2
	v_mul_lo_u32 v5, v4, s23
	v_mul_lo_u32 v10, v4, s26
	;; [unrolled: 1-line block ×3, first 2 shown]
	s_cmp_lg_u32 s9, 0
	v_add3_u32 v8, v6, v8, v5
	v_add3_u32 v18, v9, v18, v4
	;; [unrolled: 1-line block ×3, first 2 shown]
	s_cbranch_scc1 .LBB7_1595
; %bb.1596:
	s_bitcmp1_b32 s8, 0
	s_cselect_b64 s[8:9], -1, 0
	s_and_b64 vcc, exec, s[8:9]
	s_cbranch_vccnz .LBB7_1599
; %bb.1597:
	s_load_dwordx2 s[8:9], s[6:7], 0x18
	s_load_dword s16, s[6:7], 0x20
	s_load_dword s17, s[6:7], 0xe0
	s_load_dwordx2 s[10:11], s[6:7], 0xd8
	s_waitcnt lgkmcnt(0)
	v_mul_hi_u32 v4, s9, v3
	v_add_u32_e32 v4, v3, v4
	v_lshrrev_b32_e32 v4, s16, v4
	v_mul_lo_u32 v4, v4, s8
	v_sub_u32_e32 v3, v3, v4
	v_mad_u64_u32 v[8:9], s[6:7], v3, s10, v[8:9]
	v_mad_u64_u32 v[14:15], s[6:7], v3, s11, v[14:15]
	;; [unrolled: 1-line block ×3, first 2 shown]
	s_cbranch_execz .LBB7_1600
	s_branch .LBB7_1602
.LBB7_1598:
                                        ; implicit-def: $vgpr18
                                        ; implicit-def: $vgpr14
                                        ; implicit-def: $vgpr8
	s_branch .LBB7_1600
.LBB7_1599:
	s_cbranch_execnz .LBB7_1602
.LBB7_1600:
	s_load_dwordx4 s[8:11], s[2:3], 0x4
	s_load_dwordx4 s[16:19], s[2:3], 0xc4
	s_cmp_lt_u32 s33, 2
	s_waitcnt lgkmcnt(0)
	v_mul_hi_u32 v3, s9, v1
	v_add_u32_e32 v3, v1, v3
	v_lshrrev_b32_e32 v3, s10, v3
	v_mul_lo_u32 v4, v3, s8
	v_sub_u32_e32 v1, v1, v4
	v_mul_lo_u32 v8, v1, s16
	v_mul_lo_u32 v18, v1, s18
	;; [unrolled: 1-line block ×3, first 2 shown]
	s_cbranch_scc1 .LBB7_1602
; %bb.1601:
	s_load_dwordx4 s[8:11], s[2:3], 0x10
	s_load_dwordx4 s[16:19], s[2:3], 0xd0
	s_waitcnt lgkmcnt(0)
	v_mul_hi_u32 v1, s9, v3
	v_add_u32_e32 v1, v3, v1
	v_lshrrev_b32_e32 v1, s10, v1
	v_mul_lo_u32 v1, v1, s8
	v_sub_u32_e32 v1, v3, v1
	v_mad_u64_u32 v[8:9], s[6:7], v1, s16, v[8:9]
	v_mad_u64_u32 v[14:15], s[6:7], v1, s17, v[14:15]
	;; [unrolled: 1-line block ×3, first 2 shown]
.LBB7_1602:
	s_and_b64 vcc, exec, s[0:1]
	v_add_u32_e32 v1, 0x100, v16
	s_cbranch_vccnz .LBB7_1608
; %bb.1603:
	s_cmp_lg_u32 s33, 0
	v_mov_b32_e32 v22, 0
	v_mov_b32_e32 v20, 0
	;; [unrolled: 1-line block ×3, first 2 shown]
	s_cbranch_scc0 .LBB7_1609
; %bb.1604:
	s_min_u32 s8, s68, 15
	s_add_i32 s6, s8, 1
	s_and_b32 s9, s6, 30
	s_add_u32 s6, s2, 0xffffffec
	s_addc_u32 s7, s3, -1
	v_mov_b32_e32 v6, 0
	v_mov_b32_e32 v3, v1
	;; [unrolled: 1-line block ×4, first 2 shown]
.LBB7_1605:                             ; =>This Inner Loop Header: Depth=1
	s_mov_b64 s[10:11], s[6:7]
	s_load_dwordx4 s[16:19], s[10:11], 0x18
	s_load_dwordx2 s[24:25], s[10:11], 0x28
	s_load_dwordx2 s[26:27], s[10:11], 0xe8
	s_load_dwordx4 s[20:23], s[10:11], 0xd8
	s_add_u32 s6, s10, 24
	s_waitcnt lgkmcnt(0)
	v_mul_hi_u32 v4, s17, v3
	v_add_u32_e32 v4, v3, v4
	v_lshrrev_b32_e32 v4, s18, v4
	v_mul_lo_u32 v5, v4, s16
	v_mul_hi_u32 v7, s24, v4
	v_sub_u32_e32 v3, v3, v5
	v_add_u32_e32 v5, v4, v7
	v_mul_lo_u32 v7, v3, s20
	v_mul_lo_u32 v9, v3, s21
	;; [unrolled: 1-line block ×3, first 2 shown]
	v_lshrrev_b32_e32 v3, s25, v5
	v_mul_lo_u32 v5, v3, s19
	v_sub_u32_e32 v4, v4, v5
	s_addc_u32 s7, s11, 0
	s_add_i32 s9, s9, -2
	v_mul_lo_u32 v5, v4, s23
	v_mul_lo_u32 v11, v4, s26
	;; [unrolled: 1-line block ×3, first 2 shown]
	s_cmp_lg_u32 s9, 0
	v_add3_u32 v6, v7, v6, v5
	v_add3_u32 v22, v10, v22, v4
	;; [unrolled: 1-line block ×3, first 2 shown]
	s_cbranch_scc1 .LBB7_1605
; %bb.1606:
	s_bitcmp1_b32 s8, 0
	s_cselect_b64 s[8:9], -1, 0
	s_and_b64 vcc, exec, s[8:9]
	s_cbranch_vccnz .LBB7_1609
; %bb.1607:
	s_load_dwordx2 s[8:9], s[6:7], 0x18
	s_load_dword s16, s[6:7], 0x20
	s_load_dword s17, s[6:7], 0xe0
	s_load_dwordx2 s[10:11], s[6:7], 0xd8
	s_waitcnt lgkmcnt(0)
	v_mul_hi_u32 v4, s9, v3
	v_add_u32_e32 v4, v3, v4
	v_lshrrev_b32_e32 v4, s16, v4
	v_mul_lo_u32 v4, v4, s8
	v_sub_u32_e32 v3, v3, v4
	v_mad_u64_u32 v[6:7], s[6:7], v3, s10, v[6:7]
	v_mad_u64_u32 v[20:21], s[6:7], v3, s11, v[20:21]
	;; [unrolled: 1-line block ×3, first 2 shown]
	s_cbranch_execz .LBB7_1610
	s_branch .LBB7_1612
.LBB7_1608:
                                        ; implicit-def: $vgpr22
                                        ; implicit-def: $vgpr20
                                        ; implicit-def: $vgpr6
	s_branch .LBB7_1610
.LBB7_1609:
	s_cbranch_execnz .LBB7_1612
.LBB7_1610:
	s_load_dwordx4 s[8:11], s[2:3], 0x4
	s_load_dwordx4 s[16:19], s[2:3], 0xc4
	s_cmp_lt_u32 s33, 2
	s_waitcnt lgkmcnt(0)
	v_mul_hi_u32 v3, s9, v1
	v_add_u32_e32 v3, v1, v3
	v_lshrrev_b32_e32 v3, s10, v3
	v_mul_lo_u32 v4, v3, s8
	v_sub_u32_e32 v1, v1, v4
	v_mul_lo_u32 v6, v1, s16
	v_mul_lo_u32 v22, v1, s18
	;; [unrolled: 1-line block ×3, first 2 shown]
	s_cbranch_scc1 .LBB7_1612
; %bb.1611:
	s_load_dwordx4 s[8:11], s[2:3], 0x10
	s_load_dwordx4 s[16:19], s[2:3], 0xd0
	s_waitcnt lgkmcnt(0)
	v_mul_hi_u32 v1, s9, v3
	v_add_u32_e32 v1, v3, v1
	v_lshrrev_b32_e32 v1, s10, v1
	v_mul_lo_u32 v1, v1, s8
	v_sub_u32_e32 v1, v3, v1
	v_mad_u64_u32 v[6:7], s[6:7], v1, s16, v[6:7]
	v_mad_u64_u32 v[20:21], s[6:7], v1, s17, v[20:21]
	;; [unrolled: 1-line block ×3, first 2 shown]
.LBB7_1612:
	s_and_b64 vcc, exec, s[0:1]
	s_cbranch_vccnz .LBB7_1618
; %bb.1613:
	s_cmp_lg_u32 s33, 0
	v_mov_b32_e32 v10, 0
	v_mov_b32_e32 v16, 0
	;; [unrolled: 1-line block ×3, first 2 shown]
	s_cbranch_scc0 .LBB7_1619
; %bb.1614:
	s_min_u32 s6, s68, 15
	s_add_i32 s0, s6, 1
	s_and_b32 s7, s0, 30
	s_add_u32 s0, s2, 0xffffffec
	s_addc_u32 s1, s3, -1
	v_mov_b32_e32 v4, 0
	v_mov_b32_e32 v1, v24
	v_mov_b32_e32 v16, 0
	v_mov_b32_e32 v10, 0
.LBB7_1615:                             ; =>This Inner Loop Header: Depth=1
	s_mov_b64 s[20:21], s[0:1]
	s_load_dwordx4 s[8:11], s[20:21], 0x18
	s_load_dwordx2 s[22:23], s[20:21], 0x28
	s_load_dwordx2 s[24:25], s[20:21], 0xe8
	s_load_dwordx4 s[16:19], s[20:21], 0xd8
	s_add_u32 s0, s20, 24
	s_waitcnt lgkmcnt(0)
	v_mul_hi_u32 v3, s9, v1
	v_add_u32_e32 v3, v1, v3
	v_lshrrev_b32_e32 v3, s10, v3
	v_mul_lo_u32 v5, v3, s8
	v_mul_hi_u32 v7, s22, v3
	v_sub_u32_e32 v1, v1, v5
	v_add_u32_e32 v5, v3, v7
	v_mul_lo_u32 v7, v1, s16
	v_mul_lo_u32 v9, v1, s17
	;; [unrolled: 1-line block ×3, first 2 shown]
	v_lshrrev_b32_e32 v1, s23, v5
	v_mul_lo_u32 v5, v1, s11
	v_sub_u32_e32 v3, v3, v5
	s_addc_u32 s1, s21, 0
	s_add_i32 s7, s7, -2
	v_mul_lo_u32 v5, v3, s19
	v_mul_lo_u32 v13, v3, s24
	;; [unrolled: 1-line block ×3, first 2 shown]
	s_cmp_lg_u32 s7, 0
	v_add3_u32 v4, v7, v4, v5
	v_add3_u32 v10, v11, v10, v3
	v_add3_u32 v16, v9, v16, v13
	s_cbranch_scc1 .LBB7_1615
; %bb.1616:
	s_bitcmp1_b32 s6, 0
	s_cselect_b64 s[6:7], -1, 0
	s_and_b64 vcc, exec, s[6:7]
	s_cbranch_vccnz .LBB7_1619
; %bb.1617:
	s_load_dwordx2 s[6:7], s[0:1], 0x18
	s_load_dword s10, s[0:1], 0x20
	s_load_dword s11, s[0:1], 0xe0
	s_load_dwordx2 s[8:9], s[0:1], 0xd8
	s_waitcnt lgkmcnt(0)
	v_mul_hi_u32 v3, s7, v1
	v_add_u32_e32 v3, v1, v3
	v_lshrrev_b32_e32 v3, s10, v3
	v_mul_lo_u32 v3, v3, s6
	v_sub_u32_e32 v1, v1, v3
	v_mad_u64_u32 v[4:5], s[0:1], v1, s8, v[4:5]
	v_mad_u64_u32 v[16:17], s[0:1], v1, s9, v[16:17]
	;; [unrolled: 1-line block ×3, first 2 shown]
	s_cbranch_execz .LBB7_1620
	s_branch .LBB7_1622
.LBB7_1618:
                                        ; implicit-def: $vgpr10
                                        ; implicit-def: $vgpr16
                                        ; implicit-def: $vgpr4
	s_branch .LBB7_1620
.LBB7_1619:
	s_cbranch_execnz .LBB7_1622
.LBB7_1620:
	s_load_dwordx4 s[8:11], s[2:3], 0x4
	s_load_dwordx4 s[16:19], s[2:3], 0xc4
	s_cmp_lt_u32 s33, 2
	s_waitcnt lgkmcnt(0)
	v_mul_hi_u32 v1, s9, v24
	v_add_u32_e32 v1, v24, v1
	v_lshrrev_b32_e32 v1, s10, v1
	v_mul_lo_u32 v3, v1, s8
	v_sub_u32_e32 v3, v24, v3
	v_mul_lo_u32 v4, v3, s16
	v_mul_lo_u32 v10, v3, s18
	;; [unrolled: 1-line block ×3, first 2 shown]
	s_cbranch_scc1 .LBB7_1622
; %bb.1621:
	s_load_dwordx4 s[8:11], s[2:3], 0x10
	s_load_dwordx4 s[16:19], s[2:3], 0xd0
	s_waitcnt lgkmcnt(0)
	v_mul_hi_u32 v3, s9, v1
	v_add_u32_e32 v3, v1, v3
	v_lshrrev_b32_e32 v3, s10, v3
	v_mul_lo_u32 v3, v3, s8
	v_sub_u32_e32 v1, v1, v3
	v_mad_u64_u32 v[4:5], s[0:1], v1, s16, v[4:5]
	v_mad_u64_u32 v[16:17], s[0:1], v1, s17, v[16:17]
	;; [unrolled: 1-line block ×3, first 2 shown]
.LBB7_1622:
	s_load_dword s26, s[4:5], 0x1a8
	s_load_dwordx4 s[8:11], s[2:3], 0x188
	s_waitcnt lgkmcnt(0)
	s_lshr_b32 s27, s26, 16
	v_mov_b32_e32 v1, s11
	v_add_co_u32_e32 v24, vcc, s10, v0
	v_mov_b32_e32 v0, 11
	v_addc_co_u32_e32 v25, vcc, 0, v1, vcc
	v_cmp_lt_i16_sdwa s[0:1], s27, v0 src0_sel:BYTE_0 src1_sel:DWORD
	s_and_b64 vcc, exec, s[0:1]
	s_cbranch_vccnz .LBB7_1629
; %bb.1623:
	v_mov_b32_e32 v0, 25
	v_cmp_gt_i16_sdwa s[0:1], s27, v0 src0_sel:BYTE_0 src1_sel:DWORD
	s_mov_b64 s[6:7], 0
	s_and_b64 vcc, exec, s[0:1]
	s_cbranch_vccz .LBB7_1631
; %bb.1624:
	v_mov_b32_e32 v0, 28
	v_cmp_gt_i16_sdwa s[0:1], s27, v0 src0_sel:BYTE_0 src1_sel:DWORD
	s_and_b64 vcc, exec, s[0:1]
	s_cbranch_vccz .LBB7_1632
; %bb.1625:
	v_mov_b32_e32 v0, 43
	v_cmp_gt_i16_sdwa s[0:1], s27, v0 src0_sel:BYTE_0 src1_sel:DWORD
	;; [unrolled: 5-line block ×3, first 2 shown]
	s_and_b64 vcc, exec, s[0:1]
	s_cbranch_vccz .LBB7_1634
; %bb.1627:
	v_mov_b32_e32 v0, 46
	v_cmp_eq_u16_sdwa s[0:1], s27, v0 src0_sel:BYTE_0 src1_sel:DWORD
	s_mov_b64 s[4:5], 0
	s_and_b64 vcc, exec, s[0:1]
	s_cbranch_vccz .LBB7_1637
; %bb.1628:
	global_load_dword v0, v[24:25], off
	s_mov_b64 s[0:1], 0
	s_mov_b64 s[16:17], -1
	s_waitcnt vmcnt(0)
	v_lshlrev_b32_e32 v0, 16, v0
	v_cvt_f64_f32_e32 v[0:1], v0
	s_branch .LBB7_1638
.LBB7_1629:
	s_mov_b64 s[16:17], 0
                                        ; implicit-def: $vgpr0_vgpr1
	s_mov_b64 s[4:5], s[12:13]
	s_cbranch_execnz .LBB7_1701
.LBB7_1630:
	s_andn2_b64 vcc, exec, s[16:17]
	s_cbranch_vccz .LBB7_1746
	s_branch .LBB7_2950
.LBB7_1631:
	s_mov_b64 s[16:17], 0
	s_mov_b64 s[0:1], 0
                                        ; implicit-def: $vgpr0_vgpr1
	s_cbranch_execnz .LBB7_1666
	s_branch .LBB7_1697
.LBB7_1632:
	s_mov_b64 s[4:5], -1
	s_mov_b64 s[16:17], 0
	s_mov_b64 s[0:1], 0
                                        ; implicit-def: $vgpr0_vgpr1
	s_branch .LBB7_1647
.LBB7_1633:
	s_mov_b64 s[16:17], 0
	s_mov_b64 s[0:1], 0
                                        ; implicit-def: $vgpr0_vgpr1
	s_cbranch_execnz .LBB7_1643
	s_branch .LBB7_1646
.LBB7_1634:
	s_mov_b64 s[4:5], -1
	s_mov_b64 s[16:17], 0
	s_mov_b64 s[0:1], 0
                                        ; implicit-def: $vgpr0_vgpr1
	s_branch .LBB7_1638
.LBB7_1635:
	s_or_saveexec_b64 s[16:17], s[16:17]
                                        ; implicit-def: $sgpr18
	s_xor_b64 exec, exec, s[16:17]
	s_cbranch_execz .LBB7_1491
.LBB7_1636:
	s_mov_b32 s18, 0x46000000
	v_add_f32_e64 v3, |v2|, s18
	v_and_b32_e32 v3, 0xff, v3
	v_cmp_ne_u32_e32 vcc, 0, v3
	s_andn2_b64 s[14:15], s[14:15], exec
	s_and_b64 s[24:25], vcc, exec
	s_mov_b32 s18, 0
	s_or_b64 s[14:15], s[14:15], s[24:25]
	s_or_b64 exec, exec, s[16:17]
	v_mov_b32_e32 v4, s18
	s_and_saveexec_b64 s[16:17], s[14:15]
	s_cbranch_execnz .LBB7_1492
	s_branch .LBB7_1493
.LBB7_1637:
	s_mov_b64 s[0:1], -1
                                        ; implicit-def: $vgpr0_vgpr1
	s_mov_b64 s[16:17], 0
.LBB7_1638:
	s_and_b64 vcc, exec, s[4:5]
	s_cbranch_vccz .LBB7_1641
; %bb.1639:
	v_mov_b32_e32 v0, 44
	v_cmp_eq_u16_sdwa s[0:1], s27, v0 src0_sel:BYTE_0 src1_sel:DWORD
	s_and_b64 vcc, exec, s[0:1]
	s_cbranch_vccz .LBB7_1642
; %bb.1640:
	global_load_ubyte v3, v[24:25], off
	s_movk_i32 s4, 0xff
	v_bfrev_b32_e32 v5, 4
	v_mov_b32_e32 v7, 0x7ff80000
	v_bfrev_b32_e32 v9, 28
	s_mov_b64 s[0:1], 0
	s_mov_b64 s[16:17], -1
	s_waitcnt vmcnt(0)
	v_lshlrev_b32_e32 v0, 23, v3
	v_cvt_f64_f32_e32 v[0:1], v0
	v_cmp_ne_u32_e32 vcc, s4, v3
	v_cndmask_b32_e32 v0, v5, v0, vcc
	v_cndmask_b32_e32 v1, v7, v1, vcc
	v_cmp_ne_u32_e32 vcc, 0, v3
	v_cndmask_b32_e32 v1, v9, v1, vcc
	v_cndmask_b32_e32 v0, 0, v0, vcc
.LBB7_1641:
	s_branch .LBB7_1646
.LBB7_1642:
	s_mov_b64 s[0:1], -1
                                        ; implicit-def: $vgpr0_vgpr1
	s_branch .LBB7_1646
.LBB7_1643:
	v_mov_b32_e32 v0, 29
	v_cmp_eq_u16_sdwa s[0:1], s27, v0 src0_sel:BYTE_0 src1_sel:DWORD
	s_and_b64 vcc, exec, s[0:1]
	s_cbranch_vccz .LBB7_1645
; %bb.1644:
	global_load_dwordx2 v[0:1], v[24:25], off
	s_mov_b64 s[0:1], 0
	s_mov_b64 s[16:17], -1
	s_mov_b64 s[4:5], 0
	s_waitcnt vmcnt(0)
	v_cvt_f64_u32_e32 v[26:27], v1
	v_cvt_f64_u32_e32 v[0:1], v0
	v_ldexp_f64 v[26:27], v[26:27], 32
	v_add_f64 v[0:1], v[26:27], v[0:1]
	s_branch .LBB7_1647
.LBB7_1645:
	s_mov_b64 s[0:1], -1
                                        ; implicit-def: $vgpr0_vgpr1
.LBB7_1646:
	s_mov_b64 s[4:5], 0
.LBB7_1647:
	s_and_b64 vcc, exec, s[4:5]
	s_cbranch_vccz .LBB7_1665
; %bb.1648:
	v_mov_b32_e32 v0, 27
	v_cmp_lt_i16_sdwa s[4:5], s27, v0 src0_sel:BYTE_0 src1_sel:DWORD
	s_and_b64 vcc, exec, s[4:5]
	s_cbranch_vccnz .LBB7_1651
; %bb.1649:
	v_cmp_gt_i16_sdwa s[4:5], s27, v0 src0_sel:BYTE_0 src1_sel:DWORD
	s_and_b64 vcc, exec, s[4:5]
	s_cbranch_vccz .LBB7_1652
; %bb.1650:
	global_load_dword v0, v[24:25], off
	s_mov_b64 s[4:5], 0
	s_waitcnt vmcnt(0)
	v_cvt_f64_u32_e32 v[0:1], v0
	s_branch .LBB7_1653
.LBB7_1651:
	s_mov_b64 s[4:5], -1
                                        ; implicit-def: $vgpr0_vgpr1
	s_branch .LBB7_1656
.LBB7_1652:
	s_mov_b64 s[4:5], -1
                                        ; implicit-def: $vgpr0_vgpr1
.LBB7_1653:
	s_andn2_b64 vcc, exec, s[4:5]
	s_cbranch_vccnz .LBB7_1655
; %bb.1654:
	global_load_ushort v0, v[24:25], off
	s_waitcnt vmcnt(0)
	v_cvt_f64_u32_e32 v[0:1], v0
.LBB7_1655:
	s_mov_b64 s[4:5], 0
.LBB7_1656:
	s_andn2_b64 vcc, exec, s[4:5]
	s_cbranch_vccnz .LBB7_1664
; %bb.1657:
	global_load_ubyte v3, v[24:25], off
	s_movk_i32 s4, 0x7f
                                        ; implicit-def: $sgpr16_sgpr17
	s_waitcnt vmcnt(0)
	v_cmp_lt_i16_e32 vcc, s4, v3
	s_mov_b64 s[4:5], 0
	s_and_saveexec_b64 s[18:19], vcc
	s_xor_b64 s[18:19], exec, s[18:19]
	s_cbranch_execz .LBB7_1677
; %bb.1658:
	s_movk_i32 s4, 0x80
	v_cmp_eq_u16_e32 vcc, s4, v3
	s_mov_b64 s[20:21], -1
                                        ; implicit-def: $sgpr16_sgpr17
	s_and_saveexec_b64 s[4:5], vcc
; %bb.1659:
	s_mov_b32 s17, 0x7ff80000
	s_brev_b32 s16, 4
	s_xor_b64 s[20:21], exec, -1
; %bb.1660:
	s_or_b64 exec, exec, s[4:5]
	s_and_b64 s[4:5], s[20:21], exec
	s_or_saveexec_b64 s[18:19], s[18:19]
	v_pk_mov_b32 v[0:1], s[16:17], s[16:17] op_sel:[0,1]
	s_xor_b64 exec, exec, s[18:19]
	s_cbranch_execnz .LBB7_1678
.LBB7_1661:
	s_or_b64 exec, exec, s[18:19]
	s_and_saveexec_b64 s[16:17], s[4:5]
	s_cbranch_execz .LBB7_1663
.LBB7_1662:
	v_and_b32_e32 v1, 0xffff, v3
	v_lshlrev_b32_e32 v0, 24, v3
	v_and_b32_e32 v3, 7, v1
	v_ffbh_u32_e32 v7, v3
	v_min_u32_e32 v7, 32, v7
	v_subrev_u32_e32 v9, 28, v7
	v_bfe_u32 v5, v1, 3, 4
	v_lshlrev_b32_e32 v1, v9, v1
	v_sub_u32_e32 v7, 29, v7
	v_and_b32_e32 v1, 7, v1
	v_cmp_eq_u32_e32 vcc, 0, v5
	v_cndmask_b32_e32 v5, v5, v7, vcc
	v_cndmask_b32_e32 v1, v3, v1, vcc
	v_mov_b32_e32 v3, 0x3b800000
	v_lshlrev_b32_e32 v1, 20, v1
	v_and_b32_e32 v0, 0x80000000, v0
	v_lshl_add_u32 v3, v5, 23, v3
	v_or3_b32 v0, v0, v3, v1
	v_cvt_f64_f32_e32 v[0:1], v0
.LBB7_1663:
	s_or_b64 exec, exec, s[16:17]
.LBB7_1664:
	s_mov_b64 s[16:17], -1
.LBB7_1665:
	s_branch .LBB7_1697
.LBB7_1666:
	v_mov_b32_e32 v0, 22
	v_cmp_gt_i16_sdwa s[4:5], s27, v0 src0_sel:BYTE_0 src1_sel:DWORD
	s_and_b64 vcc, exec, s[4:5]
	s_cbranch_vccz .LBB7_1676
; %bb.1667:
	v_mov_b32_e32 v0, 24
	v_cmp_lt_i16_sdwa s[4:5], s27, v0 src0_sel:BYTE_0 src1_sel:DWORD
	s_and_b64 vcc, exec, s[4:5]
	s_cbranch_vccnz .LBB7_1679
; %bb.1668:
	v_cmp_gt_i16_sdwa s[4:5], s27, v0 src0_sel:BYTE_0 src1_sel:DWORD
	s_and_b64 vcc, exec, s[4:5]
	s_cbranch_vccz .LBB7_1680
; %bb.1669:
	global_load_ubyte v3, v[24:25], off
	s_movk_i32 s4, 0x7f
                                        ; implicit-def: $sgpr6_sgpr7
	s_waitcnt vmcnt(0)
	v_cmp_lt_i16_e32 vcc, s4, v3
	s_mov_b64 s[4:5], 0
	s_and_saveexec_b64 s[16:17], vcc
	s_xor_b64 s[16:17], exec, s[16:17]
	s_cbranch_execz .LBB7_1691
; %bb.1670:
	s_movk_i32 s4, 0x80
	v_cmp_eq_u16_e32 vcc, s4, v3
	s_mov_b64 s[18:19], -1
                                        ; implicit-def: $sgpr6_sgpr7
	s_and_saveexec_b64 s[4:5], vcc
; %bb.1671:
	s_mov_b32 s7, 0x7ff80000
	s_brev_b32 s6, 4
	s_xor_b64 s[18:19], exec, -1
; %bb.1672:
	s_or_b64 exec, exec, s[4:5]
	s_and_b64 s[4:5], s[18:19], exec
	s_or_saveexec_b64 s[16:17], s[16:17]
	v_pk_mov_b32 v[0:1], s[6:7], s[6:7] op_sel:[0,1]
	s_xor_b64 exec, exec, s[16:17]
	s_cbranch_execnz .LBB7_1692
.LBB7_1673:
	s_or_b64 exec, exec, s[16:17]
	s_and_saveexec_b64 s[6:7], s[4:5]
	s_cbranch_execz .LBB7_1675
.LBB7_1674:
	v_and_b32_e32 v1, 0xffff, v3
	v_lshlrev_b32_e32 v0, 24, v3
	v_and_b32_e32 v3, 3, v1
	v_ffbh_u32_e32 v7, v3
	v_min_u32_e32 v7, 32, v7
	v_subrev_u32_e32 v9, 29, v7
	v_bfe_u32 v5, v1, 2, 5
	v_lshlrev_b32_e32 v1, v9, v1
	v_sub_u32_e32 v7, 30, v7
	v_and_b32_e32 v1, 3, v1
	v_cmp_eq_u32_e32 vcc, 0, v5
	v_cndmask_b32_e32 v5, v5, v7, vcc
	v_cndmask_b32_e32 v1, v3, v1, vcc
	v_mov_b32_e32 v3, 0x37800000
	v_lshlrev_b32_e32 v1, 21, v1
	v_and_b32_e32 v0, 0x80000000, v0
	v_lshl_add_u32 v3, v5, 23, v3
	v_or3_b32 v0, v0, v3, v1
	v_cvt_f64_f32_e32 v[0:1], v0
.LBB7_1675:
	s_or_b64 exec, exec, s[6:7]
	s_mov_b64 s[4:5], 0
	s_branch .LBB7_1681
.LBB7_1676:
                                        ; implicit-def: $vgpr0_vgpr1
	s_mov_b64 s[6:7], 0
	s_branch .LBB7_1687
.LBB7_1677:
	s_or_saveexec_b64 s[18:19], s[18:19]
	v_pk_mov_b32 v[0:1], s[16:17], s[16:17] op_sel:[0,1]
	s_xor_b64 exec, exec, s[18:19]
	s_cbranch_execz .LBB7_1661
.LBB7_1678:
	v_cmp_ne_u16_e32 vcc, 0, v3
	s_andn2_b64 s[4:5], s[4:5], exec
	s_and_b64 s[16:17], vcc, exec
	v_pk_mov_b32 v[0:1], 0, 0
	s_or_b64 s[4:5], s[4:5], s[16:17]
	s_or_b64 exec, exec, s[18:19]
	s_and_saveexec_b64 s[16:17], s[4:5]
	s_cbranch_execnz .LBB7_1662
	s_branch .LBB7_1663
.LBB7_1679:
	s_mov_b64 s[4:5], -1
                                        ; implicit-def: $vgpr0_vgpr1
	s_branch .LBB7_1684
.LBB7_1680:
	s_mov_b64 s[4:5], -1
                                        ; implicit-def: $vgpr0_vgpr1
.LBB7_1681:
	s_and_b64 vcc, exec, s[4:5]
	s_cbranch_vccz .LBB7_1683
; %bb.1682:
	global_load_ubyte v0, v[24:25], off
	s_mov_b32 s4, 0x7f800000
	s_waitcnt vmcnt(0)
	v_lshlrev_b32_e32 v0, 24, v0
	v_and_b32_e32 v1, 0x7f000000, v0
	v_ffbh_u32_e32 v3, v1
	v_min_u32_e32 v3, 32, v3
	v_sub_u32_e64 v3, v3, 4 clamp
	v_lshlrev_b32_e32 v7, v3, v1
	v_lshlrev_b32_e32 v3, 23, v3
	v_lshrrev_b32_e32 v7, 4, v7
	v_add_u32_e32 v5, 0x1000000, v1
	v_sub_u32_e32 v3, v7, v3
	v_ashrrev_i32_e32 v5, 8, v5
	v_add_u32_e32 v3, 0x3c000000, v3
	v_and_or_b32 v3, v5, s4, v3
	v_cmp_ne_u32_e32 vcc, 0, v1
	v_cndmask_b32_e32 v1, 0, v3, vcc
	s_brev_b32 s4, 1
	v_and_or_b32 v0, v0, s4, v1
	v_cvt_f64_f32_e32 v[0:1], v0
.LBB7_1683:
	s_mov_b64 s[4:5], 0
.LBB7_1684:
	s_andn2_b64 vcc, exec, s[4:5]
	s_cbranch_vccnz .LBB7_1686
; %bb.1685:
	global_load_ubyte v0, v[24:25], off
	s_movk_i32 s4, 0x7f00
	s_brev_b32 s5, 16
	s_waitcnt vmcnt(0)
	v_lshlrev_b16_e32 v1, 8, v0
	v_lshlrev_b32_e32 v0, 25, v0
	v_lshrrev_b32_e32 v3, 4, v0
	v_and_or_b32 v5, v1, s4, 0.5
	v_or_b32_e32 v3, 0x70000000, v3
	v_add_f32_e32 v5, -0.5, v5
	v_mul_f32_e32 v3, 0x7800000, v3
	v_cmp_gt_u32_e32 vcc, s5, v0
	v_bfe_i32 v1, v1, 0, 16
	v_cndmask_b32_e32 v0, v3, v5, vcc
	s_brev_b32 s4, 1
	v_and_or_b32 v0, v1, s4, v0
	v_cvt_f64_f32_e32 v[0:1], v0
.LBB7_1686:
	s_mov_b64 s[16:17], -1
	s_mov_b64 s[6:7], 0
	s_cbranch_execnz .LBB7_1697
.LBB7_1687:
	v_mov_b32_e32 v0, 14
	v_cmp_gt_i16_sdwa s[4:5], s27, v0 src0_sel:BYTE_0 src1_sel:DWORD
	s_and_b64 vcc, exec, s[4:5]
	s_cbranch_vccz .LBB7_1690
; %bb.1688:
	v_mov_b32_e32 v0, 15
	v_cmp_eq_u16_sdwa s[0:1], s27, v0 src0_sel:BYTE_0 src1_sel:DWORD
	s_and_b64 vcc, exec, s[0:1]
	s_cbranch_vccz .LBB7_1693
; %bb.1689:
	global_load_ushort v0, v[24:25], off
	s_mov_b64 s[0:1], 0
	s_mov_b64 s[16:17], -1
	s_waitcnt vmcnt(0)
	v_lshlrev_b32_e32 v0, 16, v0
	v_cvt_f64_f32_e32 v[0:1], v0
	s_branch .LBB7_1694
.LBB7_1690:
	s_mov_b64 s[4:5], -1
                                        ; implicit-def: $vgpr0_vgpr1
	s_branch .LBB7_1695
.LBB7_1691:
	s_or_saveexec_b64 s[16:17], s[16:17]
	v_pk_mov_b32 v[0:1], s[6:7], s[6:7] op_sel:[0,1]
	s_xor_b64 exec, exec, s[16:17]
	s_cbranch_execz .LBB7_1673
.LBB7_1692:
	v_cmp_ne_u16_e32 vcc, 0, v3
	s_andn2_b64 s[4:5], s[4:5], exec
	s_and_b64 s[6:7], vcc, exec
	v_pk_mov_b32 v[0:1], 0, 0
	s_or_b64 s[4:5], s[4:5], s[6:7]
	s_or_b64 exec, exec, s[16:17]
	s_and_saveexec_b64 s[6:7], s[4:5]
	s_cbranch_execnz .LBB7_1674
	s_branch .LBB7_1675
.LBB7_1693:
	s_mov_b64 s[0:1], -1
                                        ; implicit-def: $vgpr0_vgpr1
.LBB7_1694:
	s_mov_b64 s[4:5], 0
.LBB7_1695:
	s_and_b64 vcc, exec, s[4:5]
	s_cbranch_vccz .LBB7_1697
; %bb.1696:
	v_mov_b32_e32 v0, 11
	v_cmp_ne_u16_sdwa s[0:1], s27, v0 src0_sel:BYTE_0 src1_sel:DWORD
	s_mov_b64 s[6:7], -1
                                        ; implicit-def: $vgpr0_vgpr1
.LBB7_1697:
	s_and_b64 vcc, exec, s[0:1]
	s_mov_b64 s[4:5], s[12:13]
	s_cbranch_vccnz .LBB7_1758
; %bb.1698:
	s_andn2_b64 vcc, exec, s[6:7]
	s_cbranch_vccnz .LBB7_1700
.LBB7_1699:
	global_load_ubyte v1, v[24:25], off
	v_mov_b32_e32 v3, 0x3ff00000
	v_mov_b32_e32 v0, 0
	s_mov_b64 s[16:17], -1
	s_waitcnt vmcnt(0)
	v_cmp_ne_u16_e32 vcc, 0, v1
	v_cndmask_b32_e32 v1, 0, v3, vcc
.LBB7_1700:
	s_branch .LBB7_1630
.LBB7_1701:
	v_mov_b32_e32 v0, 5
	v_cmp_lt_i16_sdwa s[0:1], s27, v0 src0_sel:BYTE_0 src1_sel:DWORD
	s_and_b64 vcc, exec, s[0:1]
	s_cbranch_vccnz .LBB7_1706
; %bb.1702:
	v_mov_b32_e32 v0, 8
	v_cmp_lt_i16_sdwa s[0:1], s27, v0 src0_sel:BYTE_0 src1_sel:DWORD
	s_and_b64 vcc, exec, s[0:1]
	s_cbranch_vccnz .LBB7_1707
; %bb.1703:
	;; [unrolled: 5-line block ×3, first 2 shown]
	v_cmp_gt_i16_sdwa s[0:1], s27, v0 src0_sel:BYTE_0 src1_sel:DWORD
	s_and_b64 vcc, exec, s[0:1]
	s_cbranch_vccz .LBB7_1709
; %bb.1705:
	global_load_dwordx2 v[0:1], v[24:25], off
	s_mov_b64 s[0:1], 0
	s_branch .LBB7_1710
.LBB7_1706:
                                        ; implicit-def: $vgpr0_vgpr1
	s_branch .LBB7_1727
.LBB7_1707:
                                        ; implicit-def: $vgpr0_vgpr1
	s_branch .LBB7_1716
.LBB7_1708:
	s_mov_b64 s[0:1], -1
                                        ; implicit-def: $vgpr0_vgpr1
	s_branch .LBB7_1713
.LBB7_1709:
	s_mov_b64 s[0:1], -1
                                        ; implicit-def: $vgpr0_vgpr1
.LBB7_1710:
	s_andn2_b64 vcc, exec, s[0:1]
	s_cbranch_vccnz .LBB7_1712
; %bb.1711:
	global_load_dword v0, v[24:25], off
	s_waitcnt vmcnt(0)
	v_cvt_f64_f32_e32 v[0:1], v0
.LBB7_1712:
	s_mov_b64 s[0:1], 0
.LBB7_1713:
	s_andn2_b64 vcc, exec, s[0:1]
	s_cbranch_vccnz .LBB7_1715
; %bb.1714:
	global_load_dword v0, v[24:25], off
	s_waitcnt vmcnt(0)
	v_cvt_f32_f16_e32 v0, v0
	v_cvt_f64_f32_e32 v[0:1], v0
.LBB7_1715:
	s_cbranch_execnz .LBB7_1726
.LBB7_1716:
	s_waitcnt vmcnt(0)
	v_mov_b32_e32 v0, 6
	v_cmp_lt_i16_sdwa s[0:1], s27, v0 src0_sel:BYTE_0 src1_sel:DWORD
	s_and_b64 vcc, exec, s[0:1]
	s_cbranch_vccnz .LBB7_1719
; %bb.1717:
	v_cmp_gt_i16_sdwa s[0:1], s27, v0 src0_sel:BYTE_0 src1_sel:DWORD
	s_and_b64 vcc, exec, s[0:1]
	s_cbranch_vccz .LBB7_1720
; %bb.1718:
	global_load_dwordx2 v[0:1], v[24:25], off
	s_mov_b64 s[0:1], 0
	s_branch .LBB7_1721
.LBB7_1719:
	s_mov_b64 s[0:1], -1
                                        ; implicit-def: $vgpr0_vgpr1
	s_branch .LBB7_1724
.LBB7_1720:
	s_mov_b64 s[0:1], -1
                                        ; implicit-def: $vgpr0_vgpr1
.LBB7_1721:
	s_andn2_b64 vcc, exec, s[0:1]
	s_cbranch_vccnz .LBB7_1723
; %bb.1722:
	global_load_dword v0, v[24:25], off
	s_waitcnt vmcnt(0)
	v_cvt_f64_f32_e32 v[0:1], v0
.LBB7_1723:
	s_mov_b64 s[0:1], 0
.LBB7_1724:
	s_andn2_b64 vcc, exec, s[0:1]
	s_cbranch_vccnz .LBB7_1726
; %bb.1725:
	global_load_ushort v0, v[24:25], off
	s_waitcnt vmcnt(0)
	v_cvt_f32_f16_e32 v0, v0
	v_cvt_f64_f32_e32 v[0:1], v0
.LBB7_1726:
	s_cbranch_execnz .LBB7_1745
.LBB7_1727:
	s_waitcnt vmcnt(0)
	v_mov_b32_e32 v0, 2
	v_cmp_lt_i16_sdwa s[0:1], s27, v0 src0_sel:BYTE_0 src1_sel:DWORD
	s_and_b64 vcc, exec, s[0:1]
	s_cbranch_vccnz .LBB7_1731
; %bb.1728:
	v_mov_b32_e32 v0, 3
	v_cmp_lt_i16_sdwa s[0:1], s27, v0 src0_sel:BYTE_0 src1_sel:DWORD
	s_and_b64 vcc, exec, s[0:1]
	s_cbranch_vccnz .LBB7_1732
; %bb.1729:
	v_cmp_gt_i16_sdwa s[0:1], s27, v0 src0_sel:BYTE_0 src1_sel:DWORD
	s_and_b64 vcc, exec, s[0:1]
	s_cbranch_vccz .LBB7_1733
; %bb.1730:
	global_load_dwordx2 v[0:1], v[24:25], off
	s_mov_b64 s[0:1], 0
	s_waitcnt vmcnt(0)
	v_cvt_f64_i32_e32 v[26:27], v1
	v_cvt_f64_u32_e32 v[0:1], v0
	v_ldexp_f64 v[26:27], v[26:27], 32
	v_add_f64 v[0:1], v[26:27], v[0:1]
	s_branch .LBB7_1734
.LBB7_1731:
                                        ; implicit-def: $vgpr0_vgpr1
	s_branch .LBB7_1740
.LBB7_1732:
	s_mov_b64 s[0:1], -1
                                        ; implicit-def: $vgpr0_vgpr1
	s_branch .LBB7_1737
.LBB7_1733:
	s_mov_b64 s[0:1], -1
                                        ; implicit-def: $vgpr0_vgpr1
.LBB7_1734:
	s_andn2_b64 vcc, exec, s[0:1]
	s_cbranch_vccnz .LBB7_1736
; %bb.1735:
	global_load_dword v0, v[24:25], off
	s_waitcnt vmcnt(0)
	v_cvt_f64_i32_e32 v[0:1], v0
.LBB7_1736:
	s_mov_b64 s[0:1], 0
.LBB7_1737:
	s_andn2_b64 vcc, exec, s[0:1]
	s_cbranch_vccnz .LBB7_1739
; %bb.1738:
	global_load_sshort v0, v[24:25], off
	s_waitcnt vmcnt(0)
	v_cvt_f64_i32_e32 v[0:1], v0
.LBB7_1739:
	s_cbranch_execnz .LBB7_1745
.LBB7_1740:
	v_mov_b32_e32 v0, 0
	v_cmp_gt_i16_sdwa s[0:1], s27, v0 src0_sel:BYTE_0 src1_sel:DWORD
	s_and_b64 vcc, exec, s[0:1]
	s_cbranch_vccz .LBB7_1742
; %bb.1741:
	global_load_sbyte v0, v[24:25], off
	s_mov_b64 s[0:1], 0
	s_waitcnt vmcnt(0)
	v_cvt_f64_i32_e32 v[0:1], v0
	s_branch .LBB7_1743
.LBB7_1742:
	s_mov_b64 s[0:1], -1
                                        ; implicit-def: $vgpr0_vgpr1
.LBB7_1743:
	s_andn2_b64 vcc, exec, s[0:1]
	s_cbranch_vccnz .LBB7_1745
; %bb.1744:
	global_load_ubyte v0, v[24:25], off
	s_waitcnt vmcnt(0)
	v_cvt_f64_u32_e32 v[0:1], v0
.LBB7_1745:
.LBB7_1746:
	s_load_dwordx2 s[0:1], s[2:3], 0x198
	s_lshr_b32 s28, s26, 24
	v_cmp_lt_i16_e64 s[2:3], s28, 11
	s_waitcnt lgkmcnt(0)
	v_mov_b32_e32 v3, s1
	v_add_co_u32_e32 v24, vcc, s0, v12
	v_addc_co_u32_e32 v25, vcc, 0, v3, vcc
	s_and_b64 vcc, exec, s[2:3]
	s_cbranch_vccnz .LBB7_1753
; %bb.1747:
	v_cmp_gt_i16_e64 s[6:7], s28, 25
	s_mov_b64 s[16:17], 0
	s_and_b64 vcc, exec, s[6:7]
	s_cbranch_vccz .LBB7_1755
; %bb.1748:
	v_cmp_gt_i16_e64 s[6:7], s28, 28
	s_and_b64 vcc, exec, s[6:7]
	s_cbranch_vccz .LBB7_1756
; %bb.1749:
	v_cmp_gt_i16_e64 s[6:7], s28, 43
	;; [unrolled: 4-line block ×3, first 2 shown]
	s_and_b64 vcc, exec, s[6:7]
	s_cbranch_vccz .LBB7_1759
; %bb.1751:
	v_cmp_eq_u16_e64 s[6:7], s28, 46
	s_mov_b64 s[20:21], 0
	s_and_b64 vcc, exec, s[6:7]
	s_cbranch_vccz .LBB7_1762
; %bb.1752:
	global_load_dword v3, v[24:25], off
	s_mov_b64 s[6:7], 0
	s_mov_b64 s[18:19], -1
	s_waitcnt vmcnt(0)
	v_lshlrev_b32_e32 v3, 16, v3
	v_cvt_f64_f32_e32 v[12:13], v3
	s_branch .LBB7_1763
.LBB7_1753:
	s_mov_b64 s[18:19], 0
                                        ; implicit-def: $vgpr12_vgpr13
	s_cbranch_execnz .LBB7_1828
.LBB7_1754:
	s_andn2_b64 vcc, exec, s[18:19]
	s_cbranch_vccz .LBB7_1875
	s_branch .LBB7_2950
.LBB7_1755:
	s_mov_b64 s[18:19], 0
	s_mov_b64 s[6:7], 0
                                        ; implicit-def: $vgpr12_vgpr13
	s_cbranch_execnz .LBB7_1792
	s_branch .LBB7_1824
.LBB7_1756:
	s_mov_b64 s[20:21], -1
	s_mov_b64 s[18:19], 0
	s_mov_b64 s[6:7], 0
                                        ; implicit-def: $vgpr12_vgpr13
	s_branch .LBB7_1773
.LBB7_1757:
	s_mov_b64 s[20:21], -1
	s_mov_b64 s[18:19], 0
	s_mov_b64 s[6:7], 0
                                        ; implicit-def: $vgpr12_vgpr13
	s_branch .LBB7_1768
.LBB7_1758:
	s_or_b64 s[4:5], s[12:13], exec
	s_trap 2
                                        ; implicit-def: $vgpr0_vgpr1
	s_cbranch_execz .LBB7_1699
	s_branch .LBB7_1700
.LBB7_1759:
	s_mov_b64 s[20:21], -1
	s_mov_b64 s[18:19], 0
	s_mov_b64 s[6:7], 0
                                        ; implicit-def: $vgpr12_vgpr13
	s_branch .LBB7_1763
.LBB7_1760:
	s_or_saveexec_b64 s[18:19], s[18:19]
                                        ; implicit-def: $sgpr24
	s_xor_b64 exec, exec, s[18:19]
	s_cbranch_execz .LBB7_1503
.LBB7_1761:
	s_mov_b32 s24, 0x42800000
	v_add_f32_e64 v3, |v2|, s24
	v_and_b32_e32 v3, 0xff, v3
	v_cmp_ne_u32_e32 vcc, 0, v3
	s_andn2_b64 s[16:17], s[16:17], exec
	s_and_b64 s[26:27], vcc, exec
	s_mov_b32 s24, 0
	s_or_b64 s[16:17], s[16:17], s[26:27]
	s_or_b64 exec, exec, s[18:19]
	v_mov_b32_e32 v4, s24
	s_and_saveexec_b64 s[18:19], s[16:17]
	s_cbranch_execnz .LBB7_1504
	s_branch .LBB7_1505
.LBB7_1762:
	s_mov_b64 s[6:7], -1
                                        ; implicit-def: $vgpr12_vgpr13
	s_mov_b64 s[18:19], 0
.LBB7_1763:
	s_and_b64 vcc, exec, s[20:21]
	s_cbranch_vccz .LBB7_1767
; %bb.1764:
	v_cmp_eq_u16_e64 s[6:7], s28, 44
	s_and_b64 vcc, exec, s[6:7]
	s_cbranch_vccz .LBB7_1766
; %bb.1765:
	global_load_ubyte v3, v[24:25], off
	s_movk_i32 s18, 0xff
	v_bfrev_b32_e32 v5, 4
	v_mov_b32_e32 v7, 0x7ff80000
	v_bfrev_b32_e32 v9, 28
	s_mov_b64 s[6:7], 0
	s_waitcnt vmcnt(0)
	v_lshlrev_b32_e32 v11, 23, v3
	v_cvt_f64_f32_e32 v[12:13], v11
	v_cmp_ne_u32_e32 vcc, s18, v3
	v_cndmask_b32_e32 v5, v5, v12, vcc
	v_cndmask_b32_e32 v7, v7, v13, vcc
	v_cmp_ne_u32_e32 vcc, 0, v3
	v_cndmask_b32_e32 v13, v9, v7, vcc
	v_cndmask_b32_e32 v12, 0, v5, vcc
	s_mov_b64 s[18:19], -1
	s_branch .LBB7_1767
.LBB7_1766:
	s_mov_b64 s[6:7], -1
                                        ; implicit-def: $vgpr12_vgpr13
.LBB7_1767:
	s_mov_b64 s[20:21], 0
.LBB7_1768:
	s_and_b64 vcc, exec, s[20:21]
	s_cbranch_vccz .LBB7_1772
; %bb.1769:
	v_cmp_eq_u16_e64 s[6:7], s28, 29
	s_and_b64 vcc, exec, s[6:7]
	s_cbranch_vccz .LBB7_1771
; %bb.1770:
	global_load_dwordx2 v[12:13], v[24:25], off
	s_mov_b64 s[6:7], 0
	s_mov_b64 s[18:19], -1
	s_mov_b64 s[20:21], 0
	s_waitcnt vmcnt(0)
	v_cvt_f64_u32_e32 v[26:27], v13
	v_cvt_f64_u32_e32 v[12:13], v12
	v_ldexp_f64 v[26:27], v[26:27], 32
	v_add_f64 v[12:13], v[26:27], v[12:13]
	s_branch .LBB7_1773
.LBB7_1771:
	s_mov_b64 s[6:7], -1
                                        ; implicit-def: $vgpr12_vgpr13
.LBB7_1772:
	s_mov_b64 s[20:21], 0
.LBB7_1773:
	s_and_b64 vcc, exec, s[20:21]
	s_cbranch_vccz .LBB7_1791
; %bb.1774:
	v_cmp_lt_i16_e64 s[18:19], s28, 27
	s_and_b64 vcc, exec, s[18:19]
	s_cbranch_vccnz .LBB7_1777
; %bb.1775:
	v_cmp_gt_i16_e64 s[18:19], s28, 27
	s_and_b64 vcc, exec, s[18:19]
	s_cbranch_vccz .LBB7_1778
; %bb.1776:
	global_load_dword v3, v[24:25], off
	s_mov_b64 s[18:19], 0
	s_waitcnt vmcnt(0)
	v_cvt_f64_u32_e32 v[12:13], v3
	s_branch .LBB7_1779
.LBB7_1777:
	s_mov_b64 s[18:19], -1
                                        ; implicit-def: $vgpr12_vgpr13
	s_branch .LBB7_1782
.LBB7_1778:
	s_mov_b64 s[18:19], -1
                                        ; implicit-def: $vgpr12_vgpr13
.LBB7_1779:
	s_andn2_b64 vcc, exec, s[18:19]
	s_cbranch_vccnz .LBB7_1781
; %bb.1780:
	global_load_ushort v3, v[24:25], off
	s_waitcnt vmcnt(0)
	v_cvt_f64_u32_e32 v[12:13], v3
.LBB7_1781:
	s_mov_b64 s[18:19], 0
.LBB7_1782:
	s_andn2_b64 vcc, exec, s[18:19]
	s_cbranch_vccnz .LBB7_1790
; %bb.1783:
	global_load_ubyte v3, v[24:25], off
	s_movk_i32 s18, 0x7f
                                        ; implicit-def: $sgpr20_sgpr21
	s_waitcnt vmcnt(0)
	v_cmp_lt_i16_e32 vcc, s18, v3
	s_mov_b64 s[18:19], 0
	s_and_saveexec_b64 s[22:23], vcc
	s_xor_b64 s[22:23], exec, s[22:23]
	s_cbranch_execz .LBB7_1803
; %bb.1784:
	s_movk_i32 s18, 0x80
	v_cmp_eq_u16_e32 vcc, s18, v3
	s_mov_b64 s[24:25], -1
                                        ; implicit-def: $sgpr20_sgpr21
	s_and_saveexec_b64 s[18:19], vcc
; %bb.1785:
	s_mov_b32 s21, 0x7ff80000
	s_brev_b32 s20, 4
	s_xor_b64 s[24:25], exec, -1
; %bb.1786:
	s_or_b64 exec, exec, s[18:19]
	s_and_b64 s[18:19], s[24:25], exec
	s_or_saveexec_b64 s[22:23], s[22:23]
	v_pk_mov_b32 v[12:13], s[20:21], s[20:21] op_sel:[0,1]
	s_xor_b64 exec, exec, s[22:23]
	s_cbranch_execnz .LBB7_1804
.LBB7_1787:
	s_or_b64 exec, exec, s[22:23]
	s_and_saveexec_b64 s[20:21], s[18:19]
	s_cbranch_execz .LBB7_1789
.LBB7_1788:
	v_lshlrev_b32_e32 v5, 24, v3
	v_and_b32_e32 v3, 0xffff, v3
	v_and_b32_e32 v7, 7, v3
	v_ffbh_u32_e32 v11, v7
	v_min_u32_e32 v11, 32, v11
	v_subrev_u32_e32 v12, 28, v11
	v_bfe_u32 v9, v3, 3, 4
	v_lshlrev_b32_e32 v3, v12, v3
	v_sub_u32_e32 v11, 29, v11
	v_and_b32_e32 v3, 7, v3
	v_cmp_eq_u32_e32 vcc, 0, v9
	v_cndmask_b32_e32 v9, v9, v11, vcc
	v_cndmask_b32_e32 v3, v7, v3, vcc
	v_mov_b32_e32 v7, 0x3b800000
	v_lshlrev_b32_e32 v3, 20, v3
	v_and_b32_e32 v5, 0x80000000, v5
	v_lshl_add_u32 v7, v9, 23, v7
	v_or3_b32 v3, v5, v7, v3
	v_cvt_f64_f32_e32 v[12:13], v3
.LBB7_1789:
	s_or_b64 exec, exec, s[20:21]
.LBB7_1790:
	s_mov_b64 s[18:19], -1
.LBB7_1791:
	s_branch .LBB7_1824
.LBB7_1792:
	v_cmp_gt_i16_e64 s[16:17], s28, 22
	s_and_b64 vcc, exec, s[16:17]
	s_cbranch_vccz .LBB7_1802
; %bb.1793:
	v_cmp_lt_i16_e64 s[16:17], s28, 24
	s_and_b64 vcc, exec, s[16:17]
	s_cbranch_vccnz .LBB7_1805
; %bb.1794:
	v_cmp_gt_i16_e64 s[16:17], s28, 24
	s_and_b64 vcc, exec, s[16:17]
	s_cbranch_vccz .LBB7_1806
; %bb.1795:
	global_load_ubyte v3, v[24:25], off
	s_movk_i32 s16, 0x7f
                                        ; implicit-def: $sgpr18_sgpr19
	s_waitcnt vmcnt(0)
	v_cmp_lt_i16_e32 vcc, s16, v3
	s_mov_b64 s[16:17], 0
	s_and_saveexec_b64 s[20:21], vcc
	s_xor_b64 s[20:21], exec, s[20:21]
	s_cbranch_execz .LBB7_1818
; %bb.1796:
	s_movk_i32 s16, 0x80
	v_cmp_eq_u16_e32 vcc, s16, v3
	s_mov_b64 s[22:23], -1
                                        ; implicit-def: $sgpr18_sgpr19
	s_and_saveexec_b64 s[16:17], vcc
; %bb.1797:
	s_mov_b32 s19, 0x7ff80000
	s_brev_b32 s18, 4
	s_xor_b64 s[22:23], exec, -1
; %bb.1798:
	s_or_b64 exec, exec, s[16:17]
	s_and_b64 s[16:17], s[22:23], exec
	s_or_saveexec_b64 s[20:21], s[20:21]
	v_pk_mov_b32 v[12:13], s[18:19], s[18:19] op_sel:[0,1]
	s_xor_b64 exec, exec, s[20:21]
	s_cbranch_execnz .LBB7_1819
.LBB7_1799:
	s_or_b64 exec, exec, s[20:21]
	s_and_saveexec_b64 s[18:19], s[16:17]
	s_cbranch_execz .LBB7_1801
.LBB7_1800:
	v_lshlrev_b32_e32 v5, 24, v3
	v_and_b32_e32 v3, 0xffff, v3
	v_and_b32_e32 v7, 3, v3
	v_ffbh_u32_e32 v11, v7
	v_min_u32_e32 v11, 32, v11
	v_subrev_u32_e32 v12, 29, v11
	v_bfe_u32 v9, v3, 2, 5
	v_lshlrev_b32_e32 v3, v12, v3
	v_sub_u32_e32 v11, 30, v11
	v_and_b32_e32 v3, 3, v3
	v_cmp_eq_u32_e32 vcc, 0, v9
	v_cndmask_b32_e32 v9, v9, v11, vcc
	v_cndmask_b32_e32 v3, v7, v3, vcc
	v_mov_b32_e32 v7, 0x37800000
	v_lshlrev_b32_e32 v3, 21, v3
	v_and_b32_e32 v5, 0x80000000, v5
	v_lshl_add_u32 v7, v9, 23, v7
	v_or3_b32 v3, v5, v7, v3
	v_cvt_f64_f32_e32 v[12:13], v3
.LBB7_1801:
	s_or_b64 exec, exec, s[18:19]
	s_mov_b64 s[16:17], 0
	s_branch .LBB7_1807
.LBB7_1802:
	s_mov_b64 s[16:17], -1
                                        ; implicit-def: $vgpr12_vgpr13
	s_branch .LBB7_1813
.LBB7_1803:
	s_or_saveexec_b64 s[22:23], s[22:23]
	v_pk_mov_b32 v[12:13], s[20:21], s[20:21] op_sel:[0,1]
	s_xor_b64 exec, exec, s[22:23]
	s_cbranch_execz .LBB7_1787
.LBB7_1804:
	v_cmp_ne_u16_e32 vcc, 0, v3
	s_andn2_b64 s[18:19], s[18:19], exec
	s_and_b64 s[20:21], vcc, exec
	v_pk_mov_b32 v[12:13], 0, 0
	s_or_b64 s[18:19], s[18:19], s[20:21]
	s_or_b64 exec, exec, s[22:23]
	s_and_saveexec_b64 s[20:21], s[18:19]
	s_cbranch_execnz .LBB7_1788
	s_branch .LBB7_1789
.LBB7_1805:
	s_mov_b64 s[16:17], -1
                                        ; implicit-def: $vgpr12_vgpr13
	s_branch .LBB7_1810
.LBB7_1806:
	s_mov_b64 s[16:17], -1
                                        ; implicit-def: $vgpr12_vgpr13
.LBB7_1807:
	s_and_b64 vcc, exec, s[16:17]
	s_cbranch_vccz .LBB7_1809
; %bb.1808:
	global_load_ubyte v3, v[24:25], off
	s_mov_b32 s16, 0x7f800000
	s_waitcnt vmcnt(0)
	v_lshlrev_b32_e32 v3, 24, v3
	v_and_b32_e32 v5, 0x7f000000, v3
	v_ffbh_u32_e32 v7, v5
	v_min_u32_e32 v7, 32, v7
	v_sub_u32_e64 v7, v7, 4 clamp
	v_lshlrev_b32_e32 v11, v7, v5
	v_lshlrev_b32_e32 v7, 23, v7
	v_lshrrev_b32_e32 v11, 4, v11
	v_add_u32_e32 v9, 0x1000000, v5
	v_sub_u32_e32 v7, v11, v7
	v_ashrrev_i32_e32 v9, 8, v9
	v_add_u32_e32 v7, 0x3c000000, v7
	v_and_or_b32 v7, v9, s16, v7
	v_cmp_ne_u32_e32 vcc, 0, v5
	v_cndmask_b32_e32 v5, 0, v7, vcc
	s_brev_b32 s16, 1
	v_and_or_b32 v3, v3, s16, v5
	v_cvt_f64_f32_e32 v[12:13], v3
.LBB7_1809:
	s_mov_b64 s[16:17], 0
.LBB7_1810:
	s_andn2_b64 vcc, exec, s[16:17]
	s_cbranch_vccnz .LBB7_1812
; %bb.1811:
	global_load_ubyte v3, v[24:25], off
	s_movk_i32 s16, 0x7f00
	s_brev_b32 s17, 16
	s_waitcnt vmcnt(0)
	v_lshlrev_b16_e32 v5, 8, v3
	v_lshlrev_b32_e32 v3, 25, v3
	v_lshrrev_b32_e32 v7, 4, v3
	v_and_or_b32 v9, v5, s16, 0.5
	v_or_b32_e32 v7, 0x70000000, v7
	v_add_f32_e32 v9, -0.5, v9
	v_mul_f32_e32 v7, 0x7800000, v7
	v_cmp_gt_u32_e32 vcc, s17, v3
	v_bfe_i32 v5, v5, 0, 16
	v_cndmask_b32_e32 v3, v7, v9, vcc
	s_brev_b32 s16, 1
	v_and_or_b32 v3, v5, s16, v3
	v_cvt_f64_f32_e32 v[12:13], v3
.LBB7_1812:
	s_mov_b64 s[16:17], 0
	s_mov_b64 s[18:19], -1
.LBB7_1813:
	s_andn2_b64 vcc, exec, s[16:17]
	s_mov_b64 s[16:17], 0
	s_cbranch_vccnz .LBB7_1824
; %bb.1814:
	v_cmp_gt_i16_e64 s[16:17], s28, 14
	s_and_b64 vcc, exec, s[16:17]
	s_cbranch_vccz .LBB7_1817
; %bb.1815:
	v_cmp_eq_u16_e64 s[6:7], s28, 15
	s_and_b64 vcc, exec, s[6:7]
	s_cbranch_vccz .LBB7_1820
; %bb.1816:
	global_load_ushort v3, v[24:25], off
	s_mov_b64 s[6:7], 0
	s_mov_b64 s[18:19], -1
	s_waitcnt vmcnt(0)
	v_lshlrev_b32_e32 v3, 16, v3
	v_cvt_f64_f32_e32 v[12:13], v3
	s_branch .LBB7_1821
.LBB7_1817:
	s_mov_b64 s[20:21], -1
                                        ; implicit-def: $vgpr12_vgpr13
	s_branch .LBB7_1822
.LBB7_1818:
	s_or_saveexec_b64 s[20:21], s[20:21]
	v_pk_mov_b32 v[12:13], s[18:19], s[18:19] op_sel:[0,1]
	s_xor_b64 exec, exec, s[20:21]
	s_cbranch_execz .LBB7_1799
.LBB7_1819:
	v_cmp_ne_u16_e32 vcc, 0, v3
	s_andn2_b64 s[16:17], s[16:17], exec
	s_and_b64 s[18:19], vcc, exec
	v_pk_mov_b32 v[12:13], 0, 0
	s_or_b64 s[16:17], s[16:17], s[18:19]
	s_or_b64 exec, exec, s[20:21]
	s_and_saveexec_b64 s[18:19], s[16:17]
	s_cbranch_execnz .LBB7_1800
	s_branch .LBB7_1801
.LBB7_1820:
	s_mov_b64 s[6:7], -1
                                        ; implicit-def: $vgpr12_vgpr13
.LBB7_1821:
	s_mov_b64 s[20:21], 0
.LBB7_1822:
	s_mov_b64 s[16:17], 0
	s_and_b64 vcc, exec, s[20:21]
	s_cbranch_vccz .LBB7_1824
; %bb.1823:
	v_cmp_ne_u16_e64 s[6:7], s28, 11
	s_mov_b64 s[16:17], -1
                                        ; implicit-def: $vgpr12_vgpr13
.LBB7_1824:
	s_and_b64 vcc, exec, s[6:7]
	s_cbranch_vccnz .LBB7_1887
; %bb.1825:
	s_andn2_b64 vcc, exec, s[16:17]
	s_cbranch_vccnz .LBB7_1827
.LBB7_1826:
	global_load_ubyte v3, v[24:25], off
	v_mov_b32_e32 v5, 0x3ff00000
	v_mov_b32_e32 v12, 0
	s_mov_b64 s[18:19], -1
	s_waitcnt vmcnt(0)
	v_cmp_ne_u16_e32 vcc, 0, v3
	v_cndmask_b32_e32 v13, 0, v5, vcc
.LBB7_1827:
	s_branch .LBB7_1754
.LBB7_1828:
	v_cmp_lt_i16_e64 s[6:7], s28, 5
	s_and_b64 vcc, exec, s[6:7]
	s_cbranch_vccnz .LBB7_1833
; %bb.1829:
	v_cmp_lt_i16_e64 s[6:7], s28, 8
	s_and_b64 vcc, exec, s[6:7]
	s_cbranch_vccnz .LBB7_1834
; %bb.1830:
	;; [unrolled: 4-line block ×3, first 2 shown]
	v_cmp_gt_i16_e64 s[6:7], s28, 9
	s_and_b64 vcc, exec, s[6:7]
	s_cbranch_vccz .LBB7_1836
; %bb.1832:
	global_load_dwordx2 v[12:13], v[24:25], off
	s_mov_b64 s[6:7], 0
	s_branch .LBB7_1837
.LBB7_1833:
                                        ; implicit-def: $vgpr12_vgpr13
	s_branch .LBB7_1855
.LBB7_1834:
	s_mov_b64 s[6:7], -1
                                        ; implicit-def: $vgpr12_vgpr13
	s_branch .LBB7_1843
.LBB7_1835:
	s_mov_b64 s[6:7], -1
                                        ; implicit-def: $vgpr12_vgpr13
	s_branch .LBB7_1840
.LBB7_1836:
	s_mov_b64 s[6:7], -1
                                        ; implicit-def: $vgpr12_vgpr13
.LBB7_1837:
	s_andn2_b64 vcc, exec, s[6:7]
	s_cbranch_vccnz .LBB7_1839
; %bb.1838:
	global_load_dword v3, v[24:25], off
	s_waitcnt vmcnt(0)
	v_cvt_f64_f32_e32 v[12:13], v3
.LBB7_1839:
	s_mov_b64 s[6:7], 0
.LBB7_1840:
	s_andn2_b64 vcc, exec, s[6:7]
	s_cbranch_vccnz .LBB7_1842
; %bb.1841:
	global_load_dword v3, v[24:25], off
	s_waitcnt vmcnt(0)
	v_cvt_f32_f16_e32 v3, v3
	v_cvt_f64_f32_e32 v[12:13], v3
.LBB7_1842:
	s_mov_b64 s[6:7], 0
.LBB7_1843:
	s_andn2_b64 vcc, exec, s[6:7]
	s_cbranch_vccnz .LBB7_1854
; %bb.1844:
	v_cmp_lt_i16_e64 s[6:7], s28, 6
	s_and_b64 vcc, exec, s[6:7]
	s_cbranch_vccnz .LBB7_1847
; %bb.1845:
	v_cmp_gt_i16_e64 s[6:7], s28, 6
	s_and_b64 vcc, exec, s[6:7]
	s_cbranch_vccz .LBB7_1848
; %bb.1846:
	global_load_dwordx2 v[12:13], v[24:25], off
	s_mov_b64 s[6:7], 0
	s_branch .LBB7_1849
.LBB7_1847:
	s_mov_b64 s[6:7], -1
                                        ; implicit-def: $vgpr12_vgpr13
	s_branch .LBB7_1852
.LBB7_1848:
	s_mov_b64 s[6:7], -1
                                        ; implicit-def: $vgpr12_vgpr13
.LBB7_1849:
	s_andn2_b64 vcc, exec, s[6:7]
	s_cbranch_vccnz .LBB7_1851
; %bb.1850:
	global_load_dword v3, v[24:25], off
	s_waitcnt vmcnt(0)
	v_cvt_f64_f32_e32 v[12:13], v3
.LBB7_1851:
	s_mov_b64 s[6:7], 0
.LBB7_1852:
	s_andn2_b64 vcc, exec, s[6:7]
	s_cbranch_vccnz .LBB7_1854
; %bb.1853:
	global_load_ushort v3, v[24:25], off
	s_waitcnt vmcnt(0)
	v_cvt_f32_f16_e32 v3, v3
	v_cvt_f64_f32_e32 v[12:13], v3
.LBB7_1854:
	s_cbranch_execnz .LBB7_1874
.LBB7_1855:
	v_cmp_lt_i16_e64 s[6:7], s28, 2
	s_and_b64 vcc, exec, s[6:7]
	s_cbranch_vccnz .LBB7_1859
; %bb.1856:
	v_cmp_lt_i16_e64 s[6:7], s28, 3
	s_and_b64 vcc, exec, s[6:7]
	s_cbranch_vccnz .LBB7_1860
; %bb.1857:
	v_cmp_gt_i16_e64 s[6:7], s28, 3
	s_and_b64 vcc, exec, s[6:7]
	s_cbranch_vccz .LBB7_1861
; %bb.1858:
	global_load_dwordx2 v[12:13], v[24:25], off
	s_mov_b64 s[6:7], 0
	s_waitcnt vmcnt(0)
	v_cvt_f64_i32_e32 v[26:27], v13
	v_cvt_f64_u32_e32 v[12:13], v12
	v_ldexp_f64 v[26:27], v[26:27], 32
	v_add_f64 v[12:13], v[26:27], v[12:13]
	s_branch .LBB7_1862
.LBB7_1859:
	s_mov_b64 s[6:7], -1
                                        ; implicit-def: $vgpr12_vgpr13
	s_branch .LBB7_1868
.LBB7_1860:
	s_mov_b64 s[6:7], -1
                                        ; implicit-def: $vgpr12_vgpr13
	s_branch .LBB7_1865
.LBB7_1861:
	s_mov_b64 s[6:7], -1
                                        ; implicit-def: $vgpr12_vgpr13
.LBB7_1862:
	s_andn2_b64 vcc, exec, s[6:7]
	s_cbranch_vccnz .LBB7_1864
; %bb.1863:
	global_load_dword v3, v[24:25], off
	s_waitcnt vmcnt(0)
	v_cvt_f64_i32_e32 v[12:13], v3
.LBB7_1864:
	s_mov_b64 s[6:7], 0
.LBB7_1865:
	s_andn2_b64 vcc, exec, s[6:7]
	s_cbranch_vccnz .LBB7_1867
; %bb.1866:
	global_load_sshort v3, v[24:25], off
	s_waitcnt vmcnt(0)
	v_cvt_f64_i32_e32 v[12:13], v3
.LBB7_1867:
	s_mov_b64 s[6:7], 0
.LBB7_1868:
	s_andn2_b64 vcc, exec, s[6:7]
	s_cbranch_vccnz .LBB7_1874
; %bb.1869:
	v_cmp_gt_i16_e64 s[6:7], s28, 0
	s_and_b64 vcc, exec, s[6:7]
	s_cbranch_vccz .LBB7_1871
; %bb.1870:
	global_load_sbyte v3, v[24:25], off
	s_mov_b64 s[6:7], 0
	s_waitcnt vmcnt(0)
	v_cvt_f64_i32_e32 v[12:13], v3
	s_branch .LBB7_1872
.LBB7_1871:
	s_mov_b64 s[6:7], -1
                                        ; implicit-def: $vgpr12_vgpr13
.LBB7_1872:
	s_andn2_b64 vcc, exec, s[6:7]
	s_cbranch_vccnz .LBB7_1874
; %bb.1873:
	global_load_ubyte v3, v[24:25], off
	s_waitcnt vmcnt(0)
	v_cvt_f64_u32_e32 v[12:13], v3
.LBB7_1874:
.LBB7_1875:
	v_mov_b32_e32 v3, s11
	v_add_co_u32_e32 v24, vcc, s10, v14
	v_addc_co_u32_e32 v25, vcc, 0, v3, vcc
	v_mov_b32_e32 v3, 11
	v_cmp_lt_i16_sdwa s[6:7], s27, v3 src0_sel:BYTE_0 src1_sel:DWORD
	s_and_b64 vcc, exec, s[6:7]
	s_cbranch_vccnz .LBB7_1882
; %bb.1876:
	v_mov_b32_e32 v3, 25
	v_cmp_gt_i16_sdwa s[6:7], s27, v3 src0_sel:BYTE_0 src1_sel:DWORD
	s_mov_b64 s[16:17], 0
	s_and_b64 vcc, exec, s[6:7]
	s_cbranch_vccz .LBB7_1884
; %bb.1877:
	v_mov_b32_e32 v3, 28
	v_cmp_gt_i16_sdwa s[6:7], s27, v3 src0_sel:BYTE_0 src1_sel:DWORD
	s_and_b64 vcc, exec, s[6:7]
	s_cbranch_vccz .LBB7_1885
; %bb.1878:
	v_mov_b32_e32 v3, 43
	v_cmp_gt_i16_sdwa s[6:7], s27, v3 src0_sel:BYTE_0 src1_sel:DWORD
	;; [unrolled: 5-line block ×3, first 2 shown]
	s_and_b64 vcc, exec, s[6:7]
	s_cbranch_vccz .LBB7_1888
; %bb.1880:
	v_mov_b32_e32 v3, 46
	v_cmp_eq_u16_sdwa s[6:7], s27, v3 src0_sel:BYTE_0 src1_sel:DWORD
	s_mov_b64 s[20:21], 0
	s_and_b64 vcc, exec, s[6:7]
	s_cbranch_vccz .LBB7_1889
; %bb.1881:
	global_load_dword v3, v[24:25], off
	s_mov_b64 s[6:7], 0
	s_mov_b64 s[18:19], -1
	s_waitcnt vmcnt(0)
	v_lshlrev_b32_e32 v3, 16, v3
	v_cvt_f64_f32_e32 v[14:15], v3
	s_branch .LBB7_1890
.LBB7_1882:
	s_mov_b64 s[18:19], 0
                                        ; implicit-def: $vgpr14_vgpr15
	s_cbranch_execnz .LBB7_1956
.LBB7_1883:
	s_andn2_b64 vcc, exec, s[18:19]
	s_cbranch_vccz .LBB7_2004
	s_branch .LBB7_2950
.LBB7_1884:
	s_mov_b64 s[20:21], -1
	s_mov_b64 s[18:19], 0
	s_mov_b64 s[6:7], 0
                                        ; implicit-def: $vgpr14_vgpr15
	s_branch .LBB7_1919
.LBB7_1885:
	s_mov_b64 s[20:21], -1
	s_mov_b64 s[18:19], 0
	s_mov_b64 s[6:7], 0
                                        ; implicit-def: $vgpr14_vgpr15
	s_branch .LBB7_1900
.LBB7_1886:
	s_mov_b64 s[20:21], -1
	s_mov_b64 s[18:19], 0
	s_mov_b64 s[6:7], 0
                                        ; implicit-def: $vgpr14_vgpr15
	s_branch .LBB7_1895
.LBB7_1887:
	s_trap 2
	s_or_b64 s[4:5], s[4:5], exec
                                        ; implicit-def: $vgpr12_vgpr13
	s_cbranch_execz .LBB7_1826
	s_branch .LBB7_1827
.LBB7_1888:
	s_mov_b64 s[20:21], -1
	s_mov_b64 s[18:19], 0
	s_mov_b64 s[6:7], 0
                                        ; implicit-def: $vgpr14_vgpr15
	s_branch .LBB7_1890
.LBB7_1889:
	s_mov_b64 s[6:7], -1
                                        ; implicit-def: $vgpr14_vgpr15
	s_mov_b64 s[18:19], 0
.LBB7_1890:
	s_and_b64 vcc, exec, s[20:21]
	s_cbranch_vccz .LBB7_1894
; %bb.1891:
	v_mov_b32_e32 v3, 44
	v_cmp_eq_u16_sdwa s[6:7], s27, v3 src0_sel:BYTE_0 src1_sel:DWORD
	s_and_b64 vcc, exec, s[6:7]
	s_cbranch_vccz .LBB7_1893
; %bb.1892:
	global_load_ubyte v3, v[24:25], off
	s_movk_i32 s18, 0xff
	v_bfrev_b32_e32 v5, 4
	v_mov_b32_e32 v7, 0x7ff80000
	v_bfrev_b32_e32 v9, 28
	s_mov_b64 s[6:7], 0
	s_waitcnt vmcnt(0)
	v_lshlrev_b32_e32 v11, 23, v3
	v_cvt_f64_f32_e32 v[14:15], v11
	v_cmp_ne_u32_e32 vcc, s18, v3
	v_cndmask_b32_e32 v5, v5, v14, vcc
	v_cndmask_b32_e32 v7, v7, v15, vcc
	v_cmp_ne_u32_e32 vcc, 0, v3
	v_cndmask_b32_e32 v15, v9, v7, vcc
	v_cndmask_b32_e32 v14, 0, v5, vcc
	s_mov_b64 s[18:19], -1
	s_branch .LBB7_1894
.LBB7_1893:
	s_mov_b64 s[6:7], -1
                                        ; implicit-def: $vgpr14_vgpr15
.LBB7_1894:
	s_mov_b64 s[20:21], 0
.LBB7_1895:
	s_and_b64 vcc, exec, s[20:21]
	s_cbranch_vccz .LBB7_1899
; %bb.1896:
	v_mov_b32_e32 v3, 29
	v_cmp_eq_u16_sdwa s[6:7], s27, v3 src0_sel:BYTE_0 src1_sel:DWORD
	s_and_b64 vcc, exec, s[6:7]
	s_cbranch_vccz .LBB7_1898
; %bb.1897:
	global_load_dwordx2 v[14:15], v[24:25], off
	s_mov_b64 s[6:7], 0
	s_mov_b64 s[18:19], -1
	s_mov_b64 s[20:21], 0
	s_waitcnt vmcnt(0)
	v_cvt_f64_u32_e32 v[26:27], v15
	v_cvt_f64_u32_e32 v[14:15], v14
	v_ldexp_f64 v[26:27], v[26:27], 32
	v_add_f64 v[14:15], v[26:27], v[14:15]
	s_branch .LBB7_1900
.LBB7_1898:
	s_mov_b64 s[6:7], -1
                                        ; implicit-def: $vgpr14_vgpr15
.LBB7_1899:
	s_mov_b64 s[20:21], 0
.LBB7_1900:
	s_and_b64 vcc, exec, s[20:21]
	s_cbranch_vccz .LBB7_1918
; %bb.1901:
	v_mov_b32_e32 v3, 27
	v_cmp_lt_i16_sdwa s[18:19], s27, v3 src0_sel:BYTE_0 src1_sel:DWORD
	s_and_b64 vcc, exec, s[18:19]
	s_cbranch_vccnz .LBB7_1904
; %bb.1902:
	v_cmp_gt_i16_sdwa s[18:19], s27, v3 src0_sel:BYTE_0 src1_sel:DWORD
	s_and_b64 vcc, exec, s[18:19]
	s_cbranch_vccz .LBB7_1905
; %bb.1903:
	global_load_dword v3, v[24:25], off
	s_mov_b64 s[18:19], 0
	s_waitcnt vmcnt(0)
	v_cvt_f64_u32_e32 v[14:15], v3
	s_branch .LBB7_1906
.LBB7_1904:
	s_mov_b64 s[18:19], -1
                                        ; implicit-def: $vgpr14_vgpr15
	s_branch .LBB7_1909
.LBB7_1905:
	s_mov_b64 s[18:19], -1
                                        ; implicit-def: $vgpr14_vgpr15
.LBB7_1906:
	s_andn2_b64 vcc, exec, s[18:19]
	s_cbranch_vccnz .LBB7_1908
; %bb.1907:
	global_load_ushort v3, v[24:25], off
	s_waitcnt vmcnt(0)
	v_cvt_f64_u32_e32 v[14:15], v3
.LBB7_1908:
	s_mov_b64 s[18:19], 0
.LBB7_1909:
	s_andn2_b64 vcc, exec, s[18:19]
	s_cbranch_vccnz .LBB7_1917
; %bb.1910:
	global_load_ubyte v3, v[24:25], off
	s_movk_i32 s18, 0x7f
                                        ; implicit-def: $sgpr20_sgpr21
	s_waitcnt vmcnt(0)
	v_cmp_lt_i16_e32 vcc, s18, v3
	s_mov_b64 s[18:19], 0
	s_and_saveexec_b64 s[22:23], vcc
	s_xor_b64 s[22:23], exec, s[22:23]
	s_cbranch_execz .LBB7_1931
; %bb.1911:
	s_movk_i32 s18, 0x80
	v_cmp_eq_u16_e32 vcc, s18, v3
	s_mov_b64 s[24:25], -1
                                        ; implicit-def: $sgpr20_sgpr21
	s_and_saveexec_b64 s[18:19], vcc
; %bb.1912:
	s_mov_b32 s21, 0x7ff80000
	s_brev_b32 s20, 4
	s_xor_b64 s[24:25], exec, -1
; %bb.1913:
	s_or_b64 exec, exec, s[18:19]
	s_and_b64 s[18:19], s[24:25], exec
	s_or_saveexec_b64 s[22:23], s[22:23]
	v_pk_mov_b32 v[14:15], s[20:21], s[20:21] op_sel:[0,1]
	s_xor_b64 exec, exec, s[22:23]
	s_cbranch_execnz .LBB7_1932
.LBB7_1914:
	s_or_b64 exec, exec, s[22:23]
	s_and_saveexec_b64 s[20:21], s[18:19]
	s_cbranch_execz .LBB7_1916
.LBB7_1915:
	v_lshlrev_b32_e32 v5, 24, v3
	v_and_b32_e32 v3, 0xffff, v3
	v_and_b32_e32 v7, 7, v3
	v_ffbh_u32_e32 v11, v7
	v_min_u32_e32 v11, 32, v11
	v_subrev_u32_e32 v14, 28, v11
	v_bfe_u32 v9, v3, 3, 4
	v_lshlrev_b32_e32 v3, v14, v3
	v_sub_u32_e32 v11, 29, v11
	v_and_b32_e32 v3, 7, v3
	v_cmp_eq_u32_e32 vcc, 0, v9
	v_cndmask_b32_e32 v9, v9, v11, vcc
	v_cndmask_b32_e32 v3, v7, v3, vcc
	v_mov_b32_e32 v7, 0x3b800000
	v_lshlrev_b32_e32 v3, 20, v3
	v_and_b32_e32 v5, 0x80000000, v5
	v_lshl_add_u32 v7, v9, 23, v7
	v_or3_b32 v3, v5, v7, v3
	v_cvt_f64_f32_e32 v[14:15], v3
.LBB7_1916:
	s_or_b64 exec, exec, s[20:21]
.LBB7_1917:
	s_mov_b64 s[18:19], -1
.LBB7_1918:
	s_mov_b64 s[20:21], 0
.LBB7_1919:
	s_and_b64 vcc, exec, s[20:21]
	s_cbranch_vccz .LBB7_1952
; %bb.1920:
	v_mov_b32_e32 v3, 22
	v_cmp_gt_i16_sdwa s[16:17], s27, v3 src0_sel:BYTE_0 src1_sel:DWORD
	s_and_b64 vcc, exec, s[16:17]
	s_cbranch_vccz .LBB7_1930
; %bb.1921:
	v_mov_b32_e32 v3, 24
	v_cmp_lt_i16_sdwa s[16:17], s27, v3 src0_sel:BYTE_0 src1_sel:DWORD
	s_and_b64 vcc, exec, s[16:17]
	s_cbranch_vccnz .LBB7_1933
; %bb.1922:
	v_cmp_gt_i16_sdwa s[16:17], s27, v3 src0_sel:BYTE_0 src1_sel:DWORD
	s_and_b64 vcc, exec, s[16:17]
	s_cbranch_vccz .LBB7_1934
; %bb.1923:
	global_load_ubyte v3, v[24:25], off
	s_movk_i32 s16, 0x7f
                                        ; implicit-def: $sgpr18_sgpr19
	s_waitcnt vmcnt(0)
	v_cmp_lt_i16_e32 vcc, s16, v3
	s_mov_b64 s[16:17], 0
	s_and_saveexec_b64 s[20:21], vcc
	s_xor_b64 s[20:21], exec, s[20:21]
	s_cbranch_execz .LBB7_1946
; %bb.1924:
	s_movk_i32 s16, 0x80
	v_cmp_eq_u16_e32 vcc, s16, v3
	s_mov_b64 s[22:23], -1
                                        ; implicit-def: $sgpr18_sgpr19
	s_and_saveexec_b64 s[16:17], vcc
; %bb.1925:
	s_mov_b32 s19, 0x7ff80000
	s_brev_b32 s18, 4
	s_xor_b64 s[22:23], exec, -1
; %bb.1926:
	s_or_b64 exec, exec, s[16:17]
	s_and_b64 s[16:17], s[22:23], exec
	s_or_saveexec_b64 s[20:21], s[20:21]
	v_pk_mov_b32 v[14:15], s[18:19], s[18:19] op_sel:[0,1]
	s_xor_b64 exec, exec, s[20:21]
	s_cbranch_execnz .LBB7_1947
.LBB7_1927:
	s_or_b64 exec, exec, s[20:21]
	s_and_saveexec_b64 s[18:19], s[16:17]
	s_cbranch_execz .LBB7_1929
.LBB7_1928:
	v_lshlrev_b32_e32 v5, 24, v3
	v_and_b32_e32 v3, 0xffff, v3
	v_and_b32_e32 v7, 3, v3
	v_ffbh_u32_e32 v11, v7
	v_min_u32_e32 v11, 32, v11
	v_subrev_u32_e32 v14, 29, v11
	v_bfe_u32 v9, v3, 2, 5
	v_lshlrev_b32_e32 v3, v14, v3
	v_sub_u32_e32 v11, 30, v11
	v_and_b32_e32 v3, 3, v3
	v_cmp_eq_u32_e32 vcc, 0, v9
	v_cndmask_b32_e32 v9, v9, v11, vcc
	v_cndmask_b32_e32 v3, v7, v3, vcc
	v_mov_b32_e32 v7, 0x37800000
	v_lshlrev_b32_e32 v3, 21, v3
	v_and_b32_e32 v5, 0x80000000, v5
	v_lshl_add_u32 v7, v9, 23, v7
	v_or3_b32 v3, v5, v7, v3
	v_cvt_f64_f32_e32 v[14:15], v3
.LBB7_1929:
	s_or_b64 exec, exec, s[18:19]
	s_mov_b64 s[16:17], 0
	s_branch .LBB7_1935
.LBB7_1930:
	s_mov_b64 s[16:17], -1
                                        ; implicit-def: $vgpr14_vgpr15
	s_branch .LBB7_1941
.LBB7_1931:
	s_or_saveexec_b64 s[22:23], s[22:23]
	v_pk_mov_b32 v[14:15], s[20:21], s[20:21] op_sel:[0,1]
	s_xor_b64 exec, exec, s[22:23]
	s_cbranch_execz .LBB7_1914
.LBB7_1932:
	v_cmp_ne_u16_e32 vcc, 0, v3
	s_andn2_b64 s[18:19], s[18:19], exec
	s_and_b64 s[20:21], vcc, exec
	v_pk_mov_b32 v[14:15], 0, 0
	s_or_b64 s[18:19], s[18:19], s[20:21]
	s_or_b64 exec, exec, s[22:23]
	s_and_saveexec_b64 s[20:21], s[18:19]
	s_cbranch_execnz .LBB7_1915
	s_branch .LBB7_1916
.LBB7_1933:
	s_mov_b64 s[16:17], -1
                                        ; implicit-def: $vgpr14_vgpr15
	s_branch .LBB7_1938
.LBB7_1934:
	s_mov_b64 s[16:17], -1
                                        ; implicit-def: $vgpr14_vgpr15
.LBB7_1935:
	s_and_b64 vcc, exec, s[16:17]
	s_cbranch_vccz .LBB7_1937
; %bb.1936:
	global_load_ubyte v3, v[24:25], off
	s_mov_b32 s16, 0x7f800000
	s_waitcnt vmcnt(0)
	v_lshlrev_b32_e32 v3, 24, v3
	v_and_b32_e32 v5, 0x7f000000, v3
	v_ffbh_u32_e32 v7, v5
	v_min_u32_e32 v7, 32, v7
	v_sub_u32_e64 v7, v7, 4 clamp
	v_lshlrev_b32_e32 v11, v7, v5
	v_lshlrev_b32_e32 v7, 23, v7
	v_lshrrev_b32_e32 v11, 4, v11
	v_add_u32_e32 v9, 0x1000000, v5
	v_sub_u32_e32 v7, v11, v7
	v_ashrrev_i32_e32 v9, 8, v9
	v_add_u32_e32 v7, 0x3c000000, v7
	v_and_or_b32 v7, v9, s16, v7
	v_cmp_ne_u32_e32 vcc, 0, v5
	v_cndmask_b32_e32 v5, 0, v7, vcc
	s_brev_b32 s16, 1
	v_and_or_b32 v3, v3, s16, v5
	v_cvt_f64_f32_e32 v[14:15], v3
.LBB7_1937:
	s_mov_b64 s[16:17], 0
.LBB7_1938:
	s_andn2_b64 vcc, exec, s[16:17]
	s_cbranch_vccnz .LBB7_1940
; %bb.1939:
	global_load_ubyte v3, v[24:25], off
	s_movk_i32 s16, 0x7f00
	s_brev_b32 s17, 16
	s_waitcnt vmcnt(0)
	v_lshlrev_b16_e32 v5, 8, v3
	v_lshlrev_b32_e32 v3, 25, v3
	v_lshrrev_b32_e32 v7, 4, v3
	v_and_or_b32 v9, v5, s16, 0.5
	v_or_b32_e32 v7, 0x70000000, v7
	v_add_f32_e32 v9, -0.5, v9
	v_mul_f32_e32 v7, 0x7800000, v7
	v_cmp_gt_u32_e32 vcc, s17, v3
	v_bfe_i32 v5, v5, 0, 16
	v_cndmask_b32_e32 v3, v7, v9, vcc
	s_brev_b32 s16, 1
	v_and_or_b32 v3, v5, s16, v3
	v_cvt_f64_f32_e32 v[14:15], v3
.LBB7_1940:
	s_mov_b64 s[16:17], 0
	s_mov_b64 s[18:19], -1
.LBB7_1941:
	s_andn2_b64 vcc, exec, s[16:17]
	s_mov_b64 s[16:17], 0
	s_cbranch_vccnz .LBB7_1952
; %bb.1942:
	v_mov_b32_e32 v3, 14
	v_cmp_gt_i16_sdwa s[16:17], s27, v3 src0_sel:BYTE_0 src1_sel:DWORD
	s_and_b64 vcc, exec, s[16:17]
	s_cbranch_vccz .LBB7_1945
; %bb.1943:
	v_mov_b32_e32 v3, 15
	v_cmp_eq_u16_sdwa s[6:7], s27, v3 src0_sel:BYTE_0 src1_sel:DWORD
	s_and_b64 vcc, exec, s[6:7]
	s_cbranch_vccz .LBB7_1948
; %bb.1944:
	global_load_ushort v3, v[24:25], off
	s_mov_b64 s[6:7], 0
	s_mov_b64 s[18:19], -1
	s_waitcnt vmcnt(0)
	v_lshlrev_b32_e32 v3, 16, v3
	v_cvt_f64_f32_e32 v[14:15], v3
	s_branch .LBB7_1949
.LBB7_1945:
	s_mov_b64 s[20:21], -1
                                        ; implicit-def: $vgpr14_vgpr15
	s_branch .LBB7_1950
.LBB7_1946:
	s_or_saveexec_b64 s[20:21], s[20:21]
	v_pk_mov_b32 v[14:15], s[18:19], s[18:19] op_sel:[0,1]
	s_xor_b64 exec, exec, s[20:21]
	s_cbranch_execz .LBB7_1927
.LBB7_1947:
	v_cmp_ne_u16_e32 vcc, 0, v3
	s_andn2_b64 s[16:17], s[16:17], exec
	s_and_b64 s[18:19], vcc, exec
	v_pk_mov_b32 v[14:15], 0, 0
	s_or_b64 s[16:17], s[16:17], s[18:19]
	s_or_b64 exec, exec, s[20:21]
	s_and_saveexec_b64 s[18:19], s[16:17]
	s_cbranch_execnz .LBB7_1928
	s_branch .LBB7_1929
.LBB7_1948:
	s_mov_b64 s[6:7], -1
                                        ; implicit-def: $vgpr14_vgpr15
.LBB7_1949:
	s_mov_b64 s[20:21], 0
.LBB7_1950:
	s_mov_b64 s[16:17], 0
	s_and_b64 vcc, exec, s[20:21]
	s_cbranch_vccz .LBB7_1952
; %bb.1951:
	v_mov_b32_e32 v3, 11
	v_cmp_ne_u16_sdwa s[6:7], s27, v3 src0_sel:BYTE_0 src1_sel:DWORD
	s_mov_b64 s[16:17], -1
                                        ; implicit-def: $vgpr14_vgpr15
.LBB7_1952:
	s_and_b64 vcc, exec, s[6:7]
	s_cbranch_vccnz .LBB7_2015
; %bb.1953:
	s_andn2_b64 vcc, exec, s[16:17]
	s_cbranch_vccnz .LBB7_1955
.LBB7_1954:
	global_load_ubyte v3, v[24:25], off
	v_mov_b32_e32 v5, 0x3ff00000
	v_mov_b32_e32 v14, 0
	s_mov_b64 s[18:19], -1
	s_waitcnt vmcnt(0)
	v_cmp_ne_u16_e32 vcc, 0, v3
	v_cndmask_b32_e32 v15, 0, v5, vcc
.LBB7_1955:
	s_branch .LBB7_1883
.LBB7_1956:
	v_mov_b32_e32 v3, 5
	v_cmp_lt_i16_sdwa s[6:7], s27, v3 src0_sel:BYTE_0 src1_sel:DWORD
	s_and_b64 vcc, exec, s[6:7]
	s_cbranch_vccnz .LBB7_1961
; %bb.1957:
	v_mov_b32_e32 v3, 8
	v_cmp_lt_i16_sdwa s[6:7], s27, v3 src0_sel:BYTE_0 src1_sel:DWORD
	s_and_b64 vcc, exec, s[6:7]
	s_cbranch_vccnz .LBB7_1962
; %bb.1958:
	;; [unrolled: 5-line block ×3, first 2 shown]
	v_cmp_gt_i16_sdwa s[6:7], s27, v3 src0_sel:BYTE_0 src1_sel:DWORD
	s_and_b64 vcc, exec, s[6:7]
	s_cbranch_vccz .LBB7_1964
; %bb.1960:
	global_load_dwordx2 v[14:15], v[24:25], off
	s_mov_b64 s[6:7], 0
	s_branch .LBB7_1965
.LBB7_1961:
	s_mov_b64 s[6:7], -1
                                        ; implicit-def: $vgpr14_vgpr15
	s_branch .LBB7_1983
.LBB7_1962:
	s_mov_b64 s[6:7], -1
                                        ; implicit-def: $vgpr14_vgpr15
	s_branch .LBB7_1971
.LBB7_1963:
	s_mov_b64 s[6:7], -1
                                        ; implicit-def: $vgpr14_vgpr15
	s_branch .LBB7_1968
.LBB7_1964:
	s_mov_b64 s[6:7], -1
                                        ; implicit-def: $vgpr14_vgpr15
.LBB7_1965:
	s_andn2_b64 vcc, exec, s[6:7]
	s_cbranch_vccnz .LBB7_1967
; %bb.1966:
	global_load_dword v3, v[24:25], off
	s_waitcnt vmcnt(0)
	v_cvt_f64_f32_e32 v[14:15], v3
.LBB7_1967:
	s_mov_b64 s[6:7], 0
.LBB7_1968:
	s_andn2_b64 vcc, exec, s[6:7]
	s_cbranch_vccnz .LBB7_1970
; %bb.1969:
	global_load_dword v3, v[24:25], off
	s_waitcnt vmcnt(0)
	v_cvt_f32_f16_e32 v3, v3
	v_cvt_f64_f32_e32 v[14:15], v3
.LBB7_1970:
	s_mov_b64 s[6:7], 0
.LBB7_1971:
	s_andn2_b64 vcc, exec, s[6:7]
	s_cbranch_vccnz .LBB7_1982
; %bb.1972:
	v_mov_b32_e32 v3, 6
	v_cmp_lt_i16_sdwa s[6:7], s27, v3 src0_sel:BYTE_0 src1_sel:DWORD
	s_and_b64 vcc, exec, s[6:7]
	s_cbranch_vccnz .LBB7_1975
; %bb.1973:
	v_cmp_gt_i16_sdwa s[6:7], s27, v3 src0_sel:BYTE_0 src1_sel:DWORD
	s_and_b64 vcc, exec, s[6:7]
	s_cbranch_vccz .LBB7_1976
; %bb.1974:
	global_load_dwordx2 v[14:15], v[24:25], off
	s_mov_b64 s[6:7], 0
	s_branch .LBB7_1977
.LBB7_1975:
	s_mov_b64 s[6:7], -1
                                        ; implicit-def: $vgpr14_vgpr15
	s_branch .LBB7_1980
.LBB7_1976:
	s_mov_b64 s[6:7], -1
                                        ; implicit-def: $vgpr14_vgpr15
.LBB7_1977:
	s_andn2_b64 vcc, exec, s[6:7]
	s_cbranch_vccnz .LBB7_1979
; %bb.1978:
	global_load_dword v3, v[24:25], off
	s_waitcnt vmcnt(0)
	v_cvt_f64_f32_e32 v[14:15], v3
.LBB7_1979:
	s_mov_b64 s[6:7], 0
.LBB7_1980:
	s_andn2_b64 vcc, exec, s[6:7]
	s_cbranch_vccnz .LBB7_1982
; %bb.1981:
	global_load_ushort v3, v[24:25], off
	s_waitcnt vmcnt(0)
	v_cvt_f32_f16_e32 v3, v3
	v_cvt_f64_f32_e32 v[14:15], v3
.LBB7_1982:
	s_mov_b64 s[6:7], 0
.LBB7_1983:
	s_andn2_b64 vcc, exec, s[6:7]
	s_cbranch_vccnz .LBB7_2003
; %bb.1984:
	v_mov_b32_e32 v3, 2
	v_cmp_lt_i16_sdwa s[6:7], s27, v3 src0_sel:BYTE_0 src1_sel:DWORD
	s_and_b64 vcc, exec, s[6:7]
	s_cbranch_vccnz .LBB7_1988
; %bb.1985:
	v_mov_b32_e32 v3, 3
	v_cmp_lt_i16_sdwa s[6:7], s27, v3 src0_sel:BYTE_0 src1_sel:DWORD
	s_and_b64 vcc, exec, s[6:7]
	s_cbranch_vccnz .LBB7_1989
; %bb.1986:
	v_cmp_gt_i16_sdwa s[6:7], s27, v3 src0_sel:BYTE_0 src1_sel:DWORD
	s_and_b64 vcc, exec, s[6:7]
	s_cbranch_vccz .LBB7_1990
; %bb.1987:
	global_load_dwordx2 v[14:15], v[24:25], off
	s_mov_b64 s[6:7], 0
	s_waitcnt vmcnt(0)
	v_cvt_f64_i32_e32 v[26:27], v15
	v_cvt_f64_u32_e32 v[14:15], v14
	v_ldexp_f64 v[26:27], v[26:27], 32
	v_add_f64 v[14:15], v[26:27], v[14:15]
	s_branch .LBB7_1991
.LBB7_1988:
	s_mov_b64 s[6:7], -1
                                        ; implicit-def: $vgpr14_vgpr15
	s_branch .LBB7_1997
.LBB7_1989:
	s_mov_b64 s[6:7], -1
                                        ; implicit-def: $vgpr14_vgpr15
	s_branch .LBB7_1994
.LBB7_1990:
	s_mov_b64 s[6:7], -1
                                        ; implicit-def: $vgpr14_vgpr15
.LBB7_1991:
	s_andn2_b64 vcc, exec, s[6:7]
	s_cbranch_vccnz .LBB7_1993
; %bb.1992:
	global_load_dword v3, v[24:25], off
	s_waitcnt vmcnt(0)
	v_cvt_f64_i32_e32 v[14:15], v3
.LBB7_1993:
	s_mov_b64 s[6:7], 0
.LBB7_1994:
	s_andn2_b64 vcc, exec, s[6:7]
	s_cbranch_vccnz .LBB7_1996
; %bb.1995:
	global_load_sshort v3, v[24:25], off
	s_waitcnt vmcnt(0)
	v_cvt_f64_i32_e32 v[14:15], v3
.LBB7_1996:
	s_mov_b64 s[6:7], 0
.LBB7_1997:
	s_andn2_b64 vcc, exec, s[6:7]
	s_cbranch_vccnz .LBB7_2003
; %bb.1998:
	v_mov_b32_e32 v3, 0
	v_cmp_gt_i16_sdwa s[6:7], s27, v3 src0_sel:BYTE_0 src1_sel:DWORD
	s_and_b64 vcc, exec, s[6:7]
	s_cbranch_vccz .LBB7_2000
; %bb.1999:
	global_load_sbyte v3, v[24:25], off
	s_mov_b64 s[6:7], 0
	s_waitcnt vmcnt(0)
	v_cvt_f64_i32_e32 v[14:15], v3
	s_branch .LBB7_2001
.LBB7_2000:
	s_mov_b64 s[6:7], -1
                                        ; implicit-def: $vgpr14_vgpr15
.LBB7_2001:
	s_andn2_b64 vcc, exec, s[6:7]
	s_cbranch_vccnz .LBB7_2003
; %bb.2002:
	global_load_ubyte v3, v[24:25], off
	s_waitcnt vmcnt(0)
	v_cvt_f64_u32_e32 v[14:15], v3
.LBB7_2003:
.LBB7_2004:
	v_mov_b32_e32 v3, s1
	v_add_co_u32_e32 v24, vcc, s0, v18
	v_addc_co_u32_e32 v25, vcc, 0, v3, vcc
	s_and_b64 vcc, exec, s[2:3]
	s_cbranch_vccnz .LBB7_2011
; %bb.2005:
	v_cmp_gt_i16_e64 s[6:7], s28, 25
	s_mov_b64 s[16:17], 0
	s_and_b64 vcc, exec, s[6:7]
	s_cbranch_vccz .LBB7_2012
; %bb.2006:
	v_cmp_gt_i16_e64 s[6:7], s28, 28
	s_and_b64 vcc, exec, s[6:7]
	s_cbranch_vccz .LBB7_2013
; %bb.2007:
	v_cmp_gt_i16_e64 s[6:7], s28, 43
	s_and_b64 vcc, exec, s[6:7]
	s_cbranch_vccz .LBB7_2014
; %bb.2008:
	v_cmp_gt_i16_e64 s[6:7], s28, 45
	s_and_b64 vcc, exec, s[6:7]
	s_cbranch_vccz .LBB7_2016
; %bb.2009:
	v_cmp_eq_u16_e64 s[6:7], s28, 46
	s_mov_b64 s[20:21], 0
	s_and_b64 vcc, exec, s[6:7]
	s_cbranch_vccz .LBB7_2017
; %bb.2010:
	global_load_dword v3, v[24:25], off
	s_mov_b64 s[6:7], 0
	s_mov_b64 s[18:19], -1
	s_waitcnt vmcnt(0)
	v_lshlrev_b32_e32 v3, 16, v3
	v_cvt_f64_f32_e32 v[18:19], v3
	s_branch .LBB7_2018
.LBB7_2011:
	s_mov_b64 s[6:7], -1
	s_mov_b64 s[18:19], 0
                                        ; implicit-def: $vgpr18_vgpr19
	s_branch .LBB7_2084
.LBB7_2012:
	s_mov_b64 s[20:21], -1
	s_mov_b64 s[18:19], 0
	s_mov_b64 s[6:7], 0
                                        ; implicit-def: $vgpr18_vgpr19
	s_branch .LBB7_2047
.LBB7_2013:
	s_mov_b64 s[20:21], -1
	s_mov_b64 s[18:19], 0
	s_mov_b64 s[6:7], 0
                                        ; implicit-def: $vgpr18_vgpr19
	s_branch .LBB7_2028
.LBB7_2014:
	s_mov_b64 s[20:21], -1
	s_mov_b64 s[18:19], 0
	s_mov_b64 s[6:7], 0
                                        ; implicit-def: $vgpr18_vgpr19
	s_branch .LBB7_2023
.LBB7_2015:
	s_trap 2
	s_or_b64 s[4:5], s[4:5], exec
                                        ; implicit-def: $vgpr14_vgpr15
	s_cbranch_execz .LBB7_1954
	s_branch .LBB7_1955
.LBB7_2016:
	s_mov_b64 s[20:21], -1
	s_mov_b64 s[18:19], 0
	s_mov_b64 s[6:7], 0
                                        ; implicit-def: $vgpr18_vgpr19
	s_branch .LBB7_2018
.LBB7_2017:
	s_mov_b64 s[6:7], -1
                                        ; implicit-def: $vgpr18_vgpr19
	s_mov_b64 s[18:19], 0
.LBB7_2018:
	s_and_b64 vcc, exec, s[20:21]
	s_cbranch_vccz .LBB7_2022
; %bb.2019:
	v_cmp_eq_u16_e64 s[6:7], s28, 44
	s_and_b64 vcc, exec, s[6:7]
	s_cbranch_vccz .LBB7_2021
; %bb.2020:
	global_load_ubyte v3, v[24:25], off
	s_movk_i32 s18, 0xff
	v_bfrev_b32_e32 v5, 4
	v_mov_b32_e32 v7, 0x7ff80000
	v_bfrev_b32_e32 v9, 28
	s_mov_b64 s[6:7], 0
	s_waitcnt vmcnt(0)
	v_lshlrev_b32_e32 v11, 23, v3
	v_cvt_f64_f32_e32 v[18:19], v11
	v_cmp_ne_u32_e32 vcc, s18, v3
	v_cndmask_b32_e32 v5, v5, v18, vcc
	v_cndmask_b32_e32 v7, v7, v19, vcc
	v_cmp_ne_u32_e32 vcc, 0, v3
	v_cndmask_b32_e32 v19, v9, v7, vcc
	v_cndmask_b32_e32 v18, 0, v5, vcc
	s_mov_b64 s[18:19], -1
	s_branch .LBB7_2022
.LBB7_2021:
	s_mov_b64 s[6:7], -1
                                        ; implicit-def: $vgpr18_vgpr19
.LBB7_2022:
	s_mov_b64 s[20:21], 0
.LBB7_2023:
	s_and_b64 vcc, exec, s[20:21]
	s_cbranch_vccz .LBB7_2027
; %bb.2024:
	v_cmp_eq_u16_e64 s[6:7], s28, 29
	s_and_b64 vcc, exec, s[6:7]
	s_cbranch_vccz .LBB7_2026
; %bb.2025:
	global_load_dwordx2 v[18:19], v[24:25], off
	s_mov_b64 s[6:7], 0
	s_mov_b64 s[18:19], -1
	s_mov_b64 s[20:21], 0
	s_waitcnt vmcnt(0)
	v_cvt_f64_u32_e32 v[26:27], v19
	v_cvt_f64_u32_e32 v[18:19], v18
	v_ldexp_f64 v[26:27], v[26:27], 32
	v_add_f64 v[18:19], v[26:27], v[18:19]
	s_branch .LBB7_2028
.LBB7_2026:
	s_mov_b64 s[6:7], -1
                                        ; implicit-def: $vgpr18_vgpr19
.LBB7_2027:
	s_mov_b64 s[20:21], 0
.LBB7_2028:
	s_and_b64 vcc, exec, s[20:21]
	s_cbranch_vccz .LBB7_2046
; %bb.2029:
	v_cmp_lt_i16_e64 s[18:19], s28, 27
	s_and_b64 vcc, exec, s[18:19]
	s_cbranch_vccnz .LBB7_2032
; %bb.2030:
	v_cmp_gt_i16_e64 s[18:19], s28, 27
	s_and_b64 vcc, exec, s[18:19]
	s_cbranch_vccz .LBB7_2033
; %bb.2031:
	global_load_dword v3, v[24:25], off
	s_mov_b64 s[18:19], 0
	s_waitcnt vmcnt(0)
	v_cvt_f64_u32_e32 v[18:19], v3
	s_branch .LBB7_2034
.LBB7_2032:
	s_mov_b64 s[18:19], -1
                                        ; implicit-def: $vgpr18_vgpr19
	s_branch .LBB7_2037
.LBB7_2033:
	s_mov_b64 s[18:19], -1
                                        ; implicit-def: $vgpr18_vgpr19
.LBB7_2034:
	s_andn2_b64 vcc, exec, s[18:19]
	s_cbranch_vccnz .LBB7_2036
; %bb.2035:
	global_load_ushort v3, v[24:25], off
	s_waitcnt vmcnt(0)
	v_cvt_f64_u32_e32 v[18:19], v3
.LBB7_2036:
	s_mov_b64 s[18:19], 0
.LBB7_2037:
	s_andn2_b64 vcc, exec, s[18:19]
	s_cbranch_vccnz .LBB7_2045
; %bb.2038:
	global_load_ubyte v3, v[24:25], off
	s_movk_i32 s18, 0x7f
                                        ; implicit-def: $sgpr20_sgpr21
	s_waitcnt vmcnt(0)
	v_cmp_lt_i16_e32 vcc, s18, v3
	s_mov_b64 s[18:19], 0
	s_and_saveexec_b64 s[22:23], vcc
	s_xor_b64 s[22:23], exec, s[22:23]
	s_cbranch_execz .LBB7_2059
; %bb.2039:
	s_movk_i32 s18, 0x80
	v_cmp_eq_u16_e32 vcc, s18, v3
	s_mov_b64 s[24:25], -1
                                        ; implicit-def: $sgpr20_sgpr21
	s_and_saveexec_b64 s[18:19], vcc
; %bb.2040:
	s_mov_b32 s21, 0x7ff80000
	s_brev_b32 s20, 4
	s_xor_b64 s[24:25], exec, -1
; %bb.2041:
	s_or_b64 exec, exec, s[18:19]
	s_and_b64 s[18:19], s[24:25], exec
	s_or_saveexec_b64 s[22:23], s[22:23]
	v_pk_mov_b32 v[18:19], s[20:21], s[20:21] op_sel:[0,1]
	s_xor_b64 exec, exec, s[22:23]
	s_cbranch_execnz .LBB7_2060
.LBB7_2042:
	s_or_b64 exec, exec, s[22:23]
	s_and_saveexec_b64 s[20:21], s[18:19]
	s_cbranch_execz .LBB7_2044
.LBB7_2043:
	v_lshlrev_b32_e32 v5, 24, v3
	v_and_b32_e32 v3, 0xffff, v3
	v_and_b32_e32 v7, 7, v3
	v_ffbh_u32_e32 v11, v7
	v_min_u32_e32 v11, 32, v11
	v_subrev_u32_e32 v17, 28, v11
	v_bfe_u32 v9, v3, 3, 4
	v_lshlrev_b32_e32 v3, v17, v3
	v_sub_u32_e32 v11, 29, v11
	v_and_b32_e32 v3, 7, v3
	v_cmp_eq_u32_e32 vcc, 0, v9
	v_cndmask_b32_e32 v9, v9, v11, vcc
	v_cndmask_b32_e32 v3, v7, v3, vcc
	v_mov_b32_e32 v7, 0x3b800000
	v_lshlrev_b32_e32 v3, 20, v3
	v_and_b32_e32 v5, 0x80000000, v5
	v_lshl_add_u32 v7, v9, 23, v7
	v_or3_b32 v3, v5, v7, v3
	v_cvt_f64_f32_e32 v[18:19], v3
.LBB7_2044:
	s_or_b64 exec, exec, s[20:21]
.LBB7_2045:
	s_mov_b64 s[18:19], -1
.LBB7_2046:
	s_mov_b64 s[20:21], 0
.LBB7_2047:
	s_and_b64 vcc, exec, s[20:21]
	s_cbranch_vccz .LBB7_2080
; %bb.2048:
	v_cmp_gt_i16_e64 s[16:17], s28, 22
	s_and_b64 vcc, exec, s[16:17]
	s_cbranch_vccz .LBB7_2058
; %bb.2049:
	v_cmp_lt_i16_e64 s[16:17], s28, 24
	s_and_b64 vcc, exec, s[16:17]
	s_cbranch_vccnz .LBB7_2061
; %bb.2050:
	v_cmp_gt_i16_e64 s[16:17], s28, 24
	s_and_b64 vcc, exec, s[16:17]
	s_cbranch_vccz .LBB7_2062
; %bb.2051:
	global_load_ubyte v3, v[24:25], off
	s_movk_i32 s16, 0x7f
                                        ; implicit-def: $sgpr18_sgpr19
	s_waitcnt vmcnt(0)
	v_cmp_lt_i16_e32 vcc, s16, v3
	s_mov_b64 s[16:17], 0
	s_and_saveexec_b64 s[20:21], vcc
	s_xor_b64 s[20:21], exec, s[20:21]
	s_cbranch_execz .LBB7_2074
; %bb.2052:
	s_movk_i32 s16, 0x80
	v_cmp_eq_u16_e32 vcc, s16, v3
	s_mov_b64 s[22:23], -1
                                        ; implicit-def: $sgpr18_sgpr19
	s_and_saveexec_b64 s[16:17], vcc
; %bb.2053:
	s_mov_b32 s19, 0x7ff80000
	s_brev_b32 s18, 4
	s_xor_b64 s[22:23], exec, -1
; %bb.2054:
	s_or_b64 exec, exec, s[16:17]
	s_and_b64 s[16:17], s[22:23], exec
	s_or_saveexec_b64 s[20:21], s[20:21]
	v_pk_mov_b32 v[18:19], s[18:19], s[18:19] op_sel:[0,1]
	s_xor_b64 exec, exec, s[20:21]
	s_cbranch_execnz .LBB7_2075
.LBB7_2055:
	s_or_b64 exec, exec, s[20:21]
	s_and_saveexec_b64 s[18:19], s[16:17]
	s_cbranch_execz .LBB7_2057
.LBB7_2056:
	v_lshlrev_b32_e32 v5, 24, v3
	v_and_b32_e32 v3, 0xffff, v3
	v_and_b32_e32 v7, 3, v3
	v_ffbh_u32_e32 v11, v7
	v_min_u32_e32 v11, 32, v11
	v_subrev_u32_e32 v17, 29, v11
	v_bfe_u32 v9, v3, 2, 5
	v_lshlrev_b32_e32 v3, v17, v3
	v_sub_u32_e32 v11, 30, v11
	v_and_b32_e32 v3, 3, v3
	v_cmp_eq_u32_e32 vcc, 0, v9
	v_cndmask_b32_e32 v9, v9, v11, vcc
	v_cndmask_b32_e32 v3, v7, v3, vcc
	v_mov_b32_e32 v7, 0x37800000
	v_lshlrev_b32_e32 v3, 21, v3
	v_and_b32_e32 v5, 0x80000000, v5
	v_lshl_add_u32 v7, v9, 23, v7
	v_or3_b32 v3, v5, v7, v3
	v_cvt_f64_f32_e32 v[18:19], v3
.LBB7_2057:
	s_or_b64 exec, exec, s[18:19]
	s_mov_b64 s[16:17], 0
	s_branch .LBB7_2063
.LBB7_2058:
	s_mov_b64 s[16:17], -1
                                        ; implicit-def: $vgpr18_vgpr19
	s_branch .LBB7_2069
.LBB7_2059:
	s_or_saveexec_b64 s[22:23], s[22:23]
	v_pk_mov_b32 v[18:19], s[20:21], s[20:21] op_sel:[0,1]
	s_xor_b64 exec, exec, s[22:23]
	s_cbranch_execz .LBB7_2042
.LBB7_2060:
	v_cmp_ne_u16_e32 vcc, 0, v3
	s_andn2_b64 s[18:19], s[18:19], exec
	s_and_b64 s[20:21], vcc, exec
	v_pk_mov_b32 v[18:19], 0, 0
	s_or_b64 s[18:19], s[18:19], s[20:21]
	s_or_b64 exec, exec, s[22:23]
	s_and_saveexec_b64 s[20:21], s[18:19]
	s_cbranch_execnz .LBB7_2043
	s_branch .LBB7_2044
.LBB7_2061:
	s_mov_b64 s[16:17], -1
                                        ; implicit-def: $vgpr18_vgpr19
	s_branch .LBB7_2066
.LBB7_2062:
	s_mov_b64 s[16:17], -1
                                        ; implicit-def: $vgpr18_vgpr19
.LBB7_2063:
	s_and_b64 vcc, exec, s[16:17]
	s_cbranch_vccz .LBB7_2065
; %bb.2064:
	global_load_ubyte v3, v[24:25], off
	s_mov_b32 s16, 0x7f800000
	s_waitcnt vmcnt(0)
	v_lshlrev_b32_e32 v3, 24, v3
	v_and_b32_e32 v5, 0x7f000000, v3
	v_ffbh_u32_e32 v7, v5
	v_min_u32_e32 v7, 32, v7
	v_sub_u32_e64 v7, v7, 4 clamp
	v_lshlrev_b32_e32 v11, v7, v5
	v_lshlrev_b32_e32 v7, 23, v7
	v_lshrrev_b32_e32 v11, 4, v11
	v_add_u32_e32 v9, 0x1000000, v5
	v_sub_u32_e32 v7, v11, v7
	v_ashrrev_i32_e32 v9, 8, v9
	v_add_u32_e32 v7, 0x3c000000, v7
	v_and_or_b32 v7, v9, s16, v7
	v_cmp_ne_u32_e32 vcc, 0, v5
	v_cndmask_b32_e32 v5, 0, v7, vcc
	s_brev_b32 s16, 1
	v_and_or_b32 v3, v3, s16, v5
	v_cvt_f64_f32_e32 v[18:19], v3
.LBB7_2065:
	s_mov_b64 s[16:17], 0
.LBB7_2066:
	s_andn2_b64 vcc, exec, s[16:17]
	s_cbranch_vccnz .LBB7_2068
; %bb.2067:
	global_load_ubyte v3, v[24:25], off
	s_movk_i32 s16, 0x7f00
	s_brev_b32 s17, 16
	s_waitcnt vmcnt(0)
	v_lshlrev_b16_e32 v5, 8, v3
	v_lshlrev_b32_e32 v3, 25, v3
	v_lshrrev_b32_e32 v7, 4, v3
	v_and_or_b32 v9, v5, s16, 0.5
	v_or_b32_e32 v7, 0x70000000, v7
	v_add_f32_e32 v9, -0.5, v9
	v_mul_f32_e32 v7, 0x7800000, v7
	v_cmp_gt_u32_e32 vcc, s17, v3
	v_bfe_i32 v5, v5, 0, 16
	v_cndmask_b32_e32 v3, v7, v9, vcc
	s_brev_b32 s16, 1
	v_and_or_b32 v3, v5, s16, v3
	v_cvt_f64_f32_e32 v[18:19], v3
.LBB7_2068:
	s_mov_b64 s[16:17], 0
	s_mov_b64 s[18:19], -1
.LBB7_2069:
	s_andn2_b64 vcc, exec, s[16:17]
	s_mov_b64 s[16:17], 0
	s_cbranch_vccnz .LBB7_2080
; %bb.2070:
	v_cmp_gt_i16_e64 s[16:17], s28, 14
	s_and_b64 vcc, exec, s[16:17]
	s_cbranch_vccz .LBB7_2073
; %bb.2071:
	v_cmp_eq_u16_e64 s[6:7], s28, 15
	s_and_b64 vcc, exec, s[6:7]
	s_cbranch_vccz .LBB7_2076
; %bb.2072:
	global_load_ushort v3, v[24:25], off
	s_mov_b64 s[6:7], 0
	s_mov_b64 s[18:19], -1
	s_waitcnt vmcnt(0)
	v_lshlrev_b32_e32 v3, 16, v3
	v_cvt_f64_f32_e32 v[18:19], v3
	s_branch .LBB7_2077
.LBB7_2073:
	s_mov_b64 s[20:21], -1
                                        ; implicit-def: $vgpr18_vgpr19
	s_branch .LBB7_2078
.LBB7_2074:
	s_or_saveexec_b64 s[20:21], s[20:21]
	v_pk_mov_b32 v[18:19], s[18:19], s[18:19] op_sel:[0,1]
	s_xor_b64 exec, exec, s[20:21]
	s_cbranch_execz .LBB7_2055
.LBB7_2075:
	v_cmp_ne_u16_e32 vcc, 0, v3
	s_andn2_b64 s[16:17], s[16:17], exec
	s_and_b64 s[18:19], vcc, exec
	v_pk_mov_b32 v[18:19], 0, 0
	s_or_b64 s[16:17], s[16:17], s[18:19]
	s_or_b64 exec, exec, s[20:21]
	s_and_saveexec_b64 s[18:19], s[16:17]
	s_cbranch_execnz .LBB7_2056
	s_branch .LBB7_2057
.LBB7_2076:
	s_mov_b64 s[6:7], -1
                                        ; implicit-def: $vgpr18_vgpr19
.LBB7_2077:
	s_mov_b64 s[20:21], 0
.LBB7_2078:
	s_mov_b64 s[16:17], 0
	s_and_b64 vcc, exec, s[20:21]
	s_cbranch_vccz .LBB7_2080
; %bb.2079:
	v_cmp_ne_u16_e64 s[6:7], s28, 11
	s_mov_b64 s[16:17], -1
                                        ; implicit-def: $vgpr18_vgpr19
.LBB7_2080:
	s_and_b64 vcc, exec, s[6:7]
	s_cbranch_vccnz .LBB7_2145
; %bb.2081:
	s_andn2_b64 vcc, exec, s[16:17]
	s_cbranch_vccnz .LBB7_2083
.LBB7_2082:
	global_load_ubyte v3, v[24:25], off
	v_mov_b32_e32 v5, 0x3ff00000
	v_mov_b32_e32 v18, 0
	s_mov_b64 s[18:19], -1
	s_waitcnt vmcnt(0)
	v_cmp_ne_u16_e32 vcc, 0, v3
	v_cndmask_b32_e32 v19, 0, v5, vcc
.LBB7_2083:
	s_mov_b64 s[6:7], 0
.LBB7_2084:
	s_and_b64 vcc, exec, s[6:7]
	s_cbranch_vccz .LBB7_2133
; %bb.2085:
	v_cmp_lt_i16_e64 s[6:7], s28, 5
	s_and_b64 vcc, exec, s[6:7]
	s_cbranch_vccnz .LBB7_2090
; %bb.2086:
	v_cmp_lt_i16_e64 s[6:7], s28, 8
	s_and_b64 vcc, exec, s[6:7]
	s_cbranch_vccnz .LBB7_2091
	;; [unrolled: 4-line block ×3, first 2 shown]
; %bb.2088:
	v_cmp_gt_i16_e64 s[6:7], s28, 9
	s_and_b64 vcc, exec, s[6:7]
	s_cbranch_vccz .LBB7_2093
; %bb.2089:
	global_load_dwordx2 v[18:19], v[24:25], off
	s_mov_b64 s[6:7], 0
	s_branch .LBB7_2094
.LBB7_2090:
	s_mov_b64 s[6:7], -1
                                        ; implicit-def: $vgpr18_vgpr19
	s_branch .LBB7_2112
.LBB7_2091:
	s_mov_b64 s[6:7], -1
                                        ; implicit-def: $vgpr18_vgpr19
	s_branch .LBB7_2100
.LBB7_2092:
	s_mov_b64 s[6:7], -1
                                        ; implicit-def: $vgpr18_vgpr19
	s_branch .LBB7_2097
.LBB7_2093:
	s_mov_b64 s[6:7], -1
                                        ; implicit-def: $vgpr18_vgpr19
.LBB7_2094:
	s_andn2_b64 vcc, exec, s[6:7]
	s_cbranch_vccnz .LBB7_2096
; %bb.2095:
	global_load_dword v3, v[24:25], off
	s_waitcnt vmcnt(0)
	v_cvt_f64_f32_e32 v[18:19], v3
.LBB7_2096:
	s_mov_b64 s[6:7], 0
.LBB7_2097:
	s_andn2_b64 vcc, exec, s[6:7]
	s_cbranch_vccnz .LBB7_2099
; %bb.2098:
	global_load_dword v3, v[24:25], off
	s_waitcnt vmcnt(0)
	v_cvt_f32_f16_e32 v3, v3
	v_cvt_f64_f32_e32 v[18:19], v3
.LBB7_2099:
	s_mov_b64 s[6:7], 0
.LBB7_2100:
	s_andn2_b64 vcc, exec, s[6:7]
	s_cbranch_vccnz .LBB7_2111
; %bb.2101:
	v_cmp_lt_i16_e64 s[6:7], s28, 6
	s_and_b64 vcc, exec, s[6:7]
	s_cbranch_vccnz .LBB7_2104
; %bb.2102:
	v_cmp_gt_i16_e64 s[6:7], s28, 6
	s_and_b64 vcc, exec, s[6:7]
	s_cbranch_vccz .LBB7_2105
; %bb.2103:
	global_load_dwordx2 v[18:19], v[24:25], off
	s_mov_b64 s[6:7], 0
	s_branch .LBB7_2106
.LBB7_2104:
	s_mov_b64 s[6:7], -1
                                        ; implicit-def: $vgpr18_vgpr19
	s_branch .LBB7_2109
.LBB7_2105:
	s_mov_b64 s[6:7], -1
                                        ; implicit-def: $vgpr18_vgpr19
.LBB7_2106:
	s_andn2_b64 vcc, exec, s[6:7]
	s_cbranch_vccnz .LBB7_2108
; %bb.2107:
	global_load_dword v3, v[24:25], off
	s_waitcnt vmcnt(0)
	v_cvt_f64_f32_e32 v[18:19], v3
.LBB7_2108:
	s_mov_b64 s[6:7], 0
.LBB7_2109:
	s_andn2_b64 vcc, exec, s[6:7]
	s_cbranch_vccnz .LBB7_2111
; %bb.2110:
	global_load_ushort v3, v[24:25], off
	s_waitcnt vmcnt(0)
	v_cvt_f32_f16_e32 v3, v3
	v_cvt_f64_f32_e32 v[18:19], v3
.LBB7_2111:
	s_mov_b64 s[6:7], 0
.LBB7_2112:
	s_andn2_b64 vcc, exec, s[6:7]
	s_cbranch_vccnz .LBB7_2132
; %bb.2113:
	v_cmp_lt_i16_e64 s[6:7], s28, 2
	s_and_b64 vcc, exec, s[6:7]
	s_cbranch_vccnz .LBB7_2117
; %bb.2114:
	v_cmp_lt_i16_e64 s[6:7], s28, 3
	s_and_b64 vcc, exec, s[6:7]
	s_cbranch_vccnz .LBB7_2118
; %bb.2115:
	v_cmp_gt_i16_e64 s[6:7], s28, 3
	s_and_b64 vcc, exec, s[6:7]
	s_cbranch_vccz .LBB7_2119
; %bb.2116:
	global_load_dwordx2 v[18:19], v[24:25], off
	s_mov_b64 s[6:7], 0
	s_waitcnt vmcnt(0)
	v_cvt_f64_i32_e32 v[26:27], v19
	v_cvt_f64_u32_e32 v[18:19], v18
	v_ldexp_f64 v[26:27], v[26:27], 32
	v_add_f64 v[18:19], v[26:27], v[18:19]
	s_branch .LBB7_2120
.LBB7_2117:
	s_mov_b64 s[6:7], -1
                                        ; implicit-def: $vgpr18_vgpr19
	s_branch .LBB7_2126
.LBB7_2118:
	s_mov_b64 s[6:7], -1
                                        ; implicit-def: $vgpr18_vgpr19
	s_branch .LBB7_2123
.LBB7_2119:
	s_mov_b64 s[6:7], -1
                                        ; implicit-def: $vgpr18_vgpr19
.LBB7_2120:
	s_andn2_b64 vcc, exec, s[6:7]
	s_cbranch_vccnz .LBB7_2122
; %bb.2121:
	global_load_dword v3, v[24:25], off
	s_waitcnt vmcnt(0)
	v_cvt_f64_i32_e32 v[18:19], v3
.LBB7_2122:
	s_mov_b64 s[6:7], 0
.LBB7_2123:
	s_andn2_b64 vcc, exec, s[6:7]
	s_cbranch_vccnz .LBB7_2125
; %bb.2124:
	global_load_sshort v3, v[24:25], off
	s_waitcnt vmcnt(0)
	v_cvt_f64_i32_e32 v[18:19], v3
.LBB7_2125:
	s_mov_b64 s[6:7], 0
.LBB7_2126:
	s_andn2_b64 vcc, exec, s[6:7]
	s_cbranch_vccnz .LBB7_2132
; %bb.2127:
	v_cmp_gt_i16_e64 s[6:7], s28, 0
	s_and_b64 vcc, exec, s[6:7]
	s_cbranch_vccz .LBB7_2129
; %bb.2128:
	global_load_sbyte v3, v[24:25], off
	s_mov_b64 s[6:7], 0
	s_waitcnt vmcnt(0)
	v_cvt_f64_i32_e32 v[18:19], v3
	s_branch .LBB7_2130
.LBB7_2129:
	s_mov_b64 s[6:7], -1
                                        ; implicit-def: $vgpr18_vgpr19
.LBB7_2130:
	s_andn2_b64 vcc, exec, s[6:7]
	s_cbranch_vccnz .LBB7_2132
; %bb.2131:
	global_load_ubyte v3, v[24:25], off
	s_waitcnt vmcnt(0)
	v_cvt_f64_u32_e32 v[18:19], v3
.LBB7_2132:
	s_mov_b64 s[18:19], -1
.LBB7_2133:
	s_andn2_b64 vcc, exec, s[18:19]
	s_cbranch_vccnz .LBB7_2950
; %bb.2134:
	v_mov_b32_e32 v3, s11
	v_add_co_u32_e32 v24, vcc, s10, v20
	v_addc_co_u32_e32 v25, vcc, 0, v3, vcc
	v_mov_b32_e32 v3, 11
	v_cmp_lt_i16_sdwa s[6:7], s27, v3 src0_sel:BYTE_0 src1_sel:DWORD
	s_and_b64 vcc, exec, s[6:7]
	s_cbranch_vccnz .LBB7_2141
; %bb.2135:
	v_mov_b32_e32 v3, 25
	v_cmp_gt_i16_sdwa s[6:7], s27, v3 src0_sel:BYTE_0 src1_sel:DWORD
	s_mov_b64 s[16:17], 0
	s_and_b64 vcc, exec, s[6:7]
	s_cbranch_vccz .LBB7_2142
; %bb.2136:
	v_mov_b32_e32 v3, 28
	v_cmp_gt_i16_sdwa s[6:7], s27, v3 src0_sel:BYTE_0 src1_sel:DWORD
	s_and_b64 vcc, exec, s[6:7]
	s_cbranch_vccz .LBB7_2143
; %bb.2137:
	v_mov_b32_e32 v3, 43
	v_cmp_gt_i16_sdwa s[6:7], s27, v3 src0_sel:BYTE_0 src1_sel:DWORD
	;; [unrolled: 5-line block ×3, first 2 shown]
	s_and_b64 vcc, exec, s[6:7]
	s_cbranch_vccz .LBB7_2146
; %bb.2139:
	v_mov_b32_e32 v3, 46
	v_cmp_eq_u16_sdwa s[6:7], s27, v3 src0_sel:BYTE_0 src1_sel:DWORD
	s_mov_b64 s[20:21], 0
	s_and_b64 vcc, exec, s[6:7]
	s_cbranch_vccz .LBB7_2147
; %bb.2140:
	global_load_dword v3, v[24:25], off
	s_mov_b64 s[6:7], 0
	s_mov_b64 s[18:19], -1
	s_waitcnt vmcnt(0)
	v_lshlrev_b32_e32 v3, 16, v3
	v_cvt_f64_f32_e32 v[20:21], v3
	s_branch .LBB7_2148
.LBB7_2141:
	s_mov_b64 s[6:7], -1
	s_mov_b64 s[18:19], 0
                                        ; implicit-def: $vgpr20_vgpr21
	s_branch .LBB7_2214
.LBB7_2142:
	s_mov_b64 s[20:21], -1
	s_mov_b64 s[18:19], 0
	s_mov_b64 s[6:7], 0
                                        ; implicit-def: $vgpr20_vgpr21
	s_branch .LBB7_2177
.LBB7_2143:
	s_mov_b64 s[20:21], -1
	s_mov_b64 s[18:19], 0
	s_mov_b64 s[6:7], 0
                                        ; implicit-def: $vgpr20_vgpr21
	s_branch .LBB7_2158
.LBB7_2144:
	s_mov_b64 s[20:21], -1
	s_mov_b64 s[18:19], 0
	s_mov_b64 s[6:7], 0
                                        ; implicit-def: $vgpr20_vgpr21
	s_branch .LBB7_2153
.LBB7_2145:
	s_trap 2
	s_or_b64 s[4:5], s[4:5], exec
                                        ; implicit-def: $vgpr18_vgpr19
	s_cbranch_execz .LBB7_2082
	s_branch .LBB7_2083
.LBB7_2146:
	s_mov_b64 s[20:21], -1
	s_mov_b64 s[18:19], 0
	s_mov_b64 s[6:7], 0
                                        ; implicit-def: $vgpr20_vgpr21
	s_branch .LBB7_2148
.LBB7_2147:
	s_mov_b64 s[6:7], -1
                                        ; implicit-def: $vgpr20_vgpr21
	s_mov_b64 s[18:19], 0
.LBB7_2148:
	s_and_b64 vcc, exec, s[20:21]
	s_cbranch_vccz .LBB7_2152
; %bb.2149:
	v_mov_b32_e32 v3, 44
	v_cmp_eq_u16_sdwa s[6:7], s27, v3 src0_sel:BYTE_0 src1_sel:DWORD
	s_and_b64 vcc, exec, s[6:7]
	s_cbranch_vccz .LBB7_2151
; %bb.2150:
	global_load_ubyte v3, v[24:25], off
	s_movk_i32 s18, 0xff
	v_bfrev_b32_e32 v5, 4
	v_mov_b32_e32 v7, 0x7ff80000
	v_bfrev_b32_e32 v9, 28
	s_mov_b64 s[6:7], 0
	s_waitcnt vmcnt(0)
	v_lshlrev_b32_e32 v11, 23, v3
	v_cvt_f64_f32_e32 v[20:21], v11
	v_cmp_ne_u32_e32 vcc, s18, v3
	v_cndmask_b32_e32 v5, v5, v20, vcc
	v_cndmask_b32_e32 v7, v7, v21, vcc
	v_cmp_ne_u32_e32 vcc, 0, v3
	v_cndmask_b32_e32 v21, v9, v7, vcc
	v_cndmask_b32_e32 v20, 0, v5, vcc
	s_mov_b64 s[18:19], -1
	s_branch .LBB7_2152
.LBB7_2151:
	s_mov_b64 s[6:7], -1
                                        ; implicit-def: $vgpr20_vgpr21
.LBB7_2152:
	s_mov_b64 s[20:21], 0
.LBB7_2153:
	s_and_b64 vcc, exec, s[20:21]
	s_cbranch_vccz .LBB7_2157
; %bb.2154:
	v_mov_b32_e32 v3, 29
	v_cmp_eq_u16_sdwa s[6:7], s27, v3 src0_sel:BYTE_0 src1_sel:DWORD
	s_and_b64 vcc, exec, s[6:7]
	s_cbranch_vccz .LBB7_2156
; %bb.2155:
	global_load_dwordx2 v[20:21], v[24:25], off
	s_mov_b64 s[6:7], 0
	s_mov_b64 s[18:19], -1
	s_mov_b64 s[20:21], 0
	s_waitcnt vmcnt(0)
	v_cvt_f64_u32_e32 v[26:27], v21
	v_cvt_f64_u32_e32 v[20:21], v20
	v_ldexp_f64 v[26:27], v[26:27], 32
	v_add_f64 v[20:21], v[26:27], v[20:21]
	s_branch .LBB7_2158
.LBB7_2156:
	s_mov_b64 s[6:7], -1
                                        ; implicit-def: $vgpr20_vgpr21
.LBB7_2157:
	s_mov_b64 s[20:21], 0
.LBB7_2158:
	s_and_b64 vcc, exec, s[20:21]
	s_cbranch_vccz .LBB7_2176
; %bb.2159:
	v_mov_b32_e32 v3, 27
	v_cmp_lt_i16_sdwa s[18:19], s27, v3 src0_sel:BYTE_0 src1_sel:DWORD
	s_and_b64 vcc, exec, s[18:19]
	s_cbranch_vccnz .LBB7_2162
; %bb.2160:
	v_cmp_gt_i16_sdwa s[18:19], s27, v3 src0_sel:BYTE_0 src1_sel:DWORD
	s_and_b64 vcc, exec, s[18:19]
	s_cbranch_vccz .LBB7_2163
; %bb.2161:
	global_load_dword v3, v[24:25], off
	s_mov_b64 s[18:19], 0
	s_waitcnt vmcnt(0)
	v_cvt_f64_u32_e32 v[20:21], v3
	s_branch .LBB7_2164
.LBB7_2162:
	s_mov_b64 s[18:19], -1
                                        ; implicit-def: $vgpr20_vgpr21
	s_branch .LBB7_2167
.LBB7_2163:
	s_mov_b64 s[18:19], -1
                                        ; implicit-def: $vgpr20_vgpr21
.LBB7_2164:
	s_andn2_b64 vcc, exec, s[18:19]
	s_cbranch_vccnz .LBB7_2166
; %bb.2165:
	global_load_ushort v3, v[24:25], off
	s_waitcnt vmcnt(0)
	v_cvt_f64_u32_e32 v[20:21], v3
.LBB7_2166:
	s_mov_b64 s[18:19], 0
.LBB7_2167:
	s_andn2_b64 vcc, exec, s[18:19]
	s_cbranch_vccnz .LBB7_2175
; %bb.2168:
	global_load_ubyte v3, v[24:25], off
	s_movk_i32 s18, 0x7f
                                        ; implicit-def: $sgpr20_sgpr21
	s_waitcnt vmcnt(0)
	v_cmp_lt_i16_e32 vcc, s18, v3
	s_mov_b64 s[18:19], 0
	s_and_saveexec_b64 s[22:23], vcc
	s_xor_b64 s[22:23], exec, s[22:23]
	s_cbranch_execz .LBB7_2189
; %bb.2169:
	s_movk_i32 s18, 0x80
	v_cmp_eq_u16_e32 vcc, s18, v3
	s_mov_b64 s[24:25], -1
                                        ; implicit-def: $sgpr20_sgpr21
	s_and_saveexec_b64 s[18:19], vcc
; %bb.2170:
	s_mov_b32 s21, 0x7ff80000
	s_brev_b32 s20, 4
	s_xor_b64 s[24:25], exec, -1
; %bb.2171:
	s_or_b64 exec, exec, s[18:19]
	s_and_b64 s[18:19], s[24:25], exec
	s_or_saveexec_b64 s[22:23], s[22:23]
	v_pk_mov_b32 v[20:21], s[20:21], s[20:21] op_sel:[0,1]
	s_xor_b64 exec, exec, s[22:23]
	s_cbranch_execnz .LBB7_2190
.LBB7_2172:
	s_or_b64 exec, exec, s[22:23]
	s_and_saveexec_b64 s[20:21], s[18:19]
	s_cbranch_execz .LBB7_2174
.LBB7_2173:
	v_lshlrev_b32_e32 v5, 24, v3
	v_and_b32_e32 v3, 0xffff, v3
	v_and_b32_e32 v7, 7, v3
	v_ffbh_u32_e32 v11, v7
	v_min_u32_e32 v11, 32, v11
	v_subrev_u32_e32 v17, 28, v11
	v_bfe_u32 v9, v3, 3, 4
	v_lshlrev_b32_e32 v3, v17, v3
	v_sub_u32_e32 v11, 29, v11
	v_and_b32_e32 v3, 7, v3
	v_cmp_eq_u32_e32 vcc, 0, v9
	v_cndmask_b32_e32 v9, v9, v11, vcc
	v_cndmask_b32_e32 v3, v7, v3, vcc
	v_mov_b32_e32 v7, 0x3b800000
	v_lshlrev_b32_e32 v3, 20, v3
	v_and_b32_e32 v5, 0x80000000, v5
	v_lshl_add_u32 v7, v9, 23, v7
	v_or3_b32 v3, v5, v7, v3
	v_cvt_f64_f32_e32 v[20:21], v3
.LBB7_2174:
	s_or_b64 exec, exec, s[20:21]
.LBB7_2175:
	s_mov_b64 s[18:19], -1
.LBB7_2176:
	s_mov_b64 s[20:21], 0
.LBB7_2177:
	s_and_b64 vcc, exec, s[20:21]
	s_cbranch_vccz .LBB7_2210
; %bb.2178:
	v_mov_b32_e32 v3, 22
	v_cmp_gt_i16_sdwa s[16:17], s27, v3 src0_sel:BYTE_0 src1_sel:DWORD
	s_and_b64 vcc, exec, s[16:17]
	s_cbranch_vccz .LBB7_2188
; %bb.2179:
	v_mov_b32_e32 v3, 24
	v_cmp_lt_i16_sdwa s[16:17], s27, v3 src0_sel:BYTE_0 src1_sel:DWORD
	s_and_b64 vcc, exec, s[16:17]
	s_cbranch_vccnz .LBB7_2191
; %bb.2180:
	v_cmp_gt_i16_sdwa s[16:17], s27, v3 src0_sel:BYTE_0 src1_sel:DWORD
	s_and_b64 vcc, exec, s[16:17]
	s_cbranch_vccz .LBB7_2192
; %bb.2181:
	global_load_ubyte v3, v[24:25], off
	s_movk_i32 s16, 0x7f
                                        ; implicit-def: $sgpr18_sgpr19
	s_waitcnt vmcnt(0)
	v_cmp_lt_i16_e32 vcc, s16, v3
	s_mov_b64 s[16:17], 0
	s_and_saveexec_b64 s[20:21], vcc
	s_xor_b64 s[20:21], exec, s[20:21]
	s_cbranch_execz .LBB7_2204
; %bb.2182:
	s_movk_i32 s16, 0x80
	v_cmp_eq_u16_e32 vcc, s16, v3
	s_mov_b64 s[22:23], -1
                                        ; implicit-def: $sgpr18_sgpr19
	s_and_saveexec_b64 s[16:17], vcc
; %bb.2183:
	s_mov_b32 s19, 0x7ff80000
	s_brev_b32 s18, 4
	s_xor_b64 s[22:23], exec, -1
; %bb.2184:
	s_or_b64 exec, exec, s[16:17]
	s_and_b64 s[16:17], s[22:23], exec
	s_or_saveexec_b64 s[20:21], s[20:21]
	v_pk_mov_b32 v[20:21], s[18:19], s[18:19] op_sel:[0,1]
	s_xor_b64 exec, exec, s[20:21]
	s_cbranch_execnz .LBB7_2205
.LBB7_2185:
	s_or_b64 exec, exec, s[20:21]
	s_and_saveexec_b64 s[18:19], s[16:17]
	s_cbranch_execz .LBB7_2187
.LBB7_2186:
	v_lshlrev_b32_e32 v5, 24, v3
	v_and_b32_e32 v3, 0xffff, v3
	v_and_b32_e32 v7, 3, v3
	v_ffbh_u32_e32 v11, v7
	v_min_u32_e32 v11, 32, v11
	v_subrev_u32_e32 v17, 29, v11
	v_bfe_u32 v9, v3, 2, 5
	v_lshlrev_b32_e32 v3, v17, v3
	v_sub_u32_e32 v11, 30, v11
	v_and_b32_e32 v3, 3, v3
	v_cmp_eq_u32_e32 vcc, 0, v9
	v_cndmask_b32_e32 v9, v9, v11, vcc
	v_cndmask_b32_e32 v3, v7, v3, vcc
	v_mov_b32_e32 v7, 0x37800000
	v_lshlrev_b32_e32 v3, 21, v3
	v_and_b32_e32 v5, 0x80000000, v5
	v_lshl_add_u32 v7, v9, 23, v7
	v_or3_b32 v3, v5, v7, v3
	v_cvt_f64_f32_e32 v[20:21], v3
.LBB7_2187:
	s_or_b64 exec, exec, s[18:19]
	s_mov_b64 s[16:17], 0
	s_branch .LBB7_2193
.LBB7_2188:
	s_mov_b64 s[16:17], -1
                                        ; implicit-def: $vgpr20_vgpr21
	s_branch .LBB7_2199
.LBB7_2189:
	s_or_saveexec_b64 s[22:23], s[22:23]
	v_pk_mov_b32 v[20:21], s[20:21], s[20:21] op_sel:[0,1]
	s_xor_b64 exec, exec, s[22:23]
	s_cbranch_execz .LBB7_2172
.LBB7_2190:
	v_cmp_ne_u16_e32 vcc, 0, v3
	s_andn2_b64 s[18:19], s[18:19], exec
	s_and_b64 s[20:21], vcc, exec
	v_pk_mov_b32 v[20:21], 0, 0
	s_or_b64 s[18:19], s[18:19], s[20:21]
	s_or_b64 exec, exec, s[22:23]
	s_and_saveexec_b64 s[20:21], s[18:19]
	s_cbranch_execnz .LBB7_2173
	s_branch .LBB7_2174
.LBB7_2191:
	s_mov_b64 s[16:17], -1
                                        ; implicit-def: $vgpr20_vgpr21
	s_branch .LBB7_2196
.LBB7_2192:
	s_mov_b64 s[16:17], -1
                                        ; implicit-def: $vgpr20_vgpr21
.LBB7_2193:
	s_and_b64 vcc, exec, s[16:17]
	s_cbranch_vccz .LBB7_2195
; %bb.2194:
	global_load_ubyte v3, v[24:25], off
	s_mov_b32 s16, 0x7f800000
	s_waitcnt vmcnt(0)
	v_lshlrev_b32_e32 v3, 24, v3
	v_and_b32_e32 v5, 0x7f000000, v3
	v_ffbh_u32_e32 v7, v5
	v_min_u32_e32 v7, 32, v7
	v_sub_u32_e64 v7, v7, 4 clamp
	v_lshlrev_b32_e32 v11, v7, v5
	v_lshlrev_b32_e32 v7, 23, v7
	v_lshrrev_b32_e32 v11, 4, v11
	v_add_u32_e32 v9, 0x1000000, v5
	v_sub_u32_e32 v7, v11, v7
	v_ashrrev_i32_e32 v9, 8, v9
	v_add_u32_e32 v7, 0x3c000000, v7
	v_and_or_b32 v7, v9, s16, v7
	v_cmp_ne_u32_e32 vcc, 0, v5
	v_cndmask_b32_e32 v5, 0, v7, vcc
	s_brev_b32 s16, 1
	v_and_or_b32 v3, v3, s16, v5
	v_cvt_f64_f32_e32 v[20:21], v3
.LBB7_2195:
	s_mov_b64 s[16:17], 0
.LBB7_2196:
	s_andn2_b64 vcc, exec, s[16:17]
	s_cbranch_vccnz .LBB7_2198
; %bb.2197:
	global_load_ubyte v3, v[24:25], off
	s_movk_i32 s16, 0x7f00
	s_brev_b32 s17, 16
	s_waitcnt vmcnt(0)
	v_lshlrev_b16_e32 v5, 8, v3
	v_lshlrev_b32_e32 v3, 25, v3
	v_lshrrev_b32_e32 v7, 4, v3
	v_and_or_b32 v9, v5, s16, 0.5
	v_or_b32_e32 v7, 0x70000000, v7
	v_add_f32_e32 v9, -0.5, v9
	v_mul_f32_e32 v7, 0x7800000, v7
	v_cmp_gt_u32_e32 vcc, s17, v3
	v_bfe_i32 v5, v5, 0, 16
	v_cndmask_b32_e32 v3, v7, v9, vcc
	s_brev_b32 s16, 1
	v_and_or_b32 v3, v5, s16, v3
	v_cvt_f64_f32_e32 v[20:21], v3
.LBB7_2198:
	s_mov_b64 s[16:17], 0
	s_mov_b64 s[18:19], -1
.LBB7_2199:
	s_andn2_b64 vcc, exec, s[16:17]
	s_mov_b64 s[16:17], 0
	s_cbranch_vccnz .LBB7_2210
; %bb.2200:
	v_mov_b32_e32 v3, 14
	v_cmp_gt_i16_sdwa s[16:17], s27, v3 src0_sel:BYTE_0 src1_sel:DWORD
	s_and_b64 vcc, exec, s[16:17]
	s_cbranch_vccz .LBB7_2203
; %bb.2201:
	v_mov_b32_e32 v3, 15
	v_cmp_eq_u16_sdwa s[6:7], s27, v3 src0_sel:BYTE_0 src1_sel:DWORD
	s_and_b64 vcc, exec, s[6:7]
	s_cbranch_vccz .LBB7_2206
; %bb.2202:
	global_load_ushort v3, v[24:25], off
	s_mov_b64 s[6:7], 0
	s_mov_b64 s[18:19], -1
	s_waitcnt vmcnt(0)
	v_lshlrev_b32_e32 v3, 16, v3
	v_cvt_f64_f32_e32 v[20:21], v3
	s_branch .LBB7_2207
.LBB7_2203:
	s_mov_b64 s[20:21], -1
                                        ; implicit-def: $vgpr20_vgpr21
	s_branch .LBB7_2208
.LBB7_2204:
	s_or_saveexec_b64 s[20:21], s[20:21]
	v_pk_mov_b32 v[20:21], s[18:19], s[18:19] op_sel:[0,1]
	s_xor_b64 exec, exec, s[20:21]
	s_cbranch_execz .LBB7_2185
.LBB7_2205:
	v_cmp_ne_u16_e32 vcc, 0, v3
	s_andn2_b64 s[16:17], s[16:17], exec
	s_and_b64 s[18:19], vcc, exec
	v_pk_mov_b32 v[20:21], 0, 0
	s_or_b64 s[16:17], s[16:17], s[18:19]
	s_or_b64 exec, exec, s[20:21]
	s_and_saveexec_b64 s[18:19], s[16:17]
	s_cbranch_execnz .LBB7_2186
	s_branch .LBB7_2187
.LBB7_2206:
	s_mov_b64 s[6:7], -1
                                        ; implicit-def: $vgpr20_vgpr21
.LBB7_2207:
	s_mov_b64 s[20:21], 0
.LBB7_2208:
	s_mov_b64 s[16:17], 0
	s_and_b64 vcc, exec, s[20:21]
	s_cbranch_vccz .LBB7_2210
; %bb.2209:
	v_mov_b32_e32 v3, 11
	v_cmp_ne_u16_sdwa s[6:7], s27, v3 src0_sel:BYTE_0 src1_sel:DWORD
	s_mov_b64 s[16:17], -1
                                        ; implicit-def: $vgpr20_vgpr21
.LBB7_2210:
	s_and_b64 vcc, exec, s[6:7]
	s_cbranch_vccnz .LBB7_2275
; %bb.2211:
	s_andn2_b64 vcc, exec, s[16:17]
	s_cbranch_vccnz .LBB7_2213
.LBB7_2212:
	global_load_ubyte v3, v[24:25], off
	v_mov_b32_e32 v5, 0x3ff00000
	v_mov_b32_e32 v20, 0
	s_mov_b64 s[18:19], -1
	s_waitcnt vmcnt(0)
	v_cmp_ne_u16_e32 vcc, 0, v3
	v_cndmask_b32_e32 v21, 0, v5, vcc
.LBB7_2213:
	s_mov_b64 s[6:7], 0
.LBB7_2214:
	s_and_b64 vcc, exec, s[6:7]
	s_cbranch_vccz .LBB7_2263
; %bb.2215:
	v_mov_b32_e32 v3, 5
	v_cmp_lt_i16_sdwa s[6:7], s27, v3 src0_sel:BYTE_0 src1_sel:DWORD
	s_and_b64 vcc, exec, s[6:7]
	s_cbranch_vccnz .LBB7_2220
; %bb.2216:
	v_mov_b32_e32 v3, 8
	v_cmp_lt_i16_sdwa s[6:7], s27, v3 src0_sel:BYTE_0 src1_sel:DWORD
	s_and_b64 vcc, exec, s[6:7]
	s_cbranch_vccnz .LBB7_2221
	;; [unrolled: 5-line block ×3, first 2 shown]
; %bb.2218:
	v_cmp_gt_i16_sdwa s[6:7], s27, v3 src0_sel:BYTE_0 src1_sel:DWORD
	s_and_b64 vcc, exec, s[6:7]
	s_cbranch_vccz .LBB7_2223
; %bb.2219:
	global_load_dwordx2 v[20:21], v[24:25], off
	s_mov_b64 s[6:7], 0
	s_branch .LBB7_2224
.LBB7_2220:
	s_mov_b64 s[6:7], -1
                                        ; implicit-def: $vgpr20_vgpr21
	s_branch .LBB7_2242
.LBB7_2221:
	s_mov_b64 s[6:7], -1
                                        ; implicit-def: $vgpr20_vgpr21
	s_branch .LBB7_2230
.LBB7_2222:
	s_mov_b64 s[6:7], -1
                                        ; implicit-def: $vgpr20_vgpr21
	s_branch .LBB7_2227
.LBB7_2223:
	s_mov_b64 s[6:7], -1
                                        ; implicit-def: $vgpr20_vgpr21
.LBB7_2224:
	s_andn2_b64 vcc, exec, s[6:7]
	s_cbranch_vccnz .LBB7_2226
; %bb.2225:
	global_load_dword v3, v[24:25], off
	s_waitcnt vmcnt(0)
	v_cvt_f64_f32_e32 v[20:21], v3
.LBB7_2226:
	s_mov_b64 s[6:7], 0
.LBB7_2227:
	s_andn2_b64 vcc, exec, s[6:7]
	s_cbranch_vccnz .LBB7_2229
; %bb.2228:
	global_load_dword v3, v[24:25], off
	s_waitcnt vmcnt(0)
	v_cvt_f32_f16_e32 v3, v3
	v_cvt_f64_f32_e32 v[20:21], v3
.LBB7_2229:
	s_mov_b64 s[6:7], 0
.LBB7_2230:
	s_andn2_b64 vcc, exec, s[6:7]
	s_cbranch_vccnz .LBB7_2241
; %bb.2231:
	v_mov_b32_e32 v3, 6
	v_cmp_lt_i16_sdwa s[6:7], s27, v3 src0_sel:BYTE_0 src1_sel:DWORD
	s_and_b64 vcc, exec, s[6:7]
	s_cbranch_vccnz .LBB7_2234
; %bb.2232:
	v_cmp_gt_i16_sdwa s[6:7], s27, v3 src0_sel:BYTE_0 src1_sel:DWORD
	s_and_b64 vcc, exec, s[6:7]
	s_cbranch_vccz .LBB7_2235
; %bb.2233:
	global_load_dwordx2 v[20:21], v[24:25], off
	s_mov_b64 s[6:7], 0
	s_branch .LBB7_2236
.LBB7_2234:
	s_mov_b64 s[6:7], -1
                                        ; implicit-def: $vgpr20_vgpr21
	s_branch .LBB7_2239
.LBB7_2235:
	s_mov_b64 s[6:7], -1
                                        ; implicit-def: $vgpr20_vgpr21
.LBB7_2236:
	s_andn2_b64 vcc, exec, s[6:7]
	s_cbranch_vccnz .LBB7_2238
; %bb.2237:
	global_load_dword v3, v[24:25], off
	s_waitcnt vmcnt(0)
	v_cvt_f64_f32_e32 v[20:21], v3
.LBB7_2238:
	s_mov_b64 s[6:7], 0
.LBB7_2239:
	s_andn2_b64 vcc, exec, s[6:7]
	s_cbranch_vccnz .LBB7_2241
; %bb.2240:
	global_load_ushort v3, v[24:25], off
	s_waitcnt vmcnt(0)
	v_cvt_f32_f16_e32 v3, v3
	v_cvt_f64_f32_e32 v[20:21], v3
.LBB7_2241:
	s_mov_b64 s[6:7], 0
.LBB7_2242:
	s_andn2_b64 vcc, exec, s[6:7]
	s_cbranch_vccnz .LBB7_2262
; %bb.2243:
	v_mov_b32_e32 v3, 2
	v_cmp_lt_i16_sdwa s[6:7], s27, v3 src0_sel:BYTE_0 src1_sel:DWORD
	s_and_b64 vcc, exec, s[6:7]
	s_cbranch_vccnz .LBB7_2247
; %bb.2244:
	v_mov_b32_e32 v3, 3
	v_cmp_lt_i16_sdwa s[6:7], s27, v3 src0_sel:BYTE_0 src1_sel:DWORD
	s_and_b64 vcc, exec, s[6:7]
	s_cbranch_vccnz .LBB7_2248
; %bb.2245:
	v_cmp_gt_i16_sdwa s[6:7], s27, v3 src0_sel:BYTE_0 src1_sel:DWORD
	s_and_b64 vcc, exec, s[6:7]
	s_cbranch_vccz .LBB7_2249
; %bb.2246:
	global_load_dwordx2 v[20:21], v[24:25], off
	s_mov_b64 s[6:7], 0
	s_waitcnt vmcnt(0)
	v_cvt_f64_i32_e32 v[26:27], v21
	v_cvt_f64_u32_e32 v[20:21], v20
	v_ldexp_f64 v[26:27], v[26:27], 32
	v_add_f64 v[20:21], v[26:27], v[20:21]
	s_branch .LBB7_2250
.LBB7_2247:
	s_mov_b64 s[6:7], -1
                                        ; implicit-def: $vgpr20_vgpr21
	s_branch .LBB7_2256
.LBB7_2248:
	s_mov_b64 s[6:7], -1
                                        ; implicit-def: $vgpr20_vgpr21
	s_branch .LBB7_2253
.LBB7_2249:
	s_mov_b64 s[6:7], -1
                                        ; implicit-def: $vgpr20_vgpr21
.LBB7_2250:
	s_andn2_b64 vcc, exec, s[6:7]
	s_cbranch_vccnz .LBB7_2252
; %bb.2251:
	global_load_dword v3, v[24:25], off
	s_waitcnt vmcnt(0)
	v_cvt_f64_i32_e32 v[20:21], v3
.LBB7_2252:
	s_mov_b64 s[6:7], 0
.LBB7_2253:
	s_andn2_b64 vcc, exec, s[6:7]
	s_cbranch_vccnz .LBB7_2255
; %bb.2254:
	global_load_sshort v3, v[24:25], off
	s_waitcnt vmcnt(0)
	v_cvt_f64_i32_e32 v[20:21], v3
.LBB7_2255:
	s_mov_b64 s[6:7], 0
.LBB7_2256:
	s_andn2_b64 vcc, exec, s[6:7]
	s_cbranch_vccnz .LBB7_2262
; %bb.2257:
	v_mov_b32_e32 v3, 0
	v_cmp_gt_i16_sdwa s[6:7], s27, v3 src0_sel:BYTE_0 src1_sel:DWORD
	s_and_b64 vcc, exec, s[6:7]
	s_cbranch_vccz .LBB7_2259
; %bb.2258:
	global_load_sbyte v3, v[24:25], off
	s_mov_b64 s[6:7], 0
	s_waitcnt vmcnt(0)
	v_cvt_f64_i32_e32 v[20:21], v3
	s_branch .LBB7_2260
.LBB7_2259:
	s_mov_b64 s[6:7], -1
                                        ; implicit-def: $vgpr20_vgpr21
.LBB7_2260:
	s_andn2_b64 vcc, exec, s[6:7]
	s_cbranch_vccnz .LBB7_2262
; %bb.2261:
	global_load_ubyte v3, v[24:25], off
	s_waitcnt vmcnt(0)
	v_cvt_f64_u32_e32 v[20:21], v3
.LBB7_2262:
	s_mov_b64 s[18:19], -1
.LBB7_2263:
	s_andn2_b64 vcc, exec, s[18:19]
	s_cbranch_vccnz .LBB7_2950
; %bb.2264:
	v_mov_b32_e32 v3, s1
	v_add_co_u32_e32 v24, vcc, s0, v22
	v_addc_co_u32_e32 v25, vcc, 0, v3, vcc
	s_and_b64 vcc, exec, s[2:3]
	s_cbranch_vccnz .LBB7_2271
; %bb.2265:
	v_cmp_gt_i16_e64 s[6:7], s28, 25
	s_mov_b64 s[16:17], 0
	s_and_b64 vcc, exec, s[6:7]
	s_cbranch_vccz .LBB7_2272
; %bb.2266:
	v_cmp_gt_i16_e64 s[6:7], s28, 28
	s_and_b64 vcc, exec, s[6:7]
	s_cbranch_vccz .LBB7_2273
; %bb.2267:
	v_cmp_gt_i16_e64 s[6:7], s28, 43
	;; [unrolled: 4-line block ×3, first 2 shown]
	s_and_b64 vcc, exec, s[6:7]
	s_cbranch_vccz .LBB7_2276
; %bb.2269:
	v_cmp_eq_u16_e64 s[6:7], s28, 46
	s_mov_b64 s[20:21], 0
	s_and_b64 vcc, exec, s[6:7]
	s_cbranch_vccz .LBB7_2279
; %bb.2270:
	global_load_dword v3, v[24:25], off
	s_mov_b64 s[6:7], 0
	s_mov_b64 s[18:19], -1
	s_waitcnt vmcnt(0)
	v_lshlrev_b32_e32 v3, 16, v3
	v_cvt_f64_f32_e32 v[22:23], v3
	s_branch .LBB7_2280
.LBB7_2271:
	s_mov_b64 s[6:7], -1
	s_mov_b64 s[18:19], 0
                                        ; implicit-def: $vgpr22_vgpr23
	s_branch .LBB7_2346
.LBB7_2272:
	s_mov_b64 s[20:21], -1
	s_mov_b64 s[18:19], 0
	s_mov_b64 s[6:7], 0
                                        ; implicit-def: $vgpr22_vgpr23
	s_branch .LBB7_2309
.LBB7_2273:
	s_mov_b64 s[20:21], -1
	s_mov_b64 s[18:19], 0
	s_mov_b64 s[6:7], 0
                                        ; implicit-def: $vgpr22_vgpr23
	s_branch .LBB7_2290
.LBB7_2274:
	s_mov_b64 s[20:21], -1
	s_mov_b64 s[18:19], 0
	s_mov_b64 s[6:7], 0
                                        ; implicit-def: $vgpr22_vgpr23
	s_branch .LBB7_2285
.LBB7_2275:
	s_trap 2
	s_or_b64 s[4:5], s[4:5], exec
                                        ; implicit-def: $vgpr20_vgpr21
	s_cbranch_execz .LBB7_2212
	s_branch .LBB7_2213
.LBB7_2276:
	s_mov_b64 s[20:21], -1
	s_mov_b64 s[18:19], 0
	s_mov_b64 s[6:7], 0
                                        ; implicit-def: $vgpr22_vgpr23
	s_branch .LBB7_2280
.LBB7_2277:
	s_or_saveexec_b64 s[62:63], s[62:63]
                                        ; implicit-def: $sgpr64
	s_xor_b64 exec, exec, s[62:63]
	s_cbranch_execz .LBB7_1153
.LBB7_2278:
	s_mov_b32 s64, 0x42800000
	v_add_f32_e64 v3, |v2|, s64
	v_and_b32_e32 v3, 0xff, v3
	v_cmp_ne_u32_e32 vcc, 0, v3
	s_andn2_b64 s[60:61], s[60:61], exec
	s_and_b64 s[70:71], vcc, exec
	s_mov_b32 s64, 0
	s_or_b64 s[60:61], s[60:61], s[70:71]
	s_or_b64 exec, exec, s[62:63]
	v_mov_b32_e32 v6, s64
	s_and_saveexec_b64 s[62:63], s[60:61]
	s_cbranch_execnz .LBB7_1154
	s_branch .LBB7_1155
.LBB7_2279:
	s_mov_b64 s[6:7], -1
                                        ; implicit-def: $vgpr22_vgpr23
	s_mov_b64 s[18:19], 0
.LBB7_2280:
	s_and_b64 vcc, exec, s[20:21]
	s_cbranch_vccz .LBB7_2284
; %bb.2281:
	v_cmp_eq_u16_e64 s[6:7], s28, 44
	s_and_b64 vcc, exec, s[6:7]
	s_cbranch_vccz .LBB7_2283
; %bb.2282:
	global_load_ubyte v3, v[24:25], off
	s_movk_i32 s18, 0xff
	v_bfrev_b32_e32 v5, 4
	v_mov_b32_e32 v7, 0x7ff80000
	v_bfrev_b32_e32 v9, 28
	s_mov_b64 s[6:7], 0
	s_waitcnt vmcnt(0)
	v_lshlrev_b32_e32 v11, 23, v3
	v_cvt_f64_f32_e32 v[22:23], v11
	v_cmp_ne_u32_e32 vcc, s18, v3
	v_cndmask_b32_e32 v5, v5, v22, vcc
	v_cndmask_b32_e32 v7, v7, v23, vcc
	v_cmp_ne_u32_e32 vcc, 0, v3
	v_cndmask_b32_e32 v23, v9, v7, vcc
	v_cndmask_b32_e32 v22, 0, v5, vcc
	s_mov_b64 s[18:19], -1
	s_branch .LBB7_2284
.LBB7_2283:
	s_mov_b64 s[6:7], -1
                                        ; implicit-def: $vgpr22_vgpr23
.LBB7_2284:
	s_mov_b64 s[20:21], 0
.LBB7_2285:
	s_and_b64 vcc, exec, s[20:21]
	s_cbranch_vccz .LBB7_2289
; %bb.2286:
	v_cmp_eq_u16_e64 s[6:7], s28, 29
	s_and_b64 vcc, exec, s[6:7]
	s_cbranch_vccz .LBB7_2288
; %bb.2287:
	global_load_dwordx2 v[22:23], v[24:25], off
	s_mov_b64 s[6:7], 0
	s_mov_b64 s[18:19], -1
	s_mov_b64 s[20:21], 0
	s_waitcnt vmcnt(0)
	v_cvt_f64_u32_e32 v[26:27], v23
	v_cvt_f64_u32_e32 v[22:23], v22
	v_ldexp_f64 v[26:27], v[26:27], 32
	v_add_f64 v[22:23], v[26:27], v[22:23]
	s_branch .LBB7_2290
.LBB7_2288:
	s_mov_b64 s[6:7], -1
                                        ; implicit-def: $vgpr22_vgpr23
.LBB7_2289:
	s_mov_b64 s[20:21], 0
.LBB7_2290:
	s_and_b64 vcc, exec, s[20:21]
	s_cbranch_vccz .LBB7_2308
; %bb.2291:
	v_cmp_lt_i16_e64 s[18:19], s28, 27
	s_and_b64 vcc, exec, s[18:19]
	s_cbranch_vccnz .LBB7_2294
; %bb.2292:
	v_cmp_gt_i16_e64 s[18:19], s28, 27
	s_and_b64 vcc, exec, s[18:19]
	s_cbranch_vccz .LBB7_2295
; %bb.2293:
	global_load_dword v3, v[24:25], off
	s_mov_b64 s[18:19], 0
	s_waitcnt vmcnt(0)
	v_cvt_f64_u32_e32 v[22:23], v3
	s_branch .LBB7_2296
.LBB7_2294:
	s_mov_b64 s[18:19], -1
                                        ; implicit-def: $vgpr22_vgpr23
	s_branch .LBB7_2299
.LBB7_2295:
	s_mov_b64 s[18:19], -1
                                        ; implicit-def: $vgpr22_vgpr23
.LBB7_2296:
	s_andn2_b64 vcc, exec, s[18:19]
	s_cbranch_vccnz .LBB7_2298
; %bb.2297:
	global_load_ushort v3, v[24:25], off
	s_waitcnt vmcnt(0)
	v_cvt_f64_u32_e32 v[22:23], v3
.LBB7_2298:
	s_mov_b64 s[18:19], 0
.LBB7_2299:
	s_andn2_b64 vcc, exec, s[18:19]
	s_cbranch_vccnz .LBB7_2307
; %bb.2300:
	global_load_ubyte v3, v[24:25], off
	s_movk_i32 s18, 0x7f
                                        ; implicit-def: $sgpr20_sgpr21
	s_waitcnt vmcnt(0)
	v_cmp_lt_i16_e32 vcc, s18, v3
	s_mov_b64 s[18:19], 0
	s_and_saveexec_b64 s[22:23], vcc
	s_xor_b64 s[22:23], exec, s[22:23]
	s_cbranch_execz .LBB7_2321
; %bb.2301:
	s_movk_i32 s18, 0x80
	v_cmp_eq_u16_e32 vcc, s18, v3
	s_mov_b64 s[24:25], -1
                                        ; implicit-def: $sgpr20_sgpr21
	s_and_saveexec_b64 s[18:19], vcc
; %bb.2302:
	s_mov_b32 s21, 0x7ff80000
	s_brev_b32 s20, 4
	s_xor_b64 s[24:25], exec, -1
; %bb.2303:
	s_or_b64 exec, exec, s[18:19]
	s_and_b64 s[18:19], s[24:25], exec
	s_or_saveexec_b64 s[22:23], s[22:23]
	v_pk_mov_b32 v[22:23], s[20:21], s[20:21] op_sel:[0,1]
	s_xor_b64 exec, exec, s[22:23]
	s_cbranch_execnz .LBB7_2322
.LBB7_2304:
	s_or_b64 exec, exec, s[22:23]
	s_and_saveexec_b64 s[20:21], s[18:19]
	s_cbranch_execz .LBB7_2306
.LBB7_2305:
	v_lshlrev_b32_e32 v5, 24, v3
	v_and_b32_e32 v3, 0xffff, v3
	v_and_b32_e32 v7, 7, v3
	v_ffbh_u32_e32 v11, v7
	v_min_u32_e32 v11, 32, v11
	v_subrev_u32_e32 v17, 28, v11
	v_bfe_u32 v9, v3, 3, 4
	v_lshlrev_b32_e32 v3, v17, v3
	v_sub_u32_e32 v11, 29, v11
	v_and_b32_e32 v3, 7, v3
	v_cmp_eq_u32_e32 vcc, 0, v9
	v_cndmask_b32_e32 v9, v9, v11, vcc
	v_cndmask_b32_e32 v3, v7, v3, vcc
	v_mov_b32_e32 v7, 0x3b800000
	v_lshlrev_b32_e32 v3, 20, v3
	v_and_b32_e32 v5, 0x80000000, v5
	v_lshl_add_u32 v7, v9, 23, v7
	v_or3_b32 v3, v5, v7, v3
	v_cvt_f64_f32_e32 v[22:23], v3
.LBB7_2306:
	s_or_b64 exec, exec, s[20:21]
.LBB7_2307:
	s_mov_b64 s[18:19], -1
.LBB7_2308:
	s_mov_b64 s[20:21], 0
.LBB7_2309:
	s_and_b64 vcc, exec, s[20:21]
	s_cbranch_vccz .LBB7_2342
; %bb.2310:
	v_cmp_gt_i16_e64 s[16:17], s28, 22
	s_and_b64 vcc, exec, s[16:17]
	s_cbranch_vccz .LBB7_2320
; %bb.2311:
	v_cmp_lt_i16_e64 s[16:17], s28, 24
	s_and_b64 vcc, exec, s[16:17]
	s_cbranch_vccnz .LBB7_2323
; %bb.2312:
	v_cmp_gt_i16_e64 s[16:17], s28, 24
	s_and_b64 vcc, exec, s[16:17]
	s_cbranch_vccz .LBB7_2324
; %bb.2313:
	global_load_ubyte v3, v[24:25], off
	s_movk_i32 s16, 0x7f
                                        ; implicit-def: $sgpr18_sgpr19
	s_waitcnt vmcnt(0)
	v_cmp_lt_i16_e32 vcc, s16, v3
	s_mov_b64 s[16:17], 0
	s_and_saveexec_b64 s[20:21], vcc
	s_xor_b64 s[20:21], exec, s[20:21]
	s_cbranch_execz .LBB7_2336
; %bb.2314:
	s_movk_i32 s16, 0x80
	v_cmp_eq_u16_e32 vcc, s16, v3
	s_mov_b64 s[22:23], -1
                                        ; implicit-def: $sgpr18_sgpr19
	s_and_saveexec_b64 s[16:17], vcc
; %bb.2315:
	s_mov_b32 s19, 0x7ff80000
	s_brev_b32 s18, 4
	s_xor_b64 s[22:23], exec, -1
; %bb.2316:
	s_or_b64 exec, exec, s[16:17]
	s_and_b64 s[16:17], s[22:23], exec
	s_or_saveexec_b64 s[20:21], s[20:21]
	v_pk_mov_b32 v[22:23], s[18:19], s[18:19] op_sel:[0,1]
	s_xor_b64 exec, exec, s[20:21]
	s_cbranch_execnz .LBB7_2337
.LBB7_2317:
	s_or_b64 exec, exec, s[20:21]
	s_and_saveexec_b64 s[18:19], s[16:17]
	s_cbranch_execz .LBB7_2319
.LBB7_2318:
	v_lshlrev_b32_e32 v5, 24, v3
	v_and_b32_e32 v3, 0xffff, v3
	v_and_b32_e32 v7, 3, v3
	v_ffbh_u32_e32 v11, v7
	v_min_u32_e32 v11, 32, v11
	v_subrev_u32_e32 v17, 29, v11
	v_bfe_u32 v9, v3, 2, 5
	v_lshlrev_b32_e32 v3, v17, v3
	v_sub_u32_e32 v11, 30, v11
	v_and_b32_e32 v3, 3, v3
	v_cmp_eq_u32_e32 vcc, 0, v9
	v_cndmask_b32_e32 v9, v9, v11, vcc
	v_cndmask_b32_e32 v3, v7, v3, vcc
	v_mov_b32_e32 v7, 0x37800000
	v_lshlrev_b32_e32 v3, 21, v3
	v_and_b32_e32 v5, 0x80000000, v5
	v_lshl_add_u32 v7, v9, 23, v7
	v_or3_b32 v3, v5, v7, v3
	v_cvt_f64_f32_e32 v[22:23], v3
.LBB7_2319:
	s_or_b64 exec, exec, s[18:19]
	s_mov_b64 s[16:17], 0
	s_branch .LBB7_2325
.LBB7_2320:
	s_mov_b64 s[16:17], -1
                                        ; implicit-def: $vgpr22_vgpr23
	s_branch .LBB7_2331
.LBB7_2321:
	s_or_saveexec_b64 s[22:23], s[22:23]
	v_pk_mov_b32 v[22:23], s[20:21], s[20:21] op_sel:[0,1]
	s_xor_b64 exec, exec, s[22:23]
	s_cbranch_execz .LBB7_2304
.LBB7_2322:
	v_cmp_ne_u16_e32 vcc, 0, v3
	s_andn2_b64 s[18:19], s[18:19], exec
	s_and_b64 s[20:21], vcc, exec
	v_pk_mov_b32 v[22:23], 0, 0
	s_or_b64 s[18:19], s[18:19], s[20:21]
	s_or_b64 exec, exec, s[22:23]
	s_and_saveexec_b64 s[20:21], s[18:19]
	s_cbranch_execnz .LBB7_2305
	s_branch .LBB7_2306
.LBB7_2323:
	s_mov_b64 s[16:17], -1
                                        ; implicit-def: $vgpr22_vgpr23
	s_branch .LBB7_2328
.LBB7_2324:
	s_mov_b64 s[16:17], -1
                                        ; implicit-def: $vgpr22_vgpr23
.LBB7_2325:
	s_and_b64 vcc, exec, s[16:17]
	s_cbranch_vccz .LBB7_2327
; %bb.2326:
	global_load_ubyte v3, v[24:25], off
	s_mov_b32 s16, 0x7f800000
	s_waitcnt vmcnt(0)
	v_lshlrev_b32_e32 v3, 24, v3
	v_and_b32_e32 v5, 0x7f000000, v3
	v_ffbh_u32_e32 v7, v5
	v_min_u32_e32 v7, 32, v7
	v_sub_u32_e64 v7, v7, 4 clamp
	v_lshlrev_b32_e32 v11, v7, v5
	v_lshlrev_b32_e32 v7, 23, v7
	v_lshrrev_b32_e32 v11, 4, v11
	v_add_u32_e32 v9, 0x1000000, v5
	v_sub_u32_e32 v7, v11, v7
	v_ashrrev_i32_e32 v9, 8, v9
	v_add_u32_e32 v7, 0x3c000000, v7
	v_and_or_b32 v7, v9, s16, v7
	v_cmp_ne_u32_e32 vcc, 0, v5
	v_cndmask_b32_e32 v5, 0, v7, vcc
	s_brev_b32 s16, 1
	v_and_or_b32 v3, v3, s16, v5
	v_cvt_f64_f32_e32 v[22:23], v3
.LBB7_2327:
	s_mov_b64 s[16:17], 0
.LBB7_2328:
	s_andn2_b64 vcc, exec, s[16:17]
	s_cbranch_vccnz .LBB7_2330
; %bb.2329:
	global_load_ubyte v3, v[24:25], off
	s_movk_i32 s16, 0x7f00
	s_brev_b32 s17, 16
	s_waitcnt vmcnt(0)
	v_lshlrev_b16_e32 v5, 8, v3
	v_lshlrev_b32_e32 v3, 25, v3
	v_lshrrev_b32_e32 v7, 4, v3
	v_and_or_b32 v9, v5, s16, 0.5
	v_or_b32_e32 v7, 0x70000000, v7
	v_add_f32_e32 v9, -0.5, v9
	v_mul_f32_e32 v7, 0x7800000, v7
	v_cmp_gt_u32_e32 vcc, s17, v3
	v_bfe_i32 v5, v5, 0, 16
	v_cndmask_b32_e32 v3, v7, v9, vcc
	s_brev_b32 s16, 1
	v_and_or_b32 v3, v5, s16, v3
	v_cvt_f64_f32_e32 v[22:23], v3
.LBB7_2330:
	s_mov_b64 s[16:17], 0
	s_mov_b64 s[18:19], -1
.LBB7_2331:
	s_andn2_b64 vcc, exec, s[16:17]
	s_mov_b64 s[16:17], 0
	s_cbranch_vccnz .LBB7_2342
; %bb.2332:
	v_cmp_gt_i16_e64 s[16:17], s28, 14
	s_and_b64 vcc, exec, s[16:17]
	s_cbranch_vccz .LBB7_2335
; %bb.2333:
	v_cmp_eq_u16_e64 s[6:7], s28, 15
	s_and_b64 vcc, exec, s[6:7]
	s_cbranch_vccz .LBB7_2338
; %bb.2334:
	global_load_ushort v3, v[24:25], off
	s_mov_b64 s[6:7], 0
	s_mov_b64 s[18:19], -1
	s_waitcnt vmcnt(0)
	v_lshlrev_b32_e32 v3, 16, v3
	v_cvt_f64_f32_e32 v[22:23], v3
	s_branch .LBB7_2339
.LBB7_2335:
	s_mov_b64 s[20:21], -1
                                        ; implicit-def: $vgpr22_vgpr23
	s_branch .LBB7_2340
.LBB7_2336:
	s_or_saveexec_b64 s[20:21], s[20:21]
	v_pk_mov_b32 v[22:23], s[18:19], s[18:19] op_sel:[0,1]
	s_xor_b64 exec, exec, s[20:21]
	s_cbranch_execz .LBB7_2317
.LBB7_2337:
	v_cmp_ne_u16_e32 vcc, 0, v3
	s_andn2_b64 s[16:17], s[16:17], exec
	s_and_b64 s[18:19], vcc, exec
	v_pk_mov_b32 v[22:23], 0, 0
	s_or_b64 s[16:17], s[16:17], s[18:19]
	s_or_b64 exec, exec, s[20:21]
	s_and_saveexec_b64 s[18:19], s[16:17]
	s_cbranch_execnz .LBB7_2318
	s_branch .LBB7_2319
.LBB7_2338:
	s_mov_b64 s[6:7], -1
                                        ; implicit-def: $vgpr22_vgpr23
.LBB7_2339:
	s_mov_b64 s[20:21], 0
.LBB7_2340:
	s_mov_b64 s[16:17], 0
	s_and_b64 vcc, exec, s[20:21]
	s_cbranch_vccz .LBB7_2342
; %bb.2341:
	v_cmp_ne_u16_e64 s[6:7], s28, 11
	s_mov_b64 s[16:17], -1
                                        ; implicit-def: $vgpr22_vgpr23
.LBB7_2342:
	s_and_b64 vcc, exec, s[6:7]
	s_cbranch_vccnz .LBB7_2407
; %bb.2343:
	s_andn2_b64 vcc, exec, s[16:17]
	s_cbranch_vccnz .LBB7_2345
.LBB7_2344:
	global_load_ubyte v3, v[24:25], off
	v_mov_b32_e32 v5, 0x3ff00000
	v_mov_b32_e32 v22, 0
	s_mov_b64 s[18:19], -1
	s_waitcnt vmcnt(0)
	v_cmp_ne_u16_e32 vcc, 0, v3
	v_cndmask_b32_e32 v23, 0, v5, vcc
.LBB7_2345:
	s_mov_b64 s[6:7], 0
.LBB7_2346:
	s_and_b64 vcc, exec, s[6:7]
	s_cbranch_vccz .LBB7_2395
; %bb.2347:
	v_cmp_lt_i16_e64 s[6:7], s28, 5
	s_and_b64 vcc, exec, s[6:7]
	s_cbranch_vccnz .LBB7_2352
; %bb.2348:
	v_cmp_lt_i16_e64 s[6:7], s28, 8
	s_and_b64 vcc, exec, s[6:7]
	s_cbranch_vccnz .LBB7_2353
	;; [unrolled: 4-line block ×3, first 2 shown]
; %bb.2350:
	v_cmp_gt_i16_e64 s[6:7], s28, 9
	s_and_b64 vcc, exec, s[6:7]
	s_cbranch_vccz .LBB7_2355
; %bb.2351:
	global_load_dwordx2 v[22:23], v[24:25], off
	s_mov_b64 s[6:7], 0
	s_branch .LBB7_2356
.LBB7_2352:
	s_mov_b64 s[6:7], -1
                                        ; implicit-def: $vgpr22_vgpr23
	s_branch .LBB7_2374
.LBB7_2353:
	s_mov_b64 s[6:7], -1
                                        ; implicit-def: $vgpr22_vgpr23
	s_branch .LBB7_2362
.LBB7_2354:
	s_mov_b64 s[6:7], -1
                                        ; implicit-def: $vgpr22_vgpr23
	s_branch .LBB7_2359
.LBB7_2355:
	s_mov_b64 s[6:7], -1
                                        ; implicit-def: $vgpr22_vgpr23
.LBB7_2356:
	s_andn2_b64 vcc, exec, s[6:7]
	s_cbranch_vccnz .LBB7_2358
; %bb.2357:
	global_load_dword v3, v[24:25], off
	s_waitcnt vmcnt(0)
	v_cvt_f64_f32_e32 v[22:23], v3
.LBB7_2358:
	s_mov_b64 s[6:7], 0
.LBB7_2359:
	s_andn2_b64 vcc, exec, s[6:7]
	s_cbranch_vccnz .LBB7_2361
; %bb.2360:
	global_load_dword v3, v[24:25], off
	s_waitcnt vmcnt(0)
	v_cvt_f32_f16_e32 v3, v3
	v_cvt_f64_f32_e32 v[22:23], v3
.LBB7_2361:
	s_mov_b64 s[6:7], 0
.LBB7_2362:
	s_andn2_b64 vcc, exec, s[6:7]
	s_cbranch_vccnz .LBB7_2373
; %bb.2363:
	v_cmp_lt_i16_e64 s[6:7], s28, 6
	s_and_b64 vcc, exec, s[6:7]
	s_cbranch_vccnz .LBB7_2366
; %bb.2364:
	v_cmp_gt_i16_e64 s[6:7], s28, 6
	s_and_b64 vcc, exec, s[6:7]
	s_cbranch_vccz .LBB7_2367
; %bb.2365:
	global_load_dwordx2 v[22:23], v[24:25], off
	s_mov_b64 s[6:7], 0
	s_branch .LBB7_2368
.LBB7_2366:
	s_mov_b64 s[6:7], -1
                                        ; implicit-def: $vgpr22_vgpr23
	s_branch .LBB7_2371
.LBB7_2367:
	s_mov_b64 s[6:7], -1
                                        ; implicit-def: $vgpr22_vgpr23
.LBB7_2368:
	s_andn2_b64 vcc, exec, s[6:7]
	s_cbranch_vccnz .LBB7_2370
; %bb.2369:
	global_load_dword v3, v[24:25], off
	s_waitcnt vmcnt(0)
	v_cvt_f64_f32_e32 v[22:23], v3
.LBB7_2370:
	s_mov_b64 s[6:7], 0
.LBB7_2371:
	s_andn2_b64 vcc, exec, s[6:7]
	s_cbranch_vccnz .LBB7_2373
; %bb.2372:
	global_load_ushort v3, v[24:25], off
	s_waitcnt vmcnt(0)
	v_cvt_f32_f16_e32 v3, v3
	v_cvt_f64_f32_e32 v[22:23], v3
.LBB7_2373:
	s_mov_b64 s[6:7], 0
.LBB7_2374:
	s_andn2_b64 vcc, exec, s[6:7]
	s_cbranch_vccnz .LBB7_2394
; %bb.2375:
	v_cmp_lt_i16_e64 s[6:7], s28, 2
	s_and_b64 vcc, exec, s[6:7]
	s_cbranch_vccnz .LBB7_2379
; %bb.2376:
	v_cmp_lt_i16_e64 s[6:7], s28, 3
	s_and_b64 vcc, exec, s[6:7]
	s_cbranch_vccnz .LBB7_2380
; %bb.2377:
	v_cmp_gt_i16_e64 s[6:7], s28, 3
	s_and_b64 vcc, exec, s[6:7]
	s_cbranch_vccz .LBB7_2381
; %bb.2378:
	global_load_dwordx2 v[22:23], v[24:25], off
	s_mov_b64 s[6:7], 0
	s_waitcnt vmcnt(0)
	v_cvt_f64_i32_e32 v[26:27], v23
	v_cvt_f64_u32_e32 v[22:23], v22
	v_ldexp_f64 v[26:27], v[26:27], 32
	v_add_f64 v[22:23], v[26:27], v[22:23]
	s_branch .LBB7_2382
.LBB7_2379:
	s_mov_b64 s[6:7], -1
                                        ; implicit-def: $vgpr22_vgpr23
	s_branch .LBB7_2388
.LBB7_2380:
	s_mov_b64 s[6:7], -1
                                        ; implicit-def: $vgpr22_vgpr23
	s_branch .LBB7_2385
.LBB7_2381:
	s_mov_b64 s[6:7], -1
                                        ; implicit-def: $vgpr22_vgpr23
.LBB7_2382:
	s_andn2_b64 vcc, exec, s[6:7]
	s_cbranch_vccnz .LBB7_2384
; %bb.2383:
	global_load_dword v3, v[24:25], off
	s_waitcnt vmcnt(0)
	v_cvt_f64_i32_e32 v[22:23], v3
.LBB7_2384:
	s_mov_b64 s[6:7], 0
.LBB7_2385:
	s_andn2_b64 vcc, exec, s[6:7]
	s_cbranch_vccnz .LBB7_2387
; %bb.2386:
	global_load_sshort v3, v[24:25], off
	s_waitcnt vmcnt(0)
	v_cvt_f64_i32_e32 v[22:23], v3
.LBB7_2387:
	s_mov_b64 s[6:7], 0
.LBB7_2388:
	s_andn2_b64 vcc, exec, s[6:7]
	s_cbranch_vccnz .LBB7_2394
; %bb.2389:
	v_cmp_gt_i16_e64 s[6:7], s28, 0
	s_and_b64 vcc, exec, s[6:7]
	s_cbranch_vccz .LBB7_2391
; %bb.2390:
	global_load_sbyte v3, v[24:25], off
	s_mov_b64 s[6:7], 0
	s_waitcnt vmcnt(0)
	v_cvt_f64_i32_e32 v[22:23], v3
	s_branch .LBB7_2392
.LBB7_2391:
	s_mov_b64 s[6:7], -1
                                        ; implicit-def: $vgpr22_vgpr23
.LBB7_2392:
	s_andn2_b64 vcc, exec, s[6:7]
	s_cbranch_vccnz .LBB7_2394
; %bb.2393:
	global_load_ubyte v3, v[24:25], off
	s_waitcnt vmcnt(0)
	v_cvt_f64_u32_e32 v[22:23], v3
.LBB7_2394:
	s_mov_b64 s[18:19], -1
.LBB7_2395:
	s_andn2_b64 vcc, exec, s[18:19]
	s_cbranch_vccnz .LBB7_2950
; %bb.2396:
	v_mov_b32_e32 v3, s11
	v_add_co_u32_e32 v24, vcc, s10, v16
	v_addc_co_u32_e32 v25, vcc, 0, v3, vcc
	v_mov_b32_e32 v3, 11
	v_cmp_lt_i16_sdwa s[6:7], s27, v3 src0_sel:BYTE_0 src1_sel:DWORD
	s_and_b64 vcc, exec, s[6:7]
	s_cbranch_vccnz .LBB7_2403
; %bb.2397:
	v_mov_b32_e32 v3, 25
	v_cmp_gt_i16_sdwa s[6:7], s27, v3 src0_sel:BYTE_0 src1_sel:DWORD
	s_mov_b64 s[10:11], 0
	s_and_b64 vcc, exec, s[6:7]
	s_cbranch_vccz .LBB7_2404
; %bb.2398:
	v_mov_b32_e32 v3, 28
	v_cmp_gt_i16_sdwa s[6:7], s27, v3 src0_sel:BYTE_0 src1_sel:DWORD
	s_and_b64 vcc, exec, s[6:7]
	s_cbranch_vccz .LBB7_2405
; %bb.2399:
	v_mov_b32_e32 v3, 43
	v_cmp_gt_i16_sdwa s[6:7], s27, v3 src0_sel:BYTE_0 src1_sel:DWORD
	s_and_b64 vcc, exec, s[6:7]
	s_cbranch_vccz .LBB7_2406
; %bb.2400:
	v_mov_b32_e32 v3, 45
	v_cmp_gt_i16_sdwa s[6:7], s27, v3 src0_sel:BYTE_0 src1_sel:DWORD
	s_and_b64 vcc, exec, s[6:7]
	s_cbranch_vccz .LBB7_2408
; %bb.2401:
	v_mov_b32_e32 v3, 46
	v_cmp_eq_u16_sdwa s[6:7], s27, v3 src0_sel:BYTE_0 src1_sel:DWORD
	s_mov_b64 s[18:19], 0
	s_and_b64 vcc, exec, s[6:7]
	s_cbranch_vccz .LBB7_2409
; %bb.2402:
	global_load_dword v3, v[24:25], off
	s_mov_b64 s[6:7], 0
	s_mov_b64 s[16:17], -1
	s_waitcnt vmcnt(0)
	v_lshlrev_b32_e32 v3, 16, v3
	v_cvt_f64_f32_e32 v[16:17], v3
	s_branch .LBB7_2410
.LBB7_2403:
	s_mov_b64 s[6:7], -1
	s_mov_b64 s[16:17], 0
                                        ; implicit-def: $vgpr16_vgpr17
	s_branch .LBB7_2476
.LBB7_2404:
	s_mov_b64 s[18:19], -1
	s_mov_b64 s[16:17], 0
	s_mov_b64 s[6:7], 0
                                        ; implicit-def: $vgpr16_vgpr17
	s_branch .LBB7_2439
.LBB7_2405:
	s_mov_b64 s[18:19], -1
	s_mov_b64 s[16:17], 0
	s_mov_b64 s[6:7], 0
                                        ; implicit-def: $vgpr16_vgpr17
	s_branch .LBB7_2420
.LBB7_2406:
	s_mov_b64 s[18:19], -1
	s_mov_b64 s[16:17], 0
	s_mov_b64 s[6:7], 0
                                        ; implicit-def: $vgpr16_vgpr17
	s_branch .LBB7_2415
.LBB7_2407:
	s_trap 2
	s_or_b64 s[4:5], s[4:5], exec
                                        ; implicit-def: $vgpr22_vgpr23
	s_cbranch_execz .LBB7_2344
	s_branch .LBB7_2345
.LBB7_2408:
	s_mov_b64 s[18:19], -1
	s_mov_b64 s[16:17], 0
	s_mov_b64 s[6:7], 0
                                        ; implicit-def: $vgpr16_vgpr17
	s_branch .LBB7_2410
.LBB7_2409:
	s_mov_b64 s[6:7], -1
                                        ; implicit-def: $vgpr16_vgpr17
	s_mov_b64 s[16:17], 0
.LBB7_2410:
	s_and_b64 vcc, exec, s[18:19]
	s_cbranch_vccz .LBB7_2414
; %bb.2411:
	v_mov_b32_e32 v3, 44
	v_cmp_eq_u16_sdwa s[6:7], s27, v3 src0_sel:BYTE_0 src1_sel:DWORD
	s_and_b64 vcc, exec, s[6:7]
	s_cbranch_vccz .LBB7_2413
; %bb.2412:
	global_load_ubyte v3, v[24:25], off
	s_movk_i32 s16, 0xff
	v_bfrev_b32_e32 v5, 4
	v_mov_b32_e32 v7, 0x7ff80000
	v_bfrev_b32_e32 v9, 28
	s_mov_b64 s[6:7], 0
	s_waitcnt vmcnt(0)
	v_lshlrev_b32_e32 v11, 23, v3
	v_cvt_f64_f32_e32 v[16:17], v11
	v_cmp_ne_u32_e32 vcc, s16, v3
	v_cndmask_b32_e32 v5, v5, v16, vcc
	v_cndmask_b32_e32 v7, v7, v17, vcc
	v_cmp_ne_u32_e32 vcc, 0, v3
	v_cndmask_b32_e32 v17, v9, v7, vcc
	v_cndmask_b32_e32 v16, 0, v5, vcc
	s_mov_b64 s[16:17], -1
	s_branch .LBB7_2414
.LBB7_2413:
	s_mov_b64 s[6:7], -1
                                        ; implicit-def: $vgpr16_vgpr17
.LBB7_2414:
	s_mov_b64 s[18:19], 0
.LBB7_2415:
	s_and_b64 vcc, exec, s[18:19]
	s_cbranch_vccz .LBB7_2419
; %bb.2416:
	v_mov_b32_e32 v3, 29
	v_cmp_eq_u16_sdwa s[6:7], s27, v3 src0_sel:BYTE_0 src1_sel:DWORD
	s_and_b64 vcc, exec, s[6:7]
	s_cbranch_vccz .LBB7_2418
; %bb.2417:
	global_load_dwordx2 v[16:17], v[24:25], off
	s_mov_b64 s[6:7], 0
	s_mov_b64 s[16:17], -1
	s_mov_b64 s[18:19], 0
	s_waitcnt vmcnt(0)
	v_cvt_f64_u32_e32 v[26:27], v17
	v_cvt_f64_u32_e32 v[16:17], v16
	v_ldexp_f64 v[26:27], v[26:27], 32
	v_add_f64 v[16:17], v[26:27], v[16:17]
	s_branch .LBB7_2420
.LBB7_2418:
	s_mov_b64 s[6:7], -1
                                        ; implicit-def: $vgpr16_vgpr17
.LBB7_2419:
	s_mov_b64 s[18:19], 0
.LBB7_2420:
	s_and_b64 vcc, exec, s[18:19]
	s_cbranch_vccz .LBB7_2438
; %bb.2421:
	v_mov_b32_e32 v3, 27
	v_cmp_lt_i16_sdwa s[16:17], s27, v3 src0_sel:BYTE_0 src1_sel:DWORD
	s_and_b64 vcc, exec, s[16:17]
	s_cbranch_vccnz .LBB7_2424
; %bb.2422:
	v_cmp_gt_i16_sdwa s[16:17], s27, v3 src0_sel:BYTE_0 src1_sel:DWORD
	s_and_b64 vcc, exec, s[16:17]
	s_cbranch_vccz .LBB7_2425
; %bb.2423:
	global_load_dword v3, v[24:25], off
	s_mov_b64 s[16:17], 0
	s_waitcnt vmcnt(0)
	v_cvt_f64_u32_e32 v[16:17], v3
	s_branch .LBB7_2426
.LBB7_2424:
	s_mov_b64 s[16:17], -1
                                        ; implicit-def: $vgpr16_vgpr17
	s_branch .LBB7_2429
.LBB7_2425:
	s_mov_b64 s[16:17], -1
                                        ; implicit-def: $vgpr16_vgpr17
.LBB7_2426:
	s_andn2_b64 vcc, exec, s[16:17]
	s_cbranch_vccnz .LBB7_2428
; %bb.2427:
	global_load_ushort v3, v[24:25], off
	s_waitcnt vmcnt(0)
	v_cvt_f64_u32_e32 v[16:17], v3
.LBB7_2428:
	s_mov_b64 s[16:17], 0
.LBB7_2429:
	s_andn2_b64 vcc, exec, s[16:17]
	s_cbranch_vccnz .LBB7_2437
; %bb.2430:
	global_load_ubyte v3, v[24:25], off
	s_movk_i32 s16, 0x7f
                                        ; implicit-def: $sgpr18_sgpr19
	s_waitcnt vmcnt(0)
	v_cmp_lt_i16_e32 vcc, s16, v3
	s_mov_b64 s[16:17], 0
	s_and_saveexec_b64 s[20:21], vcc
	s_xor_b64 s[20:21], exec, s[20:21]
	s_cbranch_execz .LBB7_2451
; %bb.2431:
	s_movk_i32 s16, 0x80
	v_cmp_eq_u16_e32 vcc, s16, v3
	s_mov_b64 s[22:23], -1
                                        ; implicit-def: $sgpr18_sgpr19
	s_and_saveexec_b64 s[16:17], vcc
; %bb.2432:
	s_mov_b32 s19, 0x7ff80000
	s_brev_b32 s18, 4
	s_xor_b64 s[22:23], exec, -1
; %bb.2433:
	s_or_b64 exec, exec, s[16:17]
	s_and_b64 s[16:17], s[22:23], exec
	s_or_saveexec_b64 s[20:21], s[20:21]
	v_pk_mov_b32 v[16:17], s[18:19], s[18:19] op_sel:[0,1]
	s_xor_b64 exec, exec, s[20:21]
	s_cbranch_execnz .LBB7_2452
.LBB7_2434:
	s_or_b64 exec, exec, s[20:21]
	s_and_saveexec_b64 s[18:19], s[16:17]
	s_cbranch_execz .LBB7_2436
.LBB7_2435:
	v_lshlrev_b32_e32 v5, 24, v3
	v_and_b32_e32 v3, 0xffff, v3
	v_and_b32_e32 v7, 7, v3
	v_ffbh_u32_e32 v11, v7
	v_min_u32_e32 v11, 32, v11
	v_subrev_u32_e32 v16, 28, v11
	v_bfe_u32 v9, v3, 3, 4
	v_lshlrev_b32_e32 v3, v16, v3
	v_sub_u32_e32 v11, 29, v11
	v_and_b32_e32 v3, 7, v3
	v_cmp_eq_u32_e32 vcc, 0, v9
	v_cndmask_b32_e32 v9, v9, v11, vcc
	v_cndmask_b32_e32 v3, v7, v3, vcc
	v_mov_b32_e32 v7, 0x3b800000
	v_lshlrev_b32_e32 v3, 20, v3
	v_and_b32_e32 v5, 0x80000000, v5
	v_lshl_add_u32 v7, v9, 23, v7
	v_or3_b32 v3, v5, v7, v3
	v_cvt_f64_f32_e32 v[16:17], v3
.LBB7_2436:
	s_or_b64 exec, exec, s[18:19]
.LBB7_2437:
	s_mov_b64 s[16:17], -1
.LBB7_2438:
	s_mov_b64 s[18:19], 0
.LBB7_2439:
	s_and_b64 vcc, exec, s[18:19]
	s_cbranch_vccz .LBB7_2472
; %bb.2440:
	v_mov_b32_e32 v3, 22
	v_cmp_gt_i16_sdwa s[10:11], s27, v3 src0_sel:BYTE_0 src1_sel:DWORD
	s_and_b64 vcc, exec, s[10:11]
	s_cbranch_vccz .LBB7_2450
; %bb.2441:
	v_mov_b32_e32 v3, 24
	v_cmp_lt_i16_sdwa s[10:11], s27, v3 src0_sel:BYTE_0 src1_sel:DWORD
	s_and_b64 vcc, exec, s[10:11]
	s_cbranch_vccnz .LBB7_2453
; %bb.2442:
	v_cmp_gt_i16_sdwa s[10:11], s27, v3 src0_sel:BYTE_0 src1_sel:DWORD
	s_and_b64 vcc, exec, s[10:11]
	s_cbranch_vccz .LBB7_2454
; %bb.2443:
	global_load_ubyte v3, v[24:25], off
	s_movk_i32 s10, 0x7f
                                        ; implicit-def: $sgpr16_sgpr17
	s_waitcnt vmcnt(0)
	v_cmp_lt_i16_e32 vcc, s10, v3
	s_mov_b64 s[10:11], 0
	s_and_saveexec_b64 s[18:19], vcc
	s_xor_b64 s[18:19], exec, s[18:19]
	s_cbranch_execz .LBB7_2466
; %bb.2444:
	s_movk_i32 s10, 0x80
	v_cmp_eq_u16_e32 vcc, s10, v3
	s_mov_b64 s[20:21], -1
                                        ; implicit-def: $sgpr16_sgpr17
	s_and_saveexec_b64 s[10:11], vcc
; %bb.2445:
	s_mov_b32 s17, 0x7ff80000
	s_brev_b32 s16, 4
	s_xor_b64 s[20:21], exec, -1
; %bb.2446:
	s_or_b64 exec, exec, s[10:11]
	s_and_b64 s[10:11], s[20:21], exec
	s_or_saveexec_b64 s[18:19], s[18:19]
	v_pk_mov_b32 v[16:17], s[16:17], s[16:17] op_sel:[0,1]
	s_xor_b64 exec, exec, s[18:19]
	s_cbranch_execnz .LBB7_2467
.LBB7_2447:
	s_or_b64 exec, exec, s[18:19]
	s_and_saveexec_b64 s[16:17], s[10:11]
	s_cbranch_execz .LBB7_2449
.LBB7_2448:
	v_lshlrev_b32_e32 v5, 24, v3
	v_and_b32_e32 v3, 0xffff, v3
	v_and_b32_e32 v7, 3, v3
	v_ffbh_u32_e32 v11, v7
	v_min_u32_e32 v11, 32, v11
	v_subrev_u32_e32 v16, 29, v11
	v_bfe_u32 v9, v3, 2, 5
	v_lshlrev_b32_e32 v3, v16, v3
	v_sub_u32_e32 v11, 30, v11
	v_and_b32_e32 v3, 3, v3
	v_cmp_eq_u32_e32 vcc, 0, v9
	v_cndmask_b32_e32 v9, v9, v11, vcc
	v_cndmask_b32_e32 v3, v7, v3, vcc
	v_mov_b32_e32 v7, 0x37800000
	v_lshlrev_b32_e32 v3, 21, v3
	v_and_b32_e32 v5, 0x80000000, v5
	v_lshl_add_u32 v7, v9, 23, v7
	v_or3_b32 v3, v5, v7, v3
	v_cvt_f64_f32_e32 v[16:17], v3
.LBB7_2449:
	s_or_b64 exec, exec, s[16:17]
	s_mov_b64 s[10:11], 0
	s_branch .LBB7_2455
.LBB7_2450:
	s_mov_b64 s[10:11], -1
                                        ; implicit-def: $vgpr16_vgpr17
	s_branch .LBB7_2461
.LBB7_2451:
	s_or_saveexec_b64 s[20:21], s[20:21]
	v_pk_mov_b32 v[16:17], s[18:19], s[18:19] op_sel:[0,1]
	s_xor_b64 exec, exec, s[20:21]
	s_cbranch_execz .LBB7_2434
.LBB7_2452:
	v_cmp_ne_u16_e32 vcc, 0, v3
	s_andn2_b64 s[16:17], s[16:17], exec
	s_and_b64 s[18:19], vcc, exec
	v_pk_mov_b32 v[16:17], 0, 0
	s_or_b64 s[16:17], s[16:17], s[18:19]
	s_or_b64 exec, exec, s[20:21]
	s_and_saveexec_b64 s[18:19], s[16:17]
	s_cbranch_execnz .LBB7_2435
	s_branch .LBB7_2436
.LBB7_2453:
	s_mov_b64 s[10:11], -1
                                        ; implicit-def: $vgpr16_vgpr17
	s_branch .LBB7_2458
.LBB7_2454:
	s_mov_b64 s[10:11], -1
                                        ; implicit-def: $vgpr16_vgpr17
.LBB7_2455:
	s_and_b64 vcc, exec, s[10:11]
	s_cbranch_vccz .LBB7_2457
; %bb.2456:
	global_load_ubyte v3, v[24:25], off
	s_mov_b32 s10, 0x7f800000
	s_waitcnt vmcnt(0)
	v_lshlrev_b32_e32 v3, 24, v3
	v_and_b32_e32 v5, 0x7f000000, v3
	v_ffbh_u32_e32 v7, v5
	v_min_u32_e32 v7, 32, v7
	v_sub_u32_e64 v7, v7, 4 clamp
	v_lshlrev_b32_e32 v11, v7, v5
	v_lshlrev_b32_e32 v7, 23, v7
	v_lshrrev_b32_e32 v11, 4, v11
	v_add_u32_e32 v9, 0x1000000, v5
	v_sub_u32_e32 v7, v11, v7
	v_ashrrev_i32_e32 v9, 8, v9
	v_add_u32_e32 v7, 0x3c000000, v7
	v_and_or_b32 v7, v9, s10, v7
	v_cmp_ne_u32_e32 vcc, 0, v5
	v_cndmask_b32_e32 v5, 0, v7, vcc
	s_brev_b32 s10, 1
	v_and_or_b32 v3, v3, s10, v5
	v_cvt_f64_f32_e32 v[16:17], v3
.LBB7_2457:
	s_mov_b64 s[10:11], 0
.LBB7_2458:
	s_andn2_b64 vcc, exec, s[10:11]
	s_cbranch_vccnz .LBB7_2460
; %bb.2459:
	global_load_ubyte v3, v[24:25], off
	s_movk_i32 s10, 0x7f00
	s_brev_b32 s11, 16
	s_waitcnt vmcnt(0)
	v_lshlrev_b16_e32 v5, 8, v3
	v_lshlrev_b32_e32 v3, 25, v3
	v_lshrrev_b32_e32 v7, 4, v3
	v_and_or_b32 v9, v5, s10, 0.5
	v_or_b32_e32 v7, 0x70000000, v7
	v_add_f32_e32 v9, -0.5, v9
	v_mul_f32_e32 v7, 0x7800000, v7
	v_cmp_gt_u32_e32 vcc, s11, v3
	v_bfe_i32 v5, v5, 0, 16
	v_cndmask_b32_e32 v3, v7, v9, vcc
	s_brev_b32 s10, 1
	v_and_or_b32 v3, v5, s10, v3
	v_cvt_f64_f32_e32 v[16:17], v3
.LBB7_2460:
	s_mov_b64 s[10:11], 0
	s_mov_b64 s[16:17], -1
.LBB7_2461:
	s_andn2_b64 vcc, exec, s[10:11]
	s_mov_b64 s[10:11], 0
	s_cbranch_vccnz .LBB7_2472
; %bb.2462:
	v_mov_b32_e32 v3, 14
	v_cmp_gt_i16_sdwa s[10:11], s27, v3 src0_sel:BYTE_0 src1_sel:DWORD
	s_and_b64 vcc, exec, s[10:11]
	s_cbranch_vccz .LBB7_2465
; %bb.2463:
	v_mov_b32_e32 v3, 15
	v_cmp_eq_u16_sdwa s[6:7], s27, v3 src0_sel:BYTE_0 src1_sel:DWORD
	s_and_b64 vcc, exec, s[6:7]
	s_cbranch_vccz .LBB7_2468
; %bb.2464:
	global_load_ushort v3, v[24:25], off
	s_mov_b64 s[6:7], 0
	s_mov_b64 s[16:17], -1
	s_waitcnt vmcnt(0)
	v_lshlrev_b32_e32 v3, 16, v3
	v_cvt_f64_f32_e32 v[16:17], v3
	s_branch .LBB7_2469
.LBB7_2465:
	s_mov_b64 s[18:19], -1
                                        ; implicit-def: $vgpr16_vgpr17
	s_branch .LBB7_2470
.LBB7_2466:
	s_or_saveexec_b64 s[18:19], s[18:19]
	v_pk_mov_b32 v[16:17], s[16:17], s[16:17] op_sel:[0,1]
	s_xor_b64 exec, exec, s[18:19]
	s_cbranch_execz .LBB7_2447
.LBB7_2467:
	v_cmp_ne_u16_e32 vcc, 0, v3
	s_andn2_b64 s[10:11], s[10:11], exec
	s_and_b64 s[16:17], vcc, exec
	v_pk_mov_b32 v[16:17], 0, 0
	s_or_b64 s[10:11], s[10:11], s[16:17]
	s_or_b64 exec, exec, s[18:19]
	s_and_saveexec_b64 s[16:17], s[10:11]
	s_cbranch_execnz .LBB7_2448
	s_branch .LBB7_2449
.LBB7_2468:
	s_mov_b64 s[6:7], -1
                                        ; implicit-def: $vgpr16_vgpr17
.LBB7_2469:
	s_mov_b64 s[18:19], 0
.LBB7_2470:
	s_mov_b64 s[10:11], 0
	s_and_b64 vcc, exec, s[18:19]
	s_cbranch_vccz .LBB7_2472
; %bb.2471:
	v_mov_b32_e32 v3, 11
	v_cmp_ne_u16_sdwa s[6:7], s27, v3 src0_sel:BYTE_0 src1_sel:DWORD
	s_mov_b64 s[10:11], -1
                                        ; implicit-def: $vgpr16_vgpr17
.LBB7_2472:
	s_and_b64 vcc, exec, s[6:7]
	s_cbranch_vccnz .LBB7_2537
; %bb.2473:
	s_andn2_b64 vcc, exec, s[10:11]
	s_cbranch_vccnz .LBB7_2475
.LBB7_2474:
	global_load_ubyte v3, v[24:25], off
	v_mov_b32_e32 v5, 0x3ff00000
	v_mov_b32_e32 v16, 0
	s_mov_b64 s[16:17], -1
	s_waitcnt vmcnt(0)
	v_cmp_ne_u16_e32 vcc, 0, v3
	v_cndmask_b32_e32 v17, 0, v5, vcc
.LBB7_2475:
	s_mov_b64 s[6:7], 0
.LBB7_2476:
	s_and_b64 vcc, exec, s[6:7]
	s_cbranch_vccz .LBB7_2525
; %bb.2477:
	v_mov_b32_e32 v3, 5
	v_cmp_lt_i16_sdwa s[6:7], s27, v3 src0_sel:BYTE_0 src1_sel:DWORD
	s_and_b64 vcc, exec, s[6:7]
	s_cbranch_vccnz .LBB7_2482
; %bb.2478:
	v_mov_b32_e32 v3, 8
	v_cmp_lt_i16_sdwa s[6:7], s27, v3 src0_sel:BYTE_0 src1_sel:DWORD
	s_and_b64 vcc, exec, s[6:7]
	s_cbranch_vccnz .LBB7_2483
	;; [unrolled: 5-line block ×3, first 2 shown]
; %bb.2480:
	v_cmp_gt_i16_sdwa s[6:7], s27, v3 src0_sel:BYTE_0 src1_sel:DWORD
	s_and_b64 vcc, exec, s[6:7]
	s_cbranch_vccz .LBB7_2485
; %bb.2481:
	global_load_dwordx2 v[16:17], v[24:25], off
	s_mov_b64 s[6:7], 0
	s_branch .LBB7_2486
.LBB7_2482:
	s_mov_b64 s[6:7], -1
                                        ; implicit-def: $vgpr16_vgpr17
	s_branch .LBB7_2504
.LBB7_2483:
	s_mov_b64 s[6:7], -1
                                        ; implicit-def: $vgpr16_vgpr17
	s_branch .LBB7_2492
.LBB7_2484:
	s_mov_b64 s[6:7], -1
                                        ; implicit-def: $vgpr16_vgpr17
	s_branch .LBB7_2489
.LBB7_2485:
	s_mov_b64 s[6:7], -1
                                        ; implicit-def: $vgpr16_vgpr17
.LBB7_2486:
	s_andn2_b64 vcc, exec, s[6:7]
	s_cbranch_vccnz .LBB7_2488
; %bb.2487:
	global_load_dword v3, v[24:25], off
	s_waitcnt vmcnt(0)
	v_cvt_f64_f32_e32 v[16:17], v3
.LBB7_2488:
	s_mov_b64 s[6:7], 0
.LBB7_2489:
	s_andn2_b64 vcc, exec, s[6:7]
	s_cbranch_vccnz .LBB7_2491
; %bb.2490:
	global_load_dword v3, v[24:25], off
	s_waitcnt vmcnt(0)
	v_cvt_f32_f16_e32 v3, v3
	v_cvt_f64_f32_e32 v[16:17], v3
.LBB7_2491:
	s_mov_b64 s[6:7], 0
.LBB7_2492:
	s_andn2_b64 vcc, exec, s[6:7]
	s_cbranch_vccnz .LBB7_2503
; %bb.2493:
	v_mov_b32_e32 v3, 6
	v_cmp_lt_i16_sdwa s[6:7], s27, v3 src0_sel:BYTE_0 src1_sel:DWORD
	s_and_b64 vcc, exec, s[6:7]
	s_cbranch_vccnz .LBB7_2496
; %bb.2494:
	v_cmp_gt_i16_sdwa s[6:7], s27, v3 src0_sel:BYTE_0 src1_sel:DWORD
	s_and_b64 vcc, exec, s[6:7]
	s_cbranch_vccz .LBB7_2497
; %bb.2495:
	global_load_dwordx2 v[16:17], v[24:25], off
	s_mov_b64 s[6:7], 0
	s_branch .LBB7_2498
.LBB7_2496:
	s_mov_b64 s[6:7], -1
                                        ; implicit-def: $vgpr16_vgpr17
	s_branch .LBB7_2501
.LBB7_2497:
	s_mov_b64 s[6:7], -1
                                        ; implicit-def: $vgpr16_vgpr17
.LBB7_2498:
	s_andn2_b64 vcc, exec, s[6:7]
	s_cbranch_vccnz .LBB7_2500
; %bb.2499:
	global_load_dword v3, v[24:25], off
	s_waitcnt vmcnt(0)
	v_cvt_f64_f32_e32 v[16:17], v3
.LBB7_2500:
	s_mov_b64 s[6:7], 0
.LBB7_2501:
	s_andn2_b64 vcc, exec, s[6:7]
	s_cbranch_vccnz .LBB7_2503
; %bb.2502:
	global_load_ushort v3, v[24:25], off
	s_waitcnt vmcnt(0)
	v_cvt_f32_f16_e32 v3, v3
	v_cvt_f64_f32_e32 v[16:17], v3
.LBB7_2503:
	s_mov_b64 s[6:7], 0
.LBB7_2504:
	s_andn2_b64 vcc, exec, s[6:7]
	s_cbranch_vccnz .LBB7_2524
; %bb.2505:
	v_mov_b32_e32 v3, 2
	v_cmp_lt_i16_sdwa s[6:7], s27, v3 src0_sel:BYTE_0 src1_sel:DWORD
	s_and_b64 vcc, exec, s[6:7]
	s_cbranch_vccnz .LBB7_2509
; %bb.2506:
	v_mov_b32_e32 v3, 3
	v_cmp_lt_i16_sdwa s[6:7], s27, v3 src0_sel:BYTE_0 src1_sel:DWORD
	s_and_b64 vcc, exec, s[6:7]
	s_cbranch_vccnz .LBB7_2510
; %bb.2507:
	v_cmp_gt_i16_sdwa s[6:7], s27, v3 src0_sel:BYTE_0 src1_sel:DWORD
	s_and_b64 vcc, exec, s[6:7]
	s_cbranch_vccz .LBB7_2511
; %bb.2508:
	global_load_dwordx2 v[16:17], v[24:25], off
	s_mov_b64 s[6:7], 0
	s_waitcnt vmcnt(0)
	v_cvt_f64_i32_e32 v[26:27], v17
	v_cvt_f64_u32_e32 v[16:17], v16
	v_ldexp_f64 v[26:27], v[26:27], 32
	v_add_f64 v[16:17], v[26:27], v[16:17]
	s_branch .LBB7_2512
.LBB7_2509:
	s_mov_b64 s[6:7], -1
                                        ; implicit-def: $vgpr16_vgpr17
	s_branch .LBB7_2518
.LBB7_2510:
	s_mov_b64 s[6:7], -1
                                        ; implicit-def: $vgpr16_vgpr17
	s_branch .LBB7_2515
.LBB7_2511:
	s_mov_b64 s[6:7], -1
                                        ; implicit-def: $vgpr16_vgpr17
.LBB7_2512:
	s_andn2_b64 vcc, exec, s[6:7]
	s_cbranch_vccnz .LBB7_2514
; %bb.2513:
	global_load_dword v3, v[24:25], off
	s_waitcnt vmcnt(0)
	v_cvt_f64_i32_e32 v[16:17], v3
.LBB7_2514:
	s_mov_b64 s[6:7], 0
.LBB7_2515:
	s_andn2_b64 vcc, exec, s[6:7]
	s_cbranch_vccnz .LBB7_2517
; %bb.2516:
	global_load_sshort v3, v[24:25], off
	s_waitcnt vmcnt(0)
	v_cvt_f64_i32_e32 v[16:17], v3
.LBB7_2517:
	s_mov_b64 s[6:7], 0
.LBB7_2518:
	s_andn2_b64 vcc, exec, s[6:7]
	s_cbranch_vccnz .LBB7_2524
; %bb.2519:
	v_mov_b32_e32 v3, 0
	v_cmp_gt_i16_sdwa s[6:7], s27, v3 src0_sel:BYTE_0 src1_sel:DWORD
	s_and_b64 vcc, exec, s[6:7]
	s_cbranch_vccz .LBB7_2521
; %bb.2520:
	global_load_sbyte v3, v[24:25], off
	s_mov_b64 s[6:7], 0
	s_waitcnt vmcnt(0)
	v_cvt_f64_i32_e32 v[16:17], v3
	s_branch .LBB7_2522
.LBB7_2521:
	s_mov_b64 s[6:7], -1
                                        ; implicit-def: $vgpr16_vgpr17
.LBB7_2522:
	s_andn2_b64 vcc, exec, s[6:7]
	s_cbranch_vccnz .LBB7_2524
; %bb.2523:
	global_load_ubyte v3, v[24:25], off
	s_waitcnt vmcnt(0)
	v_cvt_f64_u32_e32 v[16:17], v3
.LBB7_2524:
	s_mov_b64 s[16:17], -1
.LBB7_2525:
	s_andn2_b64 vcc, exec, s[16:17]
	s_cbranch_vccnz .LBB7_2950
; %bb.2526:
	v_mov_b32_e32 v3, s1
	v_add_co_u32_e32 v24, vcc, s0, v10
	v_addc_co_u32_e32 v25, vcc, 0, v3, vcc
	s_and_b64 vcc, exec, s[2:3]
	s_cbranch_vccnz .LBB7_2533
; %bb.2527:
	v_cmp_gt_i16_e64 s[0:1], s28, 25
	s_mov_b64 s[2:3], 0
	s_and_b64 vcc, exec, s[0:1]
	s_cbranch_vccz .LBB7_2534
; %bb.2528:
	v_cmp_gt_i16_e64 s[0:1], s28, 28
	s_and_b64 vcc, exec, s[0:1]
	s_cbranch_vccz .LBB7_2535
; %bb.2529:
	v_cmp_gt_i16_e64 s[0:1], s28, 43
	;; [unrolled: 4-line block ×3, first 2 shown]
	s_and_b64 vcc, exec, s[0:1]
	s_cbranch_vccz .LBB7_2538
; %bb.2531:
	v_cmp_eq_u16_e64 s[0:1], s28, 46
	s_mov_b64 s[10:11], 0
	s_and_b64 vcc, exec, s[0:1]
	s_cbranch_vccz .LBB7_2539
; %bb.2532:
	global_load_dword v3, v[24:25], off
	s_mov_b64 s[0:1], 0
	s_mov_b64 s[6:7], -1
	s_waitcnt vmcnt(0)
	v_lshlrev_b32_e32 v3, 16, v3
	v_cvt_f64_f32_e32 v[10:11], v3
	s_branch .LBB7_2540
.LBB7_2533:
	s_mov_b64 s[0:1], -1
	s_mov_b64 s[6:7], 0
                                        ; implicit-def: $vgpr10_vgpr11
	s_branch .LBB7_2606
.LBB7_2534:
	s_mov_b64 s[10:11], -1
	s_mov_b64 s[6:7], 0
	s_mov_b64 s[0:1], 0
                                        ; implicit-def: $vgpr10_vgpr11
	s_branch .LBB7_2569
.LBB7_2535:
	s_mov_b64 s[10:11], -1
	s_mov_b64 s[6:7], 0
	s_mov_b64 s[0:1], 0
                                        ; implicit-def: $vgpr10_vgpr11
	s_branch .LBB7_2550
.LBB7_2536:
	s_mov_b64 s[10:11], -1
	s_mov_b64 s[6:7], 0
	s_mov_b64 s[0:1], 0
                                        ; implicit-def: $vgpr10_vgpr11
	s_branch .LBB7_2545
.LBB7_2537:
	s_trap 2
	s_or_b64 s[4:5], s[4:5], exec
                                        ; implicit-def: $vgpr16_vgpr17
	s_cbranch_execz .LBB7_2474
	s_branch .LBB7_2475
.LBB7_2538:
	s_mov_b64 s[10:11], -1
	s_mov_b64 s[6:7], 0
	s_mov_b64 s[0:1], 0
                                        ; implicit-def: $vgpr10_vgpr11
	s_branch .LBB7_2540
.LBB7_2539:
	s_mov_b64 s[0:1], -1
                                        ; implicit-def: $vgpr10_vgpr11
	s_mov_b64 s[6:7], 0
.LBB7_2540:
	s_and_b64 vcc, exec, s[10:11]
	s_cbranch_vccz .LBB7_2544
; %bb.2541:
	v_cmp_eq_u16_e64 s[0:1], s28, 44
	s_and_b64 vcc, exec, s[0:1]
	s_cbranch_vccz .LBB7_2543
; %bb.2542:
	global_load_ubyte v3, v[24:25], off
	s_movk_i32 s6, 0xff
	v_bfrev_b32_e32 v5, 4
	v_mov_b32_e32 v7, 0x7ff80000
	v_bfrev_b32_e32 v9, 28
	s_mov_b64 s[0:1], 0
	s_waitcnt vmcnt(0)
	v_lshlrev_b32_e32 v10, 23, v3
	v_cvt_f64_f32_e32 v[10:11], v10
	v_cmp_ne_u32_e32 vcc, s6, v3
	v_cndmask_b32_e32 v5, v5, v10, vcc
	v_cndmask_b32_e32 v7, v7, v11, vcc
	v_cmp_ne_u32_e32 vcc, 0, v3
	v_cndmask_b32_e32 v11, v9, v7, vcc
	v_cndmask_b32_e32 v10, 0, v5, vcc
	s_mov_b64 s[6:7], -1
	s_branch .LBB7_2544
.LBB7_2543:
	s_mov_b64 s[0:1], -1
                                        ; implicit-def: $vgpr10_vgpr11
.LBB7_2544:
	s_mov_b64 s[10:11], 0
.LBB7_2545:
	s_and_b64 vcc, exec, s[10:11]
	s_cbranch_vccz .LBB7_2549
; %bb.2546:
	v_cmp_eq_u16_e64 s[0:1], s28, 29
	s_and_b64 vcc, exec, s[0:1]
	s_cbranch_vccz .LBB7_2548
; %bb.2547:
	global_load_dwordx2 v[10:11], v[24:25], off
	s_mov_b64 s[0:1], 0
	s_mov_b64 s[6:7], -1
	s_mov_b64 s[10:11], 0
	s_waitcnt vmcnt(0)
	v_cvt_f64_u32_e32 v[26:27], v11
	v_cvt_f64_u32_e32 v[10:11], v10
	v_ldexp_f64 v[26:27], v[26:27], 32
	v_add_f64 v[10:11], v[26:27], v[10:11]
	s_branch .LBB7_2550
.LBB7_2548:
	s_mov_b64 s[0:1], -1
                                        ; implicit-def: $vgpr10_vgpr11
.LBB7_2549:
	s_mov_b64 s[10:11], 0
.LBB7_2550:
	s_and_b64 vcc, exec, s[10:11]
	s_cbranch_vccz .LBB7_2568
; %bb.2551:
	v_cmp_lt_i16_e64 s[6:7], s28, 27
	s_and_b64 vcc, exec, s[6:7]
	s_cbranch_vccnz .LBB7_2554
; %bb.2552:
	v_cmp_gt_i16_e64 s[6:7], s28, 27
	s_and_b64 vcc, exec, s[6:7]
	s_cbranch_vccz .LBB7_2555
; %bb.2553:
	global_load_dword v3, v[24:25], off
	s_mov_b64 s[6:7], 0
	s_waitcnt vmcnt(0)
	v_cvt_f64_u32_e32 v[10:11], v3
	s_branch .LBB7_2556
.LBB7_2554:
	s_mov_b64 s[6:7], -1
                                        ; implicit-def: $vgpr10_vgpr11
	s_branch .LBB7_2559
.LBB7_2555:
	s_mov_b64 s[6:7], -1
                                        ; implicit-def: $vgpr10_vgpr11
.LBB7_2556:
	s_andn2_b64 vcc, exec, s[6:7]
	s_cbranch_vccnz .LBB7_2558
; %bb.2557:
	global_load_ushort v3, v[24:25], off
	s_waitcnt vmcnt(0)
	v_cvt_f64_u32_e32 v[10:11], v3
.LBB7_2558:
	s_mov_b64 s[6:7], 0
.LBB7_2559:
	s_andn2_b64 vcc, exec, s[6:7]
	s_cbranch_vccnz .LBB7_2567
; %bb.2560:
	global_load_ubyte v3, v[24:25], off
	s_movk_i32 s6, 0x7f
                                        ; implicit-def: $sgpr10_sgpr11
	s_waitcnt vmcnt(0)
	v_cmp_lt_i16_e32 vcc, s6, v3
	s_mov_b64 s[6:7], 0
	s_and_saveexec_b64 s[16:17], vcc
	s_xor_b64 s[16:17], exec, s[16:17]
	s_cbranch_execz .LBB7_2581
; %bb.2561:
	s_movk_i32 s6, 0x80
	v_cmp_eq_u16_e32 vcc, s6, v3
	s_mov_b64 s[18:19], -1
                                        ; implicit-def: $sgpr10_sgpr11
	s_and_saveexec_b64 s[6:7], vcc
; %bb.2562:
	s_mov_b32 s11, 0x7ff80000
	s_brev_b32 s10, 4
	s_xor_b64 s[18:19], exec, -1
; %bb.2563:
	s_or_b64 exec, exec, s[6:7]
	s_and_b64 s[6:7], s[18:19], exec
	s_or_saveexec_b64 s[16:17], s[16:17]
	v_pk_mov_b32 v[10:11], s[10:11], s[10:11] op_sel:[0,1]
	s_xor_b64 exec, exec, s[16:17]
	s_cbranch_execnz .LBB7_2582
.LBB7_2564:
	s_or_b64 exec, exec, s[16:17]
	s_and_saveexec_b64 s[10:11], s[6:7]
	s_cbranch_execz .LBB7_2566
.LBB7_2565:
	v_lshlrev_b32_e32 v5, 24, v3
	v_and_b32_e32 v3, 0xffff, v3
	v_and_b32_e32 v7, 7, v3
	v_ffbh_u32_e32 v10, v7
	v_min_u32_e32 v10, 32, v10
	v_subrev_u32_e32 v11, 28, v10
	v_bfe_u32 v9, v3, 3, 4
	v_lshlrev_b32_e32 v3, v11, v3
	v_sub_u32_e32 v10, 29, v10
	v_and_b32_e32 v3, 7, v3
	v_cmp_eq_u32_e32 vcc, 0, v9
	v_cndmask_b32_e32 v9, v9, v10, vcc
	v_cndmask_b32_e32 v3, v7, v3, vcc
	v_mov_b32_e32 v7, 0x3b800000
	v_lshlrev_b32_e32 v3, 20, v3
	v_and_b32_e32 v5, 0x80000000, v5
	v_lshl_add_u32 v7, v9, 23, v7
	v_or3_b32 v3, v5, v7, v3
	v_cvt_f64_f32_e32 v[10:11], v3
.LBB7_2566:
	s_or_b64 exec, exec, s[10:11]
.LBB7_2567:
	s_mov_b64 s[6:7], -1
.LBB7_2568:
	s_mov_b64 s[10:11], 0
.LBB7_2569:
	s_and_b64 vcc, exec, s[10:11]
	s_cbranch_vccz .LBB7_2602
; %bb.2570:
	v_cmp_gt_i16_e64 s[2:3], s28, 22
	s_and_b64 vcc, exec, s[2:3]
	s_cbranch_vccz .LBB7_2580
; %bb.2571:
	v_cmp_lt_i16_e64 s[2:3], s28, 24
	s_and_b64 vcc, exec, s[2:3]
	s_cbranch_vccnz .LBB7_2583
; %bb.2572:
	v_cmp_gt_i16_e64 s[2:3], s28, 24
	s_and_b64 vcc, exec, s[2:3]
	s_cbranch_vccz .LBB7_2584
; %bb.2573:
	global_load_ubyte v3, v[24:25], off
	s_movk_i32 s2, 0x7f
                                        ; implicit-def: $sgpr6_sgpr7
	s_waitcnt vmcnt(0)
	v_cmp_lt_i16_e32 vcc, s2, v3
	s_mov_b64 s[2:3], 0
	s_and_saveexec_b64 s[10:11], vcc
	s_xor_b64 s[10:11], exec, s[10:11]
	s_cbranch_execz .LBB7_2596
; %bb.2574:
	s_movk_i32 s2, 0x80
	v_cmp_eq_u16_e32 vcc, s2, v3
	s_mov_b64 s[16:17], -1
                                        ; implicit-def: $sgpr6_sgpr7
	s_and_saveexec_b64 s[2:3], vcc
; %bb.2575:
	s_mov_b32 s7, 0x7ff80000
	s_brev_b32 s6, 4
	s_xor_b64 s[16:17], exec, -1
; %bb.2576:
	s_or_b64 exec, exec, s[2:3]
	s_and_b64 s[2:3], s[16:17], exec
	s_or_saveexec_b64 s[10:11], s[10:11]
	v_pk_mov_b32 v[10:11], s[6:7], s[6:7] op_sel:[0,1]
	s_xor_b64 exec, exec, s[10:11]
	s_cbranch_execnz .LBB7_2597
.LBB7_2577:
	s_or_b64 exec, exec, s[10:11]
	s_and_saveexec_b64 s[6:7], s[2:3]
	s_cbranch_execz .LBB7_2579
.LBB7_2578:
	v_lshlrev_b32_e32 v5, 24, v3
	v_and_b32_e32 v3, 0xffff, v3
	v_and_b32_e32 v7, 3, v3
	v_ffbh_u32_e32 v10, v7
	v_min_u32_e32 v10, 32, v10
	v_subrev_u32_e32 v11, 29, v10
	v_bfe_u32 v9, v3, 2, 5
	v_lshlrev_b32_e32 v3, v11, v3
	v_sub_u32_e32 v10, 30, v10
	v_and_b32_e32 v3, 3, v3
	v_cmp_eq_u32_e32 vcc, 0, v9
	v_cndmask_b32_e32 v9, v9, v10, vcc
	v_cndmask_b32_e32 v3, v7, v3, vcc
	v_mov_b32_e32 v7, 0x37800000
	v_lshlrev_b32_e32 v3, 21, v3
	v_and_b32_e32 v5, 0x80000000, v5
	v_lshl_add_u32 v7, v9, 23, v7
	v_or3_b32 v3, v5, v7, v3
	v_cvt_f64_f32_e32 v[10:11], v3
.LBB7_2579:
	s_or_b64 exec, exec, s[6:7]
	s_mov_b64 s[2:3], 0
	s_branch .LBB7_2585
.LBB7_2580:
	s_mov_b64 s[2:3], -1
                                        ; implicit-def: $vgpr10_vgpr11
	s_branch .LBB7_2591
.LBB7_2581:
	s_or_saveexec_b64 s[16:17], s[16:17]
	v_pk_mov_b32 v[10:11], s[10:11], s[10:11] op_sel:[0,1]
	s_xor_b64 exec, exec, s[16:17]
	s_cbranch_execz .LBB7_2564
.LBB7_2582:
	v_cmp_ne_u16_e32 vcc, 0, v3
	s_andn2_b64 s[6:7], s[6:7], exec
	s_and_b64 s[10:11], vcc, exec
	v_pk_mov_b32 v[10:11], 0, 0
	s_or_b64 s[6:7], s[6:7], s[10:11]
	s_or_b64 exec, exec, s[16:17]
	s_and_saveexec_b64 s[10:11], s[6:7]
	s_cbranch_execnz .LBB7_2565
	s_branch .LBB7_2566
.LBB7_2583:
	s_mov_b64 s[2:3], -1
                                        ; implicit-def: $vgpr10_vgpr11
	s_branch .LBB7_2588
.LBB7_2584:
	s_mov_b64 s[2:3], -1
                                        ; implicit-def: $vgpr10_vgpr11
.LBB7_2585:
	s_and_b64 vcc, exec, s[2:3]
	s_cbranch_vccz .LBB7_2587
; %bb.2586:
	global_load_ubyte v3, v[24:25], off
	s_mov_b32 s2, 0x7f800000
	s_waitcnt vmcnt(0)
	v_lshlrev_b32_e32 v3, 24, v3
	v_and_b32_e32 v5, 0x7f000000, v3
	v_ffbh_u32_e32 v7, v5
	v_min_u32_e32 v7, 32, v7
	v_sub_u32_e64 v7, v7, 4 clamp
	v_lshlrev_b32_e32 v10, v7, v5
	v_lshlrev_b32_e32 v7, 23, v7
	v_lshrrev_b32_e32 v10, 4, v10
	v_add_u32_e32 v9, 0x1000000, v5
	v_sub_u32_e32 v7, v10, v7
	v_ashrrev_i32_e32 v9, 8, v9
	v_add_u32_e32 v7, 0x3c000000, v7
	v_and_or_b32 v7, v9, s2, v7
	v_cmp_ne_u32_e32 vcc, 0, v5
	v_cndmask_b32_e32 v5, 0, v7, vcc
	s_brev_b32 s2, 1
	v_and_or_b32 v3, v3, s2, v5
	v_cvt_f64_f32_e32 v[10:11], v3
.LBB7_2587:
	s_mov_b64 s[2:3], 0
.LBB7_2588:
	s_andn2_b64 vcc, exec, s[2:3]
	s_cbranch_vccnz .LBB7_2590
; %bb.2589:
	global_load_ubyte v3, v[24:25], off
	s_movk_i32 s2, 0x7f00
	s_brev_b32 s3, 16
	s_waitcnt vmcnt(0)
	v_lshlrev_b16_e32 v5, 8, v3
	v_lshlrev_b32_e32 v3, 25, v3
	v_lshrrev_b32_e32 v7, 4, v3
	v_and_or_b32 v9, v5, s2, 0.5
	v_or_b32_e32 v7, 0x70000000, v7
	v_add_f32_e32 v9, -0.5, v9
	v_mul_f32_e32 v7, 0x7800000, v7
	v_cmp_gt_u32_e32 vcc, s3, v3
	v_bfe_i32 v5, v5, 0, 16
	v_cndmask_b32_e32 v3, v7, v9, vcc
	s_brev_b32 s2, 1
	v_and_or_b32 v3, v5, s2, v3
	v_cvt_f64_f32_e32 v[10:11], v3
.LBB7_2590:
	s_mov_b64 s[2:3], 0
	s_mov_b64 s[6:7], -1
.LBB7_2591:
	s_andn2_b64 vcc, exec, s[2:3]
	s_mov_b64 s[2:3], 0
	s_cbranch_vccnz .LBB7_2602
; %bb.2592:
	v_cmp_gt_i16_e64 s[2:3], s28, 14
	s_and_b64 vcc, exec, s[2:3]
	s_cbranch_vccz .LBB7_2595
; %bb.2593:
	v_cmp_eq_u16_e64 s[0:1], s28, 15
	s_and_b64 vcc, exec, s[0:1]
	s_cbranch_vccz .LBB7_2598
; %bb.2594:
	global_load_ushort v3, v[24:25], off
	s_mov_b64 s[0:1], 0
	s_mov_b64 s[6:7], -1
	s_waitcnt vmcnt(0)
	v_lshlrev_b32_e32 v3, 16, v3
	v_cvt_f64_f32_e32 v[10:11], v3
	s_branch .LBB7_2599
.LBB7_2595:
	s_mov_b64 s[10:11], -1
                                        ; implicit-def: $vgpr10_vgpr11
	s_branch .LBB7_2600
.LBB7_2596:
	s_or_saveexec_b64 s[10:11], s[10:11]
	v_pk_mov_b32 v[10:11], s[6:7], s[6:7] op_sel:[0,1]
	s_xor_b64 exec, exec, s[10:11]
	s_cbranch_execz .LBB7_2577
.LBB7_2597:
	v_cmp_ne_u16_e32 vcc, 0, v3
	s_andn2_b64 s[2:3], s[2:3], exec
	s_and_b64 s[6:7], vcc, exec
	v_pk_mov_b32 v[10:11], 0, 0
	s_or_b64 s[2:3], s[2:3], s[6:7]
	s_or_b64 exec, exec, s[10:11]
	s_and_saveexec_b64 s[6:7], s[2:3]
	s_cbranch_execnz .LBB7_2578
	s_branch .LBB7_2579
.LBB7_2598:
	s_mov_b64 s[0:1], -1
                                        ; implicit-def: $vgpr10_vgpr11
.LBB7_2599:
	s_mov_b64 s[10:11], 0
.LBB7_2600:
	s_mov_b64 s[2:3], 0
	s_and_b64 vcc, exec, s[10:11]
	s_cbranch_vccz .LBB7_2602
; %bb.2601:
	v_cmp_ne_u16_e64 s[0:1], s28, 11
	s_mov_b64 s[2:3], -1
                                        ; implicit-def: $vgpr10_vgpr11
.LBB7_2602:
	s_and_b64 vcc, exec, s[0:1]
	s_cbranch_vccnz .LBB7_2704
; %bb.2603:
	s_andn2_b64 vcc, exec, s[2:3]
	s_cbranch_vccnz .LBB7_2605
.LBB7_2604:
	global_load_ubyte v3, v[24:25], off
	v_mov_b32_e32 v5, 0x3ff00000
	v_mov_b32_e32 v10, 0
	s_mov_b64 s[6:7], -1
	s_waitcnt vmcnt(0)
	v_cmp_ne_u16_e32 vcc, 0, v3
	v_cndmask_b32_e32 v11, 0, v5, vcc
.LBB7_2605:
	s_mov_b64 s[0:1], 0
.LBB7_2606:
	s_and_b64 vcc, exec, s[0:1]
	s_cbranch_vccz .LBB7_2655
; %bb.2607:
	v_cmp_lt_i16_e64 s[0:1], s28, 5
	s_and_b64 vcc, exec, s[0:1]
	s_cbranch_vccnz .LBB7_2612
; %bb.2608:
	v_cmp_lt_i16_e64 s[0:1], s28, 8
	s_and_b64 vcc, exec, s[0:1]
	s_cbranch_vccnz .LBB7_2613
	;; [unrolled: 4-line block ×3, first 2 shown]
; %bb.2610:
	v_cmp_gt_i16_e64 s[0:1], s28, 9
	s_and_b64 vcc, exec, s[0:1]
	s_cbranch_vccz .LBB7_2615
; %bb.2611:
	global_load_dwordx2 v[10:11], v[24:25], off
	s_mov_b64 s[0:1], 0
	s_branch .LBB7_2616
.LBB7_2612:
	s_mov_b64 s[0:1], -1
                                        ; implicit-def: $vgpr10_vgpr11
	s_branch .LBB7_2634
.LBB7_2613:
	s_mov_b64 s[0:1], -1
                                        ; implicit-def: $vgpr10_vgpr11
	s_branch .LBB7_2622
.LBB7_2614:
	s_mov_b64 s[0:1], -1
                                        ; implicit-def: $vgpr10_vgpr11
	s_branch .LBB7_2619
.LBB7_2615:
	s_mov_b64 s[0:1], -1
                                        ; implicit-def: $vgpr10_vgpr11
.LBB7_2616:
	s_andn2_b64 vcc, exec, s[0:1]
	s_cbranch_vccnz .LBB7_2618
; %bb.2617:
	global_load_dword v3, v[24:25], off
	s_waitcnt vmcnt(0)
	v_cvt_f64_f32_e32 v[10:11], v3
.LBB7_2618:
	s_mov_b64 s[0:1], 0
.LBB7_2619:
	s_andn2_b64 vcc, exec, s[0:1]
	s_cbranch_vccnz .LBB7_2621
; %bb.2620:
	global_load_dword v3, v[24:25], off
	s_waitcnt vmcnt(0)
	v_cvt_f32_f16_e32 v3, v3
	v_cvt_f64_f32_e32 v[10:11], v3
.LBB7_2621:
	s_mov_b64 s[0:1], 0
.LBB7_2622:
	s_andn2_b64 vcc, exec, s[0:1]
	s_cbranch_vccnz .LBB7_2633
; %bb.2623:
	v_cmp_lt_i16_e64 s[0:1], s28, 6
	s_and_b64 vcc, exec, s[0:1]
	s_cbranch_vccnz .LBB7_2626
; %bb.2624:
	v_cmp_gt_i16_e64 s[0:1], s28, 6
	s_and_b64 vcc, exec, s[0:1]
	s_cbranch_vccz .LBB7_2627
; %bb.2625:
	global_load_dwordx2 v[10:11], v[24:25], off
	s_mov_b64 s[0:1], 0
	s_branch .LBB7_2628
.LBB7_2626:
	s_mov_b64 s[0:1], -1
                                        ; implicit-def: $vgpr10_vgpr11
	s_branch .LBB7_2631
.LBB7_2627:
	s_mov_b64 s[0:1], -1
                                        ; implicit-def: $vgpr10_vgpr11
.LBB7_2628:
	s_andn2_b64 vcc, exec, s[0:1]
	s_cbranch_vccnz .LBB7_2630
; %bb.2629:
	global_load_dword v3, v[24:25], off
	s_waitcnt vmcnt(0)
	v_cvt_f64_f32_e32 v[10:11], v3
.LBB7_2630:
	s_mov_b64 s[0:1], 0
.LBB7_2631:
	s_andn2_b64 vcc, exec, s[0:1]
	s_cbranch_vccnz .LBB7_2633
; %bb.2632:
	global_load_ushort v3, v[24:25], off
	s_waitcnt vmcnt(0)
	v_cvt_f32_f16_e32 v3, v3
	v_cvt_f64_f32_e32 v[10:11], v3
.LBB7_2633:
	s_mov_b64 s[0:1], 0
.LBB7_2634:
	s_andn2_b64 vcc, exec, s[0:1]
	s_cbranch_vccnz .LBB7_2654
; %bb.2635:
	v_cmp_lt_i16_e64 s[0:1], s28, 2
	s_and_b64 vcc, exec, s[0:1]
	s_cbranch_vccnz .LBB7_2639
; %bb.2636:
	v_cmp_lt_i16_e64 s[0:1], s28, 3
	s_and_b64 vcc, exec, s[0:1]
	s_cbranch_vccnz .LBB7_2640
; %bb.2637:
	v_cmp_gt_i16_e64 s[0:1], s28, 3
	s_and_b64 vcc, exec, s[0:1]
	s_cbranch_vccz .LBB7_2641
; %bb.2638:
	global_load_dwordx2 v[10:11], v[24:25], off
	s_mov_b64 s[0:1], 0
	s_waitcnt vmcnt(0)
	v_cvt_f64_i32_e32 v[26:27], v11
	v_cvt_f64_u32_e32 v[10:11], v10
	v_ldexp_f64 v[26:27], v[26:27], 32
	v_add_f64 v[10:11], v[26:27], v[10:11]
	s_branch .LBB7_2642
.LBB7_2639:
	s_mov_b64 s[0:1], -1
                                        ; implicit-def: $vgpr10_vgpr11
	s_branch .LBB7_2648
.LBB7_2640:
	s_mov_b64 s[0:1], -1
                                        ; implicit-def: $vgpr10_vgpr11
	s_branch .LBB7_2645
.LBB7_2641:
	s_mov_b64 s[0:1], -1
                                        ; implicit-def: $vgpr10_vgpr11
.LBB7_2642:
	s_andn2_b64 vcc, exec, s[0:1]
	s_cbranch_vccnz .LBB7_2644
; %bb.2643:
	global_load_dword v3, v[24:25], off
	s_waitcnt vmcnt(0)
	v_cvt_f64_i32_e32 v[10:11], v3
.LBB7_2644:
	s_mov_b64 s[0:1], 0
.LBB7_2645:
	s_andn2_b64 vcc, exec, s[0:1]
	s_cbranch_vccnz .LBB7_2647
; %bb.2646:
	global_load_sshort v3, v[24:25], off
	s_waitcnt vmcnt(0)
	v_cvt_f64_i32_e32 v[10:11], v3
.LBB7_2647:
	s_mov_b64 s[0:1], 0
.LBB7_2648:
	s_andn2_b64 vcc, exec, s[0:1]
	s_cbranch_vccnz .LBB7_2654
; %bb.2649:
	v_cmp_gt_i16_e64 s[0:1], s28, 0
	s_and_b64 vcc, exec, s[0:1]
	s_cbranch_vccz .LBB7_2651
; %bb.2650:
	global_load_sbyte v3, v[24:25], off
	s_mov_b64 s[0:1], 0
	s_waitcnt vmcnt(0)
	v_cvt_f64_i32_e32 v[10:11], v3
	s_branch .LBB7_2652
.LBB7_2651:
	s_mov_b64 s[0:1], -1
                                        ; implicit-def: $vgpr10_vgpr11
.LBB7_2652:
	s_andn2_b64 vcc, exec, s[0:1]
	s_cbranch_vccnz .LBB7_2654
; %bb.2653:
	global_load_ubyte v3, v[24:25], off
	s_waitcnt vmcnt(0)
	v_cvt_f64_u32_e32 v[10:11], v3
.LBB7_2654:
	s_mov_b64 s[6:7], -1
.LBB7_2655:
	s_andn2_b64 vcc, exec, s[6:7]
	s_cbranch_vccnz .LBB7_2950
; %bb.2656:
	s_waitcnt vmcnt(0)
	v_mul_f64 v[12:13], v[0:1], v[12:13]
	v_cmp_lt_f64_e32 vcc, 0, v[0:1]
	s_lshr_b32 s18, s26, 8
	v_cndmask_b32_e32 v1, v13, v1, vcc
	v_cndmask_b32_e32 v0, v12, v0, vcc
	v_mov_b32_e32 v3, s9
	v_add_co_u32_e32 v12, vcc, s8, v2
	v_mov_b32_e32 v2, 11
	v_addc_co_u32_e32 v13, vcc, 0, v3, vcc
	v_cmp_lt_i16_sdwa s[2:3], s18, v2 src0_sel:BYTE_0 src1_sel:DWORD
	s_mov_b64 s[6:7], 0
	s_mov_b64 s[0:1], -1
	s_and_b64 vcc, exec, s[2:3]
	s_cbranch_vccnz .LBB7_2663
; %bb.2657:
	v_mov_b32_e32 v2, 25
	v_cmp_gt_i16_sdwa s[0:1], s18, v2 src0_sel:BYTE_0 src1_sel:DWORD
	s_mov_b64 s[10:11], -1
	s_mov_b64 s[2:3], 0
	s_and_b64 vcc, exec, s[0:1]
	s_mov_b64 s[0:1], 0
	s_cbranch_vccz .LBB7_2733
; %bb.2658:
	v_mov_b32_e32 v2, 28
	v_cmp_gt_i16_sdwa s[0:1], s18, v2 src0_sel:BYTE_0 src1_sel:DWORD
	s_and_b64 vcc, exec, s[0:1]
	s_cbranch_vccz .LBB7_2702
; %bb.2659:
	v_mov_b32_e32 v2, 43
	v_cmp_gt_i16_sdwa s[0:1], s18, v2 src0_sel:BYTE_0 src1_sel:DWORD
	s_and_b64 vcc, exec, s[0:1]
	;; [unrolled: 5-line block ×3, first 2 shown]
	s_cbranch_vccz .LBB7_2705
; %bb.2661:
	v_mov_b32_e32 v2, 46
	v_cmp_eq_u16_sdwa s[6:7], s18, v2 src0_sel:BYTE_0 src1_sel:DWORD
	s_mov_b64 s[0:1], -1
	s_mov_b64 s[10:11], 0
	s_and_b64 vcc, exec, s[6:7]
	s_mov_b64 s[6:7], 0
	s_cbranch_vccz .LBB7_2706
; %bb.2662:
	v_cvt_f32_f64_e32 v2, v[0:1]
	v_bfe_u32 v3, v2, 16, 1
	s_movk_i32 s0, 0x7fff
	v_add3_u32 v3, v2, v3, s0
	v_lshrrev_b32_e32 v3, 16, v3
	v_mov_b32_e32 v5, 0x7fc0
	v_cmp_o_f32_e32 vcc, v2, v2
	v_cndmask_b32_e32 v2, v5, v3, vcc
	global_store_dword v[12:13], v2, off
	s_mov_b64 s[0:1], 0
	s_mov_b64 s[6:7], -1
	s_branch .LBB7_2706
.LBB7_2663:
	s_and_b64 vcc, exec, s[0:1]
	s_cbranch_vccz .LBB7_2777
; %bb.2664:
	v_mov_b32_e32 v2, 5
	v_cmp_lt_i16_sdwa s[2:3], s18, v2 src0_sel:BYTE_0 src1_sel:DWORD
	s_mov_b64 s[0:1], -1
	s_and_b64 vcc, exec, s[2:3]
	s_cbranch_vccnz .LBB7_2685
; %bb.2665:
	v_mov_b32_e32 v2, 8
	v_cmp_lt_i16_sdwa s[2:3], s18, v2 src0_sel:BYTE_0 src1_sel:DWORD
	s_and_b64 vcc, exec, s[2:3]
	s_cbranch_vccnz .LBB7_2675
; %bb.2666:
	v_mov_b32_e32 v2, 9
	v_cmp_lt_i16_sdwa s[2:3], s18, v2 src0_sel:BYTE_0 src1_sel:DWORD
	s_and_b64 vcc, exec, s[2:3]
	s_cbranch_vccnz .LBB7_2672
; %bb.2667:
	v_cmp_gt_i16_sdwa s[2:3], s18, v2 src0_sel:BYTE_0 src1_sel:DWORD
	s_and_b64 vcc, exec, s[2:3]
	s_cbranch_vccz .LBB7_2669
; %bb.2668:
	v_mov_b32_e32 v2, 0
	v_mov_b32_e32 v3, v2
	global_store_dwordx4 v[12:13], v[0:3], off
	s_mov_b64 s[0:1], 0
.LBB7_2669:
	s_andn2_b64 vcc, exec, s[0:1]
	s_cbranch_vccnz .LBB7_2671
; %bb.2670:
	v_cvt_f32_f64_e32 v2, v[0:1]
	v_mov_b32_e32 v3, 0
	global_store_dwordx2 v[12:13], v[2:3], off
.LBB7_2671:
	s_mov_b64 s[0:1], 0
.LBB7_2672:
	s_andn2_b64 vcc, exec, s[0:1]
	s_cbranch_vccnz .LBB7_2674
; %bb.2673:
	v_cvt_f32_f64_e32 v2, v[0:1]
	v_cvt_f16_f32_e32 v2, v2
	global_store_dword v[12:13], v2, off
.LBB7_2674:
	s_mov_b64 s[0:1], 0
.LBB7_2675:
	s_andn2_b64 vcc, exec, s[0:1]
	s_cbranch_vccnz .LBB7_2684
; %bb.2676:
	v_mov_b32_e32 v2, 6
	v_cmp_lt_i16_sdwa s[2:3], s18, v2 src0_sel:BYTE_0 src1_sel:DWORD
	s_mov_b64 s[0:1], -1
	s_and_b64 vcc, exec, s[2:3]
	s_cbranch_vccnz .LBB7_2682
; %bb.2677:
	v_cmp_gt_i16_sdwa s[2:3], s18, v2 src0_sel:BYTE_0 src1_sel:DWORD
	s_and_b64 vcc, exec, s[2:3]
	s_cbranch_vccz .LBB7_2679
; %bb.2678:
	global_store_dwordx2 v[12:13], v[0:1], off
	s_mov_b64 s[0:1], 0
.LBB7_2679:
	s_andn2_b64 vcc, exec, s[0:1]
	s_cbranch_vccnz .LBB7_2681
; %bb.2680:
	v_cvt_f32_f64_e32 v2, v[0:1]
	global_store_dword v[12:13], v2, off
.LBB7_2681:
	s_mov_b64 s[0:1], 0
.LBB7_2682:
	s_andn2_b64 vcc, exec, s[0:1]
	s_cbranch_vccnz .LBB7_2684
; %bb.2683:
	v_cvt_f32_f64_e32 v2, v[0:1]
	v_cvt_f16_f32_e32 v2, v2
	global_store_short v[12:13], v2, off
.LBB7_2684:
	s_mov_b64 s[0:1], 0
.LBB7_2685:
	s_andn2_b64 vcc, exec, s[0:1]
	s_cbranch_vccnz .LBB7_2701
; %bb.2686:
	v_mov_b32_e32 v2, 2
	v_cmp_lt_i16_sdwa s[2:3], s18, v2 src0_sel:BYTE_0 src1_sel:DWORD
	s_mov_b64 s[0:1], -1
	s_and_b64 vcc, exec, s[2:3]
	s_cbranch_vccnz .LBB7_2696
; %bb.2687:
	v_mov_b32_e32 v2, 3
	v_cmp_lt_i16_sdwa s[2:3], s18, v2 src0_sel:BYTE_0 src1_sel:DWORD
	s_and_b64 vcc, exec, s[2:3]
	s_cbranch_vccnz .LBB7_2693
; %bb.2688:
	v_cmp_gt_i16_sdwa s[2:3], s18, v2 src0_sel:BYTE_0 src1_sel:DWORD
	s_and_b64 vcc, exec, s[2:3]
	s_cbranch_vccz .LBB7_2690
; %bb.2689:
	v_trunc_f64_e32 v[2:3], v[0:1]
	s_movk_i32 s0, 0xffe0
	v_ldexp_f64 v[24:25], v[2:3], s0
	v_floor_f64_e32 v[24:25], v[24:25]
	v_fmac_f64_e32 v[2:3], 0xc1f00000, v[24:25]
	v_cvt_i32_f64_e32 v27, v[24:25]
	v_cvt_u32_f64_e32 v26, v[2:3]
	global_store_dwordx2 v[12:13], v[26:27], off
	s_mov_b64 s[0:1], 0
.LBB7_2690:
	s_andn2_b64 vcc, exec, s[0:1]
	s_cbranch_vccnz .LBB7_2692
; %bb.2691:
	v_cvt_i32_f64_e32 v2, v[0:1]
	global_store_dword v[12:13], v2, off
.LBB7_2692:
	s_mov_b64 s[0:1], 0
.LBB7_2693:
	s_andn2_b64 vcc, exec, s[0:1]
	s_cbranch_vccnz .LBB7_2695
; %bb.2694:
	v_cvt_i32_f64_e32 v2, v[0:1]
	global_store_short v[12:13], v2, off
.LBB7_2695:
	s_mov_b64 s[0:1], 0
.LBB7_2696:
	s_andn2_b64 vcc, exec, s[0:1]
	s_cbranch_vccnz .LBB7_2701
; %bb.2697:
	v_mov_b32_e32 v2, 0
	v_cmp_gt_i16_sdwa s[2:3], s18, v2 src0_sel:BYTE_0 src1_sel:DWORD
	s_mov_b64 s[0:1], -1
	s_and_b64 vcc, exec, s[2:3]
	s_cbranch_vccz .LBB7_2699
; %bb.2698:
	v_cvt_i32_f64_e32 v2, v[0:1]
	global_store_byte v[12:13], v2, off
	s_mov_b64 s[0:1], 0
.LBB7_2699:
	s_andn2_b64 vcc, exec, s[0:1]
	s_cbranch_vccnz .LBB7_2701
; %bb.2700:
	v_trunc_f64_e32 v[0:1], v[0:1]
	s_movk_i32 s0, 0xffe0
	v_ldexp_f64 v[2:3], v[0:1], s0
	v_floor_f64_e32 v[2:3], v[2:3]
	v_fmac_f64_e32 v[0:1], 0xc1f00000, v[2:3]
	v_cvt_u32_f64_e32 v0, v[0:1]
	global_store_byte v[12:13], v0, off
.LBB7_2701:
	s_branch .LBB7_2778
.LBB7_2702:
	s_mov_b64 s[0:1], 0
	s_branch .LBB7_2716
.LBB7_2703:
	s_mov_b64 s[0:1], 0
	s_branch .LBB7_2712
.LBB7_2704:
	s_trap 2
	s_or_b64 s[4:5], s[4:5], exec
                                        ; implicit-def: $vgpr10_vgpr11
	s_cbranch_execz .LBB7_2604
	s_branch .LBB7_2605
.LBB7_2705:
	s_mov_b64 s[0:1], 0
.LBB7_2706:
	s_and_b64 vcc, exec, s[10:11]
	s_cbranch_vccz .LBB7_2711
; %bb.2707:
	v_mov_b32_e32 v2, 44
	v_cmp_eq_u16_sdwa s[10:11], s18, v2 src0_sel:BYTE_0 src1_sel:DWORD
	s_mov_b64 s[0:1], -1
	s_and_b64 vcc, exec, s[10:11]
	s_cbranch_vccz .LBB7_2711
; %bb.2708:
	v_cvt_f32_f64_e32 v2, v[0:1]
	v_bfe_u32 v3, v2, 23, 8
	s_movk_i32 s0, 0xff
	v_cmp_ne_u32_e32 vcc, s0, v3
	v_mov_b32_e32 v5, 0xff
	s_and_saveexec_b64 s[6:7], vcc
; %bb.2709:
	s_mov_b32 s0, 0x3fffff
	v_lshrrev_b32_e32 v5, 23, v2
	v_and_b32_e32 v7, 0x400000, v2
	v_and_or_b32 v2, v2, s0, v3
	v_cmp_ne_u32_e32 vcc, 0, v7
	v_cmp_ne_u32_e64 s[0:1], 0, v2
	s_and_b64 s[0:1], vcc, s[0:1]
	v_cndmask_b32_e64 v2, 0, 1, s[0:1]
	v_add_u32_e32 v5, v5, v2
; %bb.2710:
	s_or_b64 exec, exec, s[6:7]
	s_mov_b64 s[0:1], 0
	s_mov_b64 s[6:7], -1
	global_store_byte v[12:13], v5, off
.LBB7_2711:
	s_mov_b64 s[10:11], 0
.LBB7_2712:
	s_and_b64 vcc, exec, s[10:11]
	s_cbranch_vccz .LBB7_2715
; %bb.2713:
	v_mov_b32_e32 v2, 29
	v_cmp_eq_u16_sdwa s[10:11], s18, v2 src0_sel:BYTE_0 src1_sel:DWORD
	s_mov_b64 s[0:1], -1
	s_and_b64 vcc, exec, s[10:11]
	s_cbranch_vccz .LBB7_2715
; %bb.2714:
	v_trunc_f64_e32 v[2:3], v[0:1]
	s_movk_i32 s0, 0xffe0
	v_ldexp_f64 v[24:25], v[2:3], s0
	v_floor_f64_e32 v[24:25], v[24:25]
	v_fmac_f64_e32 v[2:3], 0xc1f00000, v[24:25]
	v_cvt_u32_f64_e32 v27, v[24:25]
	v_cvt_u32_f64_e32 v26, v[2:3]
	global_store_dwordx2 v[12:13], v[26:27], off
	s_mov_b64 s[0:1], 0
	s_mov_b64 s[6:7], -1
.LBB7_2715:
	s_mov_b64 s[10:11], 0
.LBB7_2716:
	s_and_b64 vcc, exec, s[10:11]
	s_cbranch_vccz .LBB7_2732
; %bb.2717:
	v_mov_b32_e32 v2, 27
	v_cmp_lt_i16_sdwa s[10:11], s18, v2 src0_sel:BYTE_0 src1_sel:DWORD
	s_mov_b64 s[6:7], -1
	s_and_b64 vcc, exec, s[10:11]
	s_cbranch_vccnz .LBB7_2723
; %bb.2718:
	v_cmp_gt_i16_sdwa s[10:11], s18, v2 src0_sel:BYTE_0 src1_sel:DWORD
	s_and_b64 vcc, exec, s[10:11]
	v_cvt_u32_f64_e32 v2, v[0:1]
	s_cbranch_vccz .LBB7_2720
; %bb.2719:
	s_mov_b64 s[6:7], 0
	global_store_dword v[12:13], v2, off
.LBB7_2720:
	s_andn2_b64 vcc, exec, s[6:7]
	s_cbranch_vccnz .LBB7_2722
; %bb.2721:
	global_store_short v[12:13], v2, off
.LBB7_2722:
	s_mov_b64 s[6:7], 0
.LBB7_2723:
	s_andn2_b64 vcc, exec, s[6:7]
	s_cbranch_vccnz .LBB7_2731
; %bb.2724:
	v_cvt_f32_f64_e32 v2, v[0:1]
	v_and_b32_e32 v3, 0x7fffffff, v2
	s_mov_b32 s6, 0x43800000
	v_cmp_gt_u32_e32 vcc, s6, v3
	v_mov_b32_e32 v5, 0x80
	s_and_saveexec_b64 s[6:7], vcc
	s_cbranch_execz .LBB7_2730
; %bb.2725:
	s_mov_b32 s10, 0x3bffffff
	v_cmp_lt_u32_e32 vcc, s10, v3
	s_mov_b64 s[10:11], 0
                                        ; implicit-def: $vgpr3
	s_and_saveexec_b64 s[16:17], vcc
	s_xor_b64 s[16:17], exec, s[16:17]
	s_cbranch_execz .LBB7_2825
; %bb.2726:
	v_bfe_u32 v3, v2, 20, 1
	s_mov_b32 s19, 0x487ffff
	v_add3_u32 v3, v2, v3, s19
	s_mov_b64 s[10:11], exec
	v_lshrrev_b32_e32 v3, 20, v3
	s_or_saveexec_b64 s[16:17], s[16:17]
                                        ; implicit-def: $sgpr19
	s_xor_b64 exec, exec, s[16:17]
	s_cbranch_execnz .LBB7_2826
.LBB7_2727:
	s_or_b64 exec, exec, s[16:17]
	v_mov_b32_e32 v5, s19
	s_and_saveexec_b64 s[16:17], s[10:11]
.LBB7_2728:
	v_lshrrev_b32_e32 v2, 24, v2
	s_movk_i32 s10, 0x80
	v_and_or_b32 v5, v2, s10, v3
.LBB7_2729:
	s_or_b64 exec, exec, s[16:17]
.LBB7_2730:
	s_or_b64 exec, exec, s[6:7]
	global_store_byte v[12:13], v5, off
.LBB7_2731:
	s_mov_b64 s[6:7], -1
.LBB7_2732:
	s_mov_b64 s[10:11], 0
.LBB7_2733:
	s_and_b64 vcc, exec, s[10:11]
	s_cbranch_vccz .LBB7_2773
; %bb.2734:
	v_mov_b32_e32 v2, 22
	v_cmp_gt_i16_sdwa s[10:11], s18, v2 src0_sel:BYTE_0 src1_sel:DWORD
	s_mov_b64 s[2:3], -1
	s_and_b64 vcc, exec, s[10:11]
	s_cbranch_vccz .LBB7_2766
; %bb.2735:
	v_mov_b32_e32 v2, 24
	v_cmp_lt_i16_sdwa s[6:7], s18, v2 src0_sel:BYTE_0 src1_sel:DWORD
	s_and_b64 vcc, exec, s[6:7]
	s_cbranch_vccnz .LBB7_2755
; %bb.2736:
	v_cmp_gt_i16_sdwa s[6:7], s18, v2 src0_sel:BYTE_0 src1_sel:DWORD
	s_and_b64 vcc, exec, s[6:7]
	s_cbranch_vccz .LBB7_2744
; %bb.2737:
	v_cvt_f32_f64_e32 v2, v[0:1]
	v_and_b32_e32 v3, 0x7fffffff, v2
	s_mov_b32 s2, 0x47800000
	v_cmp_gt_u32_e32 vcc, s2, v3
	v_mov_b32_e32 v5, 0x80
	s_and_saveexec_b64 s[2:3], vcc
	s_cbranch_execz .LBB7_2743
; %bb.2738:
	s_mov_b32 s6, 0x37ffffff
	v_cmp_lt_u32_e32 vcc, s6, v3
	s_mov_b64 s[6:7], 0
                                        ; implicit-def: $vgpr3
	s_and_saveexec_b64 s[10:11], vcc
	s_xor_b64 s[10:11], exec, s[10:11]
	s_cbranch_execz .LBB7_2829
; %bb.2739:
	v_bfe_u32 v3, v2, 21, 1
	s_mov_b32 s16, 0x88fffff
	v_add3_u32 v3, v2, v3, s16
	s_mov_b64 s[6:7], exec
	v_lshrrev_b32_e32 v3, 21, v3
	s_or_saveexec_b64 s[10:11], s[10:11]
                                        ; implicit-def: $sgpr16
	s_xor_b64 exec, exec, s[10:11]
	s_cbranch_execnz .LBB7_2830
.LBB7_2740:
	s_or_b64 exec, exec, s[10:11]
	v_mov_b32_e32 v5, s16
	s_and_saveexec_b64 s[10:11], s[6:7]
.LBB7_2741:
	v_lshrrev_b32_e32 v2, 24, v2
	s_movk_i32 s6, 0x80
	v_and_or_b32 v5, v2, s6, v3
.LBB7_2742:
	s_or_b64 exec, exec, s[10:11]
.LBB7_2743:
	s_or_b64 exec, exec, s[2:3]
	s_mov_b64 s[2:3], 0
	global_store_byte v[12:13], v5, off
.LBB7_2744:
	s_and_b64 vcc, exec, s[2:3]
	s_cbranch_vccz .LBB7_2754
; %bb.2745:
	v_cvt_f32_f64_e32 v2, v[0:1]
	v_and_b32_e32 v5, 0x7fffffff, v2
	s_mov_b32 s2, 0x43f00000
	v_cmp_gt_u32_e32 vcc, s2, v5
                                        ; implicit-def: $vgpr3
	s_and_saveexec_b64 s[2:3], vcc
	s_xor_b64 s[2:3], exec, s[2:3]
	s_cbranch_execz .LBB7_2751
; %bb.2746:
	s_mov_b32 s6, 0x3c7fffff
	v_cmp_lt_u32_e32 vcc, s6, v5
                                        ; implicit-def: $vgpr3
	s_and_saveexec_b64 s[6:7], vcc
	s_xor_b64 s[6:7], exec, s[6:7]
; %bb.2747:
	v_bfe_u32 v3, v2, 20, 1
	s_mov_b32 s10, 0x407ffff
	v_add3_u32 v3, v2, v3, s10
	v_lshrrev_b32_e32 v5, 20, v3
	v_and_b32_e32 v3, 0xff00000, v3
	s_mov_b32 s10, 0x7f00000
	v_mov_b32_e32 v7, 0x7e
	v_cmp_ne_u32_e32 vcc, s10, v3
	v_cndmask_b32_e32 v3, v7, v5, vcc
; %bb.2748:
	s_andn2_saveexec_b64 s[6:7], s[6:7]
; %bb.2749:
	s_mov_b32 s10, 0x46800000
	v_add_f32_e64 v3, |v2|, s10
; %bb.2750:
	s_or_b64 exec, exec, s[6:7]
                                        ; implicit-def: $vgpr5
.LBB7_2751:
	s_andn2_saveexec_b64 s[2:3], s[2:3]
; %bb.2752:
	s_mov_b32 s6, 0x7f800000
	v_mov_b32_e32 v3, 0x7e
	v_mov_b32_e32 v7, 0x7f
	v_cmp_lt_u32_e32 vcc, s6, v5
	v_cndmask_b32_e32 v3, v3, v7, vcc
; %bb.2753:
	s_or_b64 exec, exec, s[2:3]
	v_lshrrev_b32_e32 v2, 24, v2
	s_movk_i32 s2, 0x80
	v_and_or_b32 v2, v2, s2, v3
	global_store_byte v[12:13], v2, off
.LBB7_2754:
	s_mov_b64 s[2:3], 0
.LBB7_2755:
	s_andn2_b64 vcc, exec, s[2:3]
	s_cbranch_vccnz .LBB7_2765
; %bb.2756:
	v_cvt_f32_f64_e32 v2, v[0:1]
	v_and_b32_e32 v5, 0x7fffffff, v2
	s_mov_b32 s2, 0x47800000
	v_cmp_gt_u32_e32 vcc, s2, v5
                                        ; implicit-def: $vgpr3
	s_and_saveexec_b64 s[2:3], vcc
	s_xor_b64 s[2:3], exec, s[2:3]
	s_cbranch_execz .LBB7_2762
; %bb.2757:
	s_mov_b32 s6, 0x387fffff
	v_cmp_lt_u32_e32 vcc, s6, v5
                                        ; implicit-def: $vgpr3
	s_and_saveexec_b64 s[6:7], vcc
	s_xor_b64 s[6:7], exec, s[6:7]
; %bb.2758:
	v_bfe_u32 v3, v2, 21, 1
	s_mov_b32 s10, 0x80fffff
	v_add3_u32 v3, v2, v3, s10
	v_lshrrev_b32_e32 v3, 21, v3
; %bb.2759:
	s_andn2_saveexec_b64 s[6:7], s[6:7]
; %bb.2760:
	s_mov_b32 s10, 0x43000000
	v_add_f32_e64 v3, |v2|, s10
; %bb.2761:
	s_or_b64 exec, exec, s[6:7]
                                        ; implicit-def: $vgpr5
.LBB7_2762:
	s_andn2_saveexec_b64 s[2:3], s[2:3]
; %bb.2763:
	s_mov_b32 s6, 0x7f800000
	v_mov_b32_e32 v3, 0x7c
	v_mov_b32_e32 v7, 0x7f
	v_cmp_lt_u32_e32 vcc, s6, v5
	v_cndmask_b32_e32 v3, v3, v7, vcc
; %bb.2764:
	s_or_b64 exec, exec, s[2:3]
	v_lshrrev_b32_e32 v2, 24, v2
	s_movk_i32 s2, 0x80
	v_and_or_b32 v2, v2, s2, v3
	global_store_byte v[12:13], v2, off
.LBB7_2765:
	s_mov_b64 s[2:3], 0
	s_mov_b64 s[6:7], -1
.LBB7_2766:
	s_andn2_b64 vcc, exec, s[2:3]
	s_mov_b64 s[2:3], 0
	s_cbranch_vccnz .LBB7_2773
; %bb.2767:
	v_mov_b32_e32 v2, 14
	v_cmp_gt_i16_sdwa s[2:3], s18, v2 src0_sel:BYTE_0 src1_sel:DWORD
	s_mov_b64 s[10:11], -1
	s_and_b64 vcc, exec, s[2:3]
	s_cbranch_vccz .LBB7_2771
; %bb.2768:
	v_mov_b32_e32 v2, 15
	v_cmp_eq_u16_sdwa s[2:3], s18, v2 src0_sel:BYTE_0 src1_sel:DWORD
	s_mov_b64 s[0:1], -1
	s_and_b64 vcc, exec, s[2:3]
	s_cbranch_vccz .LBB7_2770
; %bb.2769:
	v_cvt_f32_f64_e32 v2, v[0:1]
	v_bfe_u32 v3, v2, 16, 1
	s_movk_i32 s0, 0x7fff
	v_add3_u32 v3, v2, v3, s0
	v_lshrrev_b32_e32 v3, 16, v3
	v_mov_b32_e32 v5, 0x7fc0
	v_cmp_o_f32_e32 vcc, v2, v2
	v_cndmask_b32_e32 v2, v5, v3, vcc
	global_store_short v[12:13], v2, off
	s_mov_b64 s[0:1], 0
	s_mov_b64 s[6:7], -1
.LBB7_2770:
	s_mov_b64 s[10:11], 0
.LBB7_2771:
	s_mov_b64 s[2:3], 0
	s_and_b64 vcc, exec, s[10:11]
	s_cbranch_vccz .LBB7_2773
; %bb.2772:
	v_mov_b32_e32 v2, 11
	v_cmp_ne_u16_sdwa s[0:1], s18, v2 src0_sel:BYTE_0 src1_sel:DWORD
	s_mov_b64 s[2:3], -1
.LBB7_2773:
	s_and_b64 vcc, exec, s[0:1]
	s_cbranch_vccnz .LBB7_2828
; %bb.2774:
	s_andn2_b64 vcc, exec, s[2:3]
	s_cbranch_vccnz .LBB7_2776
.LBB7_2775:
	v_cmp_neq_f64_e32 vcc, 0, v[0:1]
	v_cndmask_b32_e64 v2, 0, 1, vcc
	s_mov_b64 s[6:7], -1
	global_store_byte v[12:13], v2, off
.LBB7_2776:
.LBB7_2777:
	s_andn2_b64 vcc, exec, s[6:7]
	s_cbranch_vccnz .LBB7_2950
.LBB7_2778:
	v_mul_f64 v[0:1], v[14:15], v[18:19]
	v_cmp_lt_f64_e32 vcc, 0, v[14:15]
	v_cndmask_b32_e32 v1, v1, v15, vcc
	v_cndmask_b32_e32 v0, v0, v14, vcc
	v_mov_b32_e32 v2, s9
	v_add_co_u32_e32 v8, vcc, s8, v8
	v_addc_co_u32_e32 v9, vcc, 0, v2, vcc
	v_mov_b32_e32 v2, 11
	v_cmp_lt_i16_sdwa s[2:3], s18, v2 src0_sel:BYTE_0 src1_sel:DWORD
	s_mov_b64 s[6:7], 0
	s_mov_b64 s[0:1], -1
	s_and_b64 vcc, exec, s[2:3]
	s_cbranch_vccnz .LBB7_2785
; %bb.2779:
	v_mov_b32_e32 v2, 25
	v_cmp_gt_i16_sdwa s[0:1], s18, v2 src0_sel:BYTE_0 src1_sel:DWORD
	s_mov_b64 s[10:11], -1
	s_mov_b64 s[2:3], 0
	s_and_b64 vcc, exec, s[0:1]
	s_mov_b64 s[0:1], 0
	s_cbranch_vccz .LBB7_2859
; %bb.2780:
	v_mov_b32_e32 v2, 28
	v_cmp_gt_i16_sdwa s[0:1], s18, v2 src0_sel:BYTE_0 src1_sel:DWORD
	s_and_b64 vcc, exec, s[0:1]
	s_cbranch_vccz .LBB7_2824
; %bb.2781:
	v_mov_b32_e32 v2, 43
	v_cmp_gt_i16_sdwa s[0:1], s18, v2 src0_sel:BYTE_0 src1_sel:DWORD
	s_and_b64 vcc, exec, s[0:1]
	;; [unrolled: 5-line block ×3, first 2 shown]
	s_cbranch_vccz .LBB7_2831
; %bb.2783:
	v_mov_b32_e32 v2, 46
	v_cmp_eq_u16_sdwa s[6:7], s18, v2 src0_sel:BYTE_0 src1_sel:DWORD
	s_mov_b64 s[0:1], -1
	s_mov_b64 s[10:11], 0
	s_and_b64 vcc, exec, s[6:7]
	s_mov_b64 s[6:7], 0
	s_cbranch_vccz .LBB7_2832
; %bb.2784:
	v_cvt_f32_f64_e32 v2, v[0:1]
	v_bfe_u32 v3, v2, 16, 1
	s_movk_i32 s0, 0x7fff
	v_add3_u32 v3, v2, v3, s0
	v_lshrrev_b32_e32 v3, 16, v3
	v_mov_b32_e32 v5, 0x7fc0
	v_cmp_o_f32_e32 vcc, v2, v2
	v_cndmask_b32_e32 v2, v5, v3, vcc
	global_store_dword v[8:9], v2, off
	s_mov_b64 s[0:1], 0
	s_mov_b64 s[6:7], -1
	s_branch .LBB7_2832
.LBB7_2785:
	s_and_b64 vcc, exec, s[0:1]
	s_cbranch_vccz .LBB7_2903
; %bb.2786:
	v_mov_b32_e32 v2, 5
	v_cmp_lt_i16_sdwa s[2:3], s18, v2 src0_sel:BYTE_0 src1_sel:DWORD
	s_mov_b64 s[0:1], -1
	s_and_b64 vcc, exec, s[2:3]
	s_cbranch_vccnz .LBB7_2807
; %bb.2787:
	v_mov_b32_e32 v2, 8
	v_cmp_lt_i16_sdwa s[2:3], s18, v2 src0_sel:BYTE_0 src1_sel:DWORD
	s_and_b64 vcc, exec, s[2:3]
	s_cbranch_vccnz .LBB7_2797
; %bb.2788:
	v_mov_b32_e32 v2, 9
	v_cmp_lt_i16_sdwa s[2:3], s18, v2 src0_sel:BYTE_0 src1_sel:DWORD
	s_and_b64 vcc, exec, s[2:3]
	s_cbranch_vccnz .LBB7_2794
; %bb.2789:
	v_cmp_gt_i16_sdwa s[2:3], s18, v2 src0_sel:BYTE_0 src1_sel:DWORD
	s_and_b64 vcc, exec, s[2:3]
	s_cbranch_vccz .LBB7_2791
; %bb.2790:
	v_mov_b32_e32 v2, 0
	v_mov_b32_e32 v3, v2
	global_store_dwordx4 v[8:9], v[0:3], off
	s_mov_b64 s[0:1], 0
.LBB7_2791:
	s_andn2_b64 vcc, exec, s[0:1]
	s_cbranch_vccnz .LBB7_2793
; %bb.2792:
	v_cvt_f32_f64_e32 v2, v[0:1]
	v_mov_b32_e32 v3, 0
	global_store_dwordx2 v[8:9], v[2:3], off
.LBB7_2793:
	s_mov_b64 s[0:1], 0
.LBB7_2794:
	s_andn2_b64 vcc, exec, s[0:1]
	s_cbranch_vccnz .LBB7_2796
; %bb.2795:
	v_cvt_f32_f64_e32 v2, v[0:1]
	v_cvt_f16_f32_e32 v2, v2
	global_store_dword v[8:9], v2, off
.LBB7_2796:
	s_mov_b64 s[0:1], 0
.LBB7_2797:
	s_andn2_b64 vcc, exec, s[0:1]
	s_cbranch_vccnz .LBB7_2806
; %bb.2798:
	v_mov_b32_e32 v2, 6
	v_cmp_lt_i16_sdwa s[2:3], s18, v2 src0_sel:BYTE_0 src1_sel:DWORD
	s_mov_b64 s[0:1], -1
	s_and_b64 vcc, exec, s[2:3]
	s_cbranch_vccnz .LBB7_2804
; %bb.2799:
	v_cmp_gt_i16_sdwa s[2:3], s18, v2 src0_sel:BYTE_0 src1_sel:DWORD
	s_and_b64 vcc, exec, s[2:3]
	s_cbranch_vccz .LBB7_2801
; %bb.2800:
	global_store_dwordx2 v[8:9], v[0:1], off
	s_mov_b64 s[0:1], 0
.LBB7_2801:
	s_andn2_b64 vcc, exec, s[0:1]
	s_cbranch_vccnz .LBB7_2803
; %bb.2802:
	v_cvt_f32_f64_e32 v2, v[0:1]
	global_store_dword v[8:9], v2, off
.LBB7_2803:
	s_mov_b64 s[0:1], 0
.LBB7_2804:
	s_andn2_b64 vcc, exec, s[0:1]
	s_cbranch_vccnz .LBB7_2806
; %bb.2805:
	v_cvt_f32_f64_e32 v2, v[0:1]
	v_cvt_f16_f32_e32 v2, v2
	global_store_short v[8:9], v2, off
.LBB7_2806:
	s_mov_b64 s[0:1], 0
.LBB7_2807:
	s_andn2_b64 vcc, exec, s[0:1]
	s_cbranch_vccnz .LBB7_2823
; %bb.2808:
	v_mov_b32_e32 v2, 2
	v_cmp_lt_i16_sdwa s[2:3], s18, v2 src0_sel:BYTE_0 src1_sel:DWORD
	s_mov_b64 s[0:1], -1
	s_and_b64 vcc, exec, s[2:3]
	s_cbranch_vccnz .LBB7_2818
; %bb.2809:
	v_mov_b32_e32 v2, 3
	v_cmp_lt_i16_sdwa s[2:3], s18, v2 src0_sel:BYTE_0 src1_sel:DWORD
	s_and_b64 vcc, exec, s[2:3]
	s_cbranch_vccnz .LBB7_2815
; %bb.2810:
	v_cmp_gt_i16_sdwa s[2:3], s18, v2 src0_sel:BYTE_0 src1_sel:DWORD
	s_and_b64 vcc, exec, s[2:3]
	s_cbranch_vccz .LBB7_2812
; %bb.2811:
	v_trunc_f64_e32 v[2:3], v[0:1]
	s_movk_i32 s0, 0xffe0
	v_ldexp_f64 v[12:13], v[2:3], s0
	v_floor_f64_e32 v[12:13], v[12:13]
	v_fmac_f64_e32 v[2:3], 0xc1f00000, v[12:13]
	v_cvt_i32_f64_e32 v15, v[12:13]
	v_cvt_u32_f64_e32 v14, v[2:3]
	global_store_dwordx2 v[8:9], v[14:15], off
	s_mov_b64 s[0:1], 0
.LBB7_2812:
	s_andn2_b64 vcc, exec, s[0:1]
	s_cbranch_vccnz .LBB7_2814
; %bb.2813:
	v_cvt_i32_f64_e32 v2, v[0:1]
	global_store_dword v[8:9], v2, off
.LBB7_2814:
	s_mov_b64 s[0:1], 0
.LBB7_2815:
	s_andn2_b64 vcc, exec, s[0:1]
	s_cbranch_vccnz .LBB7_2817
; %bb.2816:
	v_cvt_i32_f64_e32 v2, v[0:1]
	global_store_short v[8:9], v2, off
.LBB7_2817:
	s_mov_b64 s[0:1], 0
.LBB7_2818:
	s_andn2_b64 vcc, exec, s[0:1]
	s_cbranch_vccnz .LBB7_2823
; %bb.2819:
	v_mov_b32_e32 v2, 0
	v_cmp_gt_i16_sdwa s[2:3], s18, v2 src0_sel:BYTE_0 src1_sel:DWORD
	s_mov_b64 s[0:1], -1
	s_and_b64 vcc, exec, s[2:3]
	s_cbranch_vccz .LBB7_2821
; %bb.2820:
	v_cvt_i32_f64_e32 v2, v[0:1]
	global_store_byte v[8:9], v2, off
	s_mov_b64 s[0:1], 0
.LBB7_2821:
	s_andn2_b64 vcc, exec, s[0:1]
	s_cbranch_vccnz .LBB7_2823
; %bb.2822:
	v_trunc_f64_e32 v[0:1], v[0:1]
	s_movk_i32 s0, 0xffe0
	v_ldexp_f64 v[2:3], v[0:1], s0
	v_floor_f64_e32 v[2:3], v[2:3]
	v_fmac_f64_e32 v[0:1], 0xc1f00000, v[2:3]
	v_cvt_u32_f64_e32 v0, v[0:1]
	global_store_byte v[8:9], v0, off
.LBB7_2823:
	s_branch .LBB7_2904
.LBB7_2824:
	s_mov_b64 s[0:1], 0
	s_branch .LBB7_2842
.LBB7_2825:
	s_or_saveexec_b64 s[16:17], s[16:17]
                                        ; implicit-def: $sgpr19
	s_xor_b64 exec, exec, s[16:17]
	s_cbranch_execz .LBB7_2727
.LBB7_2826:
	s_mov_b32 s19, 0x46000000
	v_add_f32_e64 v3, |v2|, s19
	v_and_b32_e32 v3, 0xff, v3
	v_cmp_ne_u32_e32 vcc, 0, v3
	s_andn2_b64 s[10:11], s[10:11], exec
	s_and_b64 s[20:21], vcc, exec
	s_mov_b32 s19, 0
	s_or_b64 s[10:11], s[10:11], s[20:21]
	s_or_b64 exec, exec, s[16:17]
	v_mov_b32_e32 v5, s19
	s_and_saveexec_b64 s[16:17], s[10:11]
	s_cbranch_execnz .LBB7_2728
	s_branch .LBB7_2729
.LBB7_2827:
	s_mov_b64 s[0:1], 0
	s_branch .LBB7_2838
.LBB7_2828:
	s_trap 2
	s_or_b64 s[4:5], s[4:5], exec
	s_cbranch_execz .LBB7_2775
	s_branch .LBB7_2776
.LBB7_2829:
	s_or_saveexec_b64 s[10:11], s[10:11]
                                        ; implicit-def: $sgpr16
	s_xor_b64 exec, exec, s[10:11]
	s_cbranch_execz .LBB7_2740
.LBB7_2830:
	s_mov_b32 s16, 0x42800000
	v_add_f32_e64 v3, |v2|, s16
	v_and_b32_e32 v3, 0xff, v3
	v_cmp_ne_u32_e32 vcc, 0, v3
	s_andn2_b64 s[6:7], s[6:7], exec
	s_and_b64 s[20:21], vcc, exec
	s_mov_b32 s16, 0
	s_or_b64 s[6:7], s[6:7], s[20:21]
	s_or_b64 exec, exec, s[10:11]
	v_mov_b32_e32 v5, s16
	s_and_saveexec_b64 s[10:11], s[6:7]
	s_cbranch_execnz .LBB7_2741
	s_branch .LBB7_2742
.LBB7_2831:
	s_mov_b64 s[0:1], 0
.LBB7_2832:
	s_and_b64 vcc, exec, s[10:11]
	s_cbranch_vccz .LBB7_2837
; %bb.2833:
	v_mov_b32_e32 v2, 44
	v_cmp_eq_u16_sdwa s[10:11], s18, v2 src0_sel:BYTE_0 src1_sel:DWORD
	s_mov_b64 s[0:1], -1
	s_and_b64 vcc, exec, s[10:11]
	s_cbranch_vccz .LBB7_2837
; %bb.2834:
	v_cvt_f32_f64_e32 v2, v[0:1]
	v_bfe_u32 v3, v2, 23, 8
	s_movk_i32 s0, 0xff
	v_cmp_ne_u32_e32 vcc, s0, v3
	v_mov_b32_e32 v5, 0xff
	s_and_saveexec_b64 s[6:7], vcc
; %bb.2835:
	s_mov_b32 s0, 0x3fffff
	v_lshrrev_b32_e32 v5, 23, v2
	v_and_b32_e32 v7, 0x400000, v2
	v_and_or_b32 v2, v2, s0, v3
	v_cmp_ne_u32_e32 vcc, 0, v7
	v_cmp_ne_u32_e64 s[0:1], 0, v2
	s_and_b64 s[0:1], vcc, s[0:1]
	v_cndmask_b32_e64 v2, 0, 1, s[0:1]
	v_add_u32_e32 v5, v5, v2
; %bb.2836:
	s_or_b64 exec, exec, s[6:7]
	s_mov_b64 s[0:1], 0
	s_mov_b64 s[6:7], -1
	global_store_byte v[8:9], v5, off
.LBB7_2837:
	s_mov_b64 s[10:11], 0
.LBB7_2838:
	s_and_b64 vcc, exec, s[10:11]
	s_cbranch_vccz .LBB7_2841
; %bb.2839:
	v_mov_b32_e32 v2, 29
	v_cmp_eq_u16_sdwa s[10:11], s18, v2 src0_sel:BYTE_0 src1_sel:DWORD
	s_mov_b64 s[0:1], -1
	s_and_b64 vcc, exec, s[10:11]
	s_cbranch_vccz .LBB7_2841
; %bb.2840:
	v_trunc_f64_e32 v[2:3], v[0:1]
	s_movk_i32 s0, 0xffe0
	v_ldexp_f64 v[12:13], v[2:3], s0
	v_floor_f64_e32 v[12:13], v[12:13]
	v_fmac_f64_e32 v[2:3], 0xc1f00000, v[12:13]
	v_cvt_u32_f64_e32 v15, v[12:13]
	v_cvt_u32_f64_e32 v14, v[2:3]
	global_store_dwordx2 v[8:9], v[14:15], off
	s_mov_b64 s[0:1], 0
	s_mov_b64 s[6:7], -1
.LBB7_2841:
	s_mov_b64 s[10:11], 0
.LBB7_2842:
	s_and_b64 vcc, exec, s[10:11]
	s_cbranch_vccz .LBB7_2858
; %bb.2843:
	v_mov_b32_e32 v2, 27
	v_cmp_lt_i16_sdwa s[10:11], s18, v2 src0_sel:BYTE_0 src1_sel:DWORD
	s_mov_b64 s[6:7], -1
	s_and_b64 vcc, exec, s[10:11]
	s_cbranch_vccnz .LBB7_2849
; %bb.2844:
	v_cmp_gt_i16_sdwa s[10:11], s18, v2 src0_sel:BYTE_0 src1_sel:DWORD
	s_and_b64 vcc, exec, s[10:11]
	s_cbranch_vccz .LBB7_2846
; %bb.2845:
	v_cvt_u32_f64_e32 v2, v[0:1]
	s_mov_b64 s[6:7], 0
	global_store_dword v[8:9], v2, off
.LBB7_2846:
	s_andn2_b64 vcc, exec, s[6:7]
	s_cbranch_vccnz .LBB7_2848
; %bb.2847:
	v_cvt_u32_f64_e32 v2, v[0:1]
	global_store_short v[8:9], v2, off
.LBB7_2848:
	s_mov_b64 s[6:7], 0
.LBB7_2849:
	s_andn2_b64 vcc, exec, s[6:7]
	s_cbranch_vccnz .LBB7_2857
; %bb.2850:
	v_cvt_f32_f64_e32 v2, v[0:1]
	v_and_b32_e32 v3, 0x7fffffff, v2
	s_mov_b32 s6, 0x43800000
	v_cmp_gt_u32_e32 vcc, s6, v3
	v_mov_b32_e32 v5, 0x80
	s_and_saveexec_b64 s[6:7], vcc
	s_cbranch_execz .LBB7_2856
; %bb.2851:
	s_mov_b32 s10, 0x3bffffff
	v_cmp_lt_u32_e32 vcc, s10, v3
	s_mov_b64 s[10:11], 0
                                        ; implicit-def: $vgpr3
	s_and_saveexec_b64 s[16:17], vcc
	s_xor_b64 s[16:17], exec, s[16:17]
	s_cbranch_execz .LBB7_2996
; %bb.2852:
	v_bfe_u32 v3, v2, 20, 1
	s_mov_b32 s19, 0x487ffff
	v_add3_u32 v3, v2, v3, s19
	s_mov_b64 s[10:11], exec
	v_lshrrev_b32_e32 v3, 20, v3
	s_or_saveexec_b64 s[16:17], s[16:17]
                                        ; implicit-def: $sgpr19
	s_xor_b64 exec, exec, s[16:17]
	s_cbranch_execnz .LBB7_2997
.LBB7_2853:
	s_or_b64 exec, exec, s[16:17]
	v_mov_b32_e32 v5, s19
	s_and_saveexec_b64 s[16:17], s[10:11]
.LBB7_2854:
	v_lshrrev_b32_e32 v2, 24, v2
	s_movk_i32 s10, 0x80
	v_and_or_b32 v5, v2, s10, v3
.LBB7_2855:
	s_or_b64 exec, exec, s[16:17]
.LBB7_2856:
	s_or_b64 exec, exec, s[6:7]
	global_store_byte v[8:9], v5, off
.LBB7_2857:
	s_mov_b64 s[6:7], -1
.LBB7_2858:
	s_mov_b64 s[10:11], 0
.LBB7_2859:
	s_and_b64 vcc, exec, s[10:11]
	s_cbranch_vccz .LBB7_2899
; %bb.2860:
	v_mov_b32_e32 v2, 22
	v_cmp_gt_i16_sdwa s[10:11], s18, v2 src0_sel:BYTE_0 src1_sel:DWORD
	s_mov_b64 s[2:3], -1
	s_and_b64 vcc, exec, s[10:11]
	s_cbranch_vccz .LBB7_2892
; %bb.2861:
	v_mov_b32_e32 v2, 24
	v_cmp_lt_i16_sdwa s[6:7], s18, v2 src0_sel:BYTE_0 src1_sel:DWORD
	s_and_b64 vcc, exec, s[6:7]
	s_cbranch_vccnz .LBB7_2881
; %bb.2862:
	v_cmp_gt_i16_sdwa s[6:7], s18, v2 src0_sel:BYTE_0 src1_sel:DWORD
	s_and_b64 vcc, exec, s[6:7]
	s_cbranch_vccz .LBB7_2870
; %bb.2863:
	v_cvt_f32_f64_e32 v2, v[0:1]
	v_and_b32_e32 v3, 0x7fffffff, v2
	s_mov_b32 s2, 0x47800000
	v_cmp_gt_u32_e32 vcc, s2, v3
	v_mov_b32_e32 v5, 0x80
	s_and_saveexec_b64 s[2:3], vcc
	s_cbranch_execz .LBB7_2869
; %bb.2864:
	s_mov_b32 s6, 0x37ffffff
	v_cmp_lt_u32_e32 vcc, s6, v3
	s_mov_b64 s[6:7], 0
                                        ; implicit-def: $vgpr3
	s_and_saveexec_b64 s[10:11], vcc
	s_xor_b64 s[10:11], exec, s[10:11]
	s_cbranch_execz .LBB7_3000
; %bb.2865:
	v_bfe_u32 v3, v2, 21, 1
	s_mov_b32 s16, 0x88fffff
	v_add3_u32 v3, v2, v3, s16
	s_mov_b64 s[6:7], exec
	v_lshrrev_b32_e32 v3, 21, v3
	s_or_saveexec_b64 s[10:11], s[10:11]
                                        ; implicit-def: $sgpr16
	s_xor_b64 exec, exec, s[10:11]
	s_cbranch_execnz .LBB7_3001
.LBB7_2866:
	s_or_b64 exec, exec, s[10:11]
	v_mov_b32_e32 v5, s16
	s_and_saveexec_b64 s[10:11], s[6:7]
.LBB7_2867:
	v_lshrrev_b32_e32 v2, 24, v2
	s_movk_i32 s6, 0x80
	v_and_or_b32 v5, v2, s6, v3
.LBB7_2868:
	s_or_b64 exec, exec, s[10:11]
.LBB7_2869:
	s_or_b64 exec, exec, s[2:3]
	s_mov_b64 s[2:3], 0
	global_store_byte v[8:9], v5, off
.LBB7_2870:
	s_and_b64 vcc, exec, s[2:3]
	s_cbranch_vccz .LBB7_2880
; %bb.2871:
	v_cvt_f32_f64_e32 v2, v[0:1]
	v_and_b32_e32 v5, 0x7fffffff, v2
	s_mov_b32 s2, 0x43f00000
	v_cmp_gt_u32_e32 vcc, s2, v5
                                        ; implicit-def: $vgpr3
	s_and_saveexec_b64 s[2:3], vcc
	s_xor_b64 s[2:3], exec, s[2:3]
	s_cbranch_execz .LBB7_2877
; %bb.2872:
	s_mov_b32 s6, 0x3c7fffff
	v_cmp_lt_u32_e32 vcc, s6, v5
                                        ; implicit-def: $vgpr3
	s_and_saveexec_b64 s[6:7], vcc
	s_xor_b64 s[6:7], exec, s[6:7]
; %bb.2873:
	v_bfe_u32 v3, v2, 20, 1
	s_mov_b32 s10, 0x407ffff
	v_add3_u32 v3, v2, v3, s10
	v_lshrrev_b32_e32 v5, 20, v3
	v_and_b32_e32 v3, 0xff00000, v3
	s_mov_b32 s10, 0x7f00000
	v_mov_b32_e32 v7, 0x7e
	v_cmp_ne_u32_e32 vcc, s10, v3
	v_cndmask_b32_e32 v3, v7, v5, vcc
; %bb.2874:
	s_andn2_saveexec_b64 s[6:7], s[6:7]
; %bb.2875:
	s_mov_b32 s10, 0x46800000
	v_add_f32_e64 v3, |v2|, s10
; %bb.2876:
	s_or_b64 exec, exec, s[6:7]
                                        ; implicit-def: $vgpr5
.LBB7_2877:
	s_andn2_saveexec_b64 s[2:3], s[2:3]
; %bb.2878:
	s_mov_b32 s6, 0x7f800000
	v_mov_b32_e32 v3, 0x7e
	v_mov_b32_e32 v7, 0x7f
	v_cmp_lt_u32_e32 vcc, s6, v5
	v_cndmask_b32_e32 v3, v3, v7, vcc
; %bb.2879:
	s_or_b64 exec, exec, s[2:3]
	v_lshrrev_b32_e32 v2, 24, v2
	s_movk_i32 s2, 0x80
	v_and_or_b32 v2, v2, s2, v3
	global_store_byte v[8:9], v2, off
.LBB7_2880:
	s_mov_b64 s[2:3], 0
.LBB7_2881:
	s_andn2_b64 vcc, exec, s[2:3]
	s_cbranch_vccnz .LBB7_2891
; %bb.2882:
	v_cvt_f32_f64_e32 v2, v[0:1]
	v_and_b32_e32 v5, 0x7fffffff, v2
	s_mov_b32 s2, 0x47800000
	v_cmp_gt_u32_e32 vcc, s2, v5
                                        ; implicit-def: $vgpr3
	s_and_saveexec_b64 s[2:3], vcc
	s_xor_b64 s[2:3], exec, s[2:3]
	s_cbranch_execz .LBB7_2888
; %bb.2883:
	s_mov_b32 s6, 0x387fffff
	v_cmp_lt_u32_e32 vcc, s6, v5
                                        ; implicit-def: $vgpr3
	s_and_saveexec_b64 s[6:7], vcc
	s_xor_b64 s[6:7], exec, s[6:7]
; %bb.2884:
	v_bfe_u32 v3, v2, 21, 1
	s_mov_b32 s10, 0x80fffff
	v_add3_u32 v3, v2, v3, s10
	v_lshrrev_b32_e32 v3, 21, v3
; %bb.2885:
	s_andn2_saveexec_b64 s[6:7], s[6:7]
; %bb.2886:
	s_mov_b32 s10, 0x43000000
	v_add_f32_e64 v3, |v2|, s10
; %bb.2887:
	s_or_b64 exec, exec, s[6:7]
                                        ; implicit-def: $vgpr5
.LBB7_2888:
	s_andn2_saveexec_b64 s[2:3], s[2:3]
; %bb.2889:
	s_mov_b32 s6, 0x7f800000
	v_mov_b32_e32 v3, 0x7c
	v_mov_b32_e32 v7, 0x7f
	v_cmp_lt_u32_e32 vcc, s6, v5
	v_cndmask_b32_e32 v3, v3, v7, vcc
; %bb.2890:
	s_or_b64 exec, exec, s[2:3]
	v_lshrrev_b32_e32 v2, 24, v2
	s_movk_i32 s2, 0x80
	v_and_or_b32 v2, v2, s2, v3
	global_store_byte v[8:9], v2, off
.LBB7_2891:
	s_mov_b64 s[2:3], 0
	s_mov_b64 s[6:7], -1
.LBB7_2892:
	s_andn2_b64 vcc, exec, s[2:3]
	s_mov_b64 s[2:3], 0
	s_cbranch_vccnz .LBB7_2899
; %bb.2893:
	v_mov_b32_e32 v2, 14
	v_cmp_gt_i16_sdwa s[2:3], s18, v2 src0_sel:BYTE_0 src1_sel:DWORD
	s_mov_b64 s[10:11], -1
	s_and_b64 vcc, exec, s[2:3]
	s_cbranch_vccz .LBB7_2897
; %bb.2894:
	v_mov_b32_e32 v2, 15
	v_cmp_eq_u16_sdwa s[2:3], s18, v2 src0_sel:BYTE_0 src1_sel:DWORD
	s_mov_b64 s[0:1], -1
	s_and_b64 vcc, exec, s[2:3]
	s_cbranch_vccz .LBB7_2896
; %bb.2895:
	v_cvt_f32_f64_e32 v2, v[0:1]
	v_bfe_u32 v3, v2, 16, 1
	s_movk_i32 s0, 0x7fff
	v_add3_u32 v3, v2, v3, s0
	v_lshrrev_b32_e32 v3, 16, v3
	v_mov_b32_e32 v5, 0x7fc0
	v_cmp_o_f32_e32 vcc, v2, v2
	v_cndmask_b32_e32 v2, v5, v3, vcc
	global_store_short v[8:9], v2, off
	s_mov_b64 s[0:1], 0
	s_mov_b64 s[6:7], -1
.LBB7_2896:
	s_mov_b64 s[10:11], 0
.LBB7_2897:
	s_mov_b64 s[2:3], 0
	s_and_b64 vcc, exec, s[10:11]
	s_cbranch_vccz .LBB7_2899
; %bb.2898:
	v_mov_b32_e32 v2, 11
	v_cmp_ne_u16_sdwa s[0:1], s18, v2 src0_sel:BYTE_0 src1_sel:DWORD
	s_mov_b64 s[2:3], -1
.LBB7_2899:
	s_and_b64 vcc, exec, s[0:1]
	s_cbranch_vccnz .LBB7_2999
; %bb.2900:
	s_andn2_b64 vcc, exec, s[2:3]
	s_cbranch_vccnz .LBB7_2902
.LBB7_2901:
	v_cmp_neq_f64_e32 vcc, 0, v[0:1]
	v_cndmask_b32_e64 v2, 0, 1, vcc
	s_mov_b64 s[6:7], -1
	global_store_byte v[8:9], v2, off
.LBB7_2902:
.LBB7_2903:
	s_andn2_b64 vcc, exec, s[6:7]
	s_cbranch_vccnz .LBB7_2950
.LBB7_2904:
	v_mul_f64 v[0:1], v[20:21], v[22:23]
	v_cmp_lt_f64_e32 vcc, 0, v[20:21]
	v_cndmask_b32_e32 v1, v1, v21, vcc
	v_cndmask_b32_e32 v0, v0, v20, vcc
	v_mov_b32_e32 v2, s9
	v_add_co_u32_e32 v6, vcc, s8, v6
	v_addc_co_u32_e32 v7, vcc, 0, v2, vcc
	v_mov_b32_e32 v2, 11
	v_cmp_lt_i16_sdwa s[2:3], s18, v2 src0_sel:BYTE_0 src1_sel:DWORD
	s_mov_b64 s[6:7], 0
	s_mov_b64 s[0:1], -1
	s_and_b64 vcc, exec, s[2:3]
	s_cbranch_vccnz .LBB7_2911
; %bb.2905:
	v_mov_b32_e32 v2, 25
	v_cmp_gt_i16_sdwa s[0:1], s18, v2 src0_sel:BYTE_0 src1_sel:DWORD
	s_mov_b64 s[10:11], -1
	s_mov_b64 s[2:3], 0
	s_and_b64 vcc, exec, s[0:1]
	s_mov_b64 s[0:1], 0
	s_cbranch_vccz .LBB7_3030
; %bb.2906:
	v_mov_b32_e32 v2, 28
	v_cmp_gt_i16_sdwa s[0:1], s18, v2 src0_sel:BYTE_0 src1_sel:DWORD
	s_and_b64 vcc, exec, s[0:1]
	s_cbranch_vccz .LBB7_2995
; %bb.2907:
	v_mov_b32_e32 v2, 43
	v_cmp_gt_i16_sdwa s[0:1], s18, v2 src0_sel:BYTE_0 src1_sel:DWORD
	s_and_b64 vcc, exec, s[0:1]
	;; [unrolled: 5-line block ×3, first 2 shown]
	s_cbranch_vccz .LBB7_3002
; %bb.2909:
	v_mov_b32_e32 v2, 46
	v_cmp_eq_u16_sdwa s[6:7], s18, v2 src0_sel:BYTE_0 src1_sel:DWORD
	s_mov_b64 s[0:1], -1
	s_mov_b64 s[10:11], 0
	s_and_b64 vcc, exec, s[6:7]
	s_mov_b64 s[6:7], 0
	s_cbranch_vccz .LBB7_3003
; %bb.2910:
	v_cvt_f32_f64_e32 v2, v[0:1]
	v_bfe_u32 v3, v2, 16, 1
	s_movk_i32 s0, 0x7fff
	v_add3_u32 v3, v2, v3, s0
	v_lshrrev_b32_e32 v3, 16, v3
	v_mov_b32_e32 v5, 0x7fc0
	v_cmp_o_f32_e32 vcc, v2, v2
	v_cndmask_b32_e32 v2, v5, v3, vcc
	global_store_dword v[6:7], v2, off
	s_mov_b64 s[0:1], 0
	s_mov_b64 s[6:7], -1
	s_branch .LBB7_3003
.LBB7_2911:
	s_and_b64 vcc, exec, s[0:1]
	s_cbranch_vccz .LBB7_3074
; %bb.2912:
	v_mov_b32_e32 v2, 5
	v_cmp_lt_i16_sdwa s[2:3], s18, v2 src0_sel:BYTE_0 src1_sel:DWORD
	s_mov_b64 s[0:1], -1
	s_and_b64 vcc, exec, s[2:3]
	s_cbranch_vccnz .LBB7_2933
; %bb.2913:
	v_mov_b32_e32 v2, 8
	v_cmp_lt_i16_sdwa s[2:3], s18, v2 src0_sel:BYTE_0 src1_sel:DWORD
	s_and_b64 vcc, exec, s[2:3]
	s_cbranch_vccnz .LBB7_2923
; %bb.2914:
	v_mov_b32_e32 v2, 9
	v_cmp_lt_i16_sdwa s[2:3], s18, v2 src0_sel:BYTE_0 src1_sel:DWORD
	s_and_b64 vcc, exec, s[2:3]
	s_cbranch_vccnz .LBB7_2920
; %bb.2915:
	v_cmp_gt_i16_sdwa s[2:3], s18, v2 src0_sel:BYTE_0 src1_sel:DWORD
	s_and_b64 vcc, exec, s[2:3]
	s_cbranch_vccz .LBB7_2917
; %bb.2916:
	v_mov_b32_e32 v2, 0
	v_mov_b32_e32 v3, v2
	global_store_dwordx4 v[6:7], v[0:3], off
	s_mov_b64 s[0:1], 0
.LBB7_2917:
	s_andn2_b64 vcc, exec, s[0:1]
	s_cbranch_vccnz .LBB7_2919
; %bb.2918:
	v_cvt_f32_f64_e32 v2, v[0:1]
	v_mov_b32_e32 v3, 0
	global_store_dwordx2 v[6:7], v[2:3], off
.LBB7_2919:
	s_mov_b64 s[0:1], 0
.LBB7_2920:
	s_andn2_b64 vcc, exec, s[0:1]
	s_cbranch_vccnz .LBB7_2922
; %bb.2921:
	v_cvt_f32_f64_e32 v2, v[0:1]
	v_cvt_f16_f32_e32 v2, v2
	global_store_dword v[6:7], v2, off
.LBB7_2922:
	s_mov_b64 s[0:1], 0
.LBB7_2923:
	s_andn2_b64 vcc, exec, s[0:1]
	s_cbranch_vccnz .LBB7_2932
; %bb.2924:
	v_mov_b32_e32 v2, 6
	v_cmp_lt_i16_sdwa s[2:3], s18, v2 src0_sel:BYTE_0 src1_sel:DWORD
	s_mov_b64 s[0:1], -1
	s_and_b64 vcc, exec, s[2:3]
	s_cbranch_vccnz .LBB7_2930
; %bb.2925:
	v_cmp_gt_i16_sdwa s[2:3], s18, v2 src0_sel:BYTE_0 src1_sel:DWORD
	s_and_b64 vcc, exec, s[2:3]
	s_cbranch_vccz .LBB7_2927
; %bb.2926:
	global_store_dwordx2 v[6:7], v[0:1], off
	s_mov_b64 s[0:1], 0
.LBB7_2927:
	s_andn2_b64 vcc, exec, s[0:1]
	s_cbranch_vccnz .LBB7_2929
; %bb.2928:
	v_cvt_f32_f64_e32 v2, v[0:1]
	global_store_dword v[6:7], v2, off
.LBB7_2929:
	s_mov_b64 s[0:1], 0
.LBB7_2930:
	s_andn2_b64 vcc, exec, s[0:1]
	s_cbranch_vccnz .LBB7_2932
; %bb.2931:
	v_cvt_f32_f64_e32 v2, v[0:1]
	v_cvt_f16_f32_e32 v2, v2
	global_store_short v[6:7], v2, off
.LBB7_2932:
	s_mov_b64 s[0:1], 0
.LBB7_2933:
	s_andn2_b64 vcc, exec, s[0:1]
	s_cbranch_vccnz .LBB7_2949
; %bb.2934:
	v_mov_b32_e32 v2, 2
	v_cmp_lt_i16_sdwa s[2:3], s18, v2 src0_sel:BYTE_0 src1_sel:DWORD
	s_mov_b64 s[0:1], -1
	s_and_b64 vcc, exec, s[2:3]
	s_cbranch_vccnz .LBB7_2944
; %bb.2935:
	v_mov_b32_e32 v2, 3
	v_cmp_lt_i16_sdwa s[2:3], s18, v2 src0_sel:BYTE_0 src1_sel:DWORD
	s_and_b64 vcc, exec, s[2:3]
	s_cbranch_vccnz .LBB7_2941
; %bb.2936:
	v_cmp_gt_i16_sdwa s[2:3], s18, v2 src0_sel:BYTE_0 src1_sel:DWORD
	s_and_b64 vcc, exec, s[2:3]
	s_cbranch_vccz .LBB7_2938
; %bb.2937:
	v_trunc_f64_e32 v[2:3], v[0:1]
	s_movk_i32 s0, 0xffe0
	v_ldexp_f64 v[8:9], v[2:3], s0
	v_floor_f64_e32 v[8:9], v[8:9]
	v_fmac_f64_e32 v[2:3], 0xc1f00000, v[8:9]
	v_cvt_i32_f64_e32 v13, v[8:9]
	v_cvt_u32_f64_e32 v12, v[2:3]
	global_store_dwordx2 v[6:7], v[12:13], off
	s_mov_b64 s[0:1], 0
.LBB7_2938:
	s_andn2_b64 vcc, exec, s[0:1]
	s_cbranch_vccnz .LBB7_2940
; %bb.2939:
	v_cvt_i32_f64_e32 v2, v[0:1]
	global_store_dword v[6:7], v2, off
.LBB7_2940:
	s_mov_b64 s[0:1], 0
.LBB7_2941:
	s_andn2_b64 vcc, exec, s[0:1]
	s_cbranch_vccnz .LBB7_2943
; %bb.2942:
	v_cvt_i32_f64_e32 v2, v[0:1]
	global_store_short v[6:7], v2, off
.LBB7_2943:
	s_mov_b64 s[0:1], 0
.LBB7_2944:
	s_andn2_b64 vcc, exec, s[0:1]
	s_cbranch_vccnz .LBB7_2949
; %bb.2945:
	v_mov_b32_e32 v2, 0
	v_cmp_gt_i16_sdwa s[2:3], s18, v2 src0_sel:BYTE_0 src1_sel:DWORD
	s_mov_b64 s[0:1], -1
	s_and_b64 vcc, exec, s[2:3]
	s_cbranch_vccz .LBB7_2947
; %bb.2946:
	v_cvt_i32_f64_e32 v2, v[0:1]
	global_store_byte v[6:7], v2, off
	s_mov_b64 s[0:1], 0
.LBB7_2947:
	s_andn2_b64 vcc, exec, s[0:1]
	s_cbranch_vccnz .LBB7_2949
; %bb.2948:
	v_trunc_f64_e32 v[0:1], v[0:1]
	s_movk_i32 s0, 0xffe0
	v_ldexp_f64 v[2:3], v[0:1], s0
	v_floor_f64_e32 v[2:3], v[2:3]
	v_fmac_f64_e32 v[0:1], 0xc1f00000, v[2:3]
	v_cvt_u32_f64_e32 v0, v[0:1]
	global_store_byte v[6:7], v0, off
.LBB7_2949:
	s_branch .LBB7_3075
.LBB7_2950:
	s_mov_b64 s[0:1], 0
	s_mov_b64 s[2:3], 0
                                        ; implicit-def: $vgpr4_vgpr5
                                        ; implicit-def: $vgpr6
                                        ; implicit-def: $vgpr0_vgpr1
.LBB7_2951:
	s_and_b64 s[6:7], s[2:3], exec
	s_andn2_b64 s[2:3], s[12:13], exec
	s_and_b64 s[4:5], s[4:5], exec
	s_and_b64 s[0:1], s[0:1], exec
	s_or_b64 s[12:13], s[2:3], s[4:5]
.LBB7_2952:
	s_or_b64 exec, exec, s[14:15]
	s_and_saveexec_b64 s[2:3], s[12:13]
	s_cbranch_execz .LBB7_2955
; %bb.2953:
	; divergent unreachable
	s_or_b64 exec, exec, s[2:3]
	s_and_saveexec_b64 s[2:3], s[6:7]
	s_xor_b64 s[2:3], exec, s[2:3]
	s_cbranch_execnz .LBB7_2956
.LBB7_2954:
	s_or_b64 exec, exec, s[2:3]
	s_and_saveexec_b64 s[2:3], s[0:1]
	s_cbranch_execnz .LBB7_2957
	s_branch .LBB7_2994
.LBB7_2955:
	s_or_b64 exec, exec, s[2:3]
	s_and_saveexec_b64 s[2:3], s[6:7]
	s_xor_b64 s[2:3], exec, s[2:3]
	s_cbranch_execz .LBB7_2954
.LBB7_2956:
	s_waitcnt vmcnt(0)
	v_cmp_neq_f64_e32 vcc, 0, v[0:1]
	v_cndmask_b32_e64 v2, 0, 1, vcc
	global_store_byte v[4:5], v2, off
	s_or_b64 exec, exec, s[2:3]
	s_and_saveexec_b64 s[2:3], s[0:1]
	s_cbranch_execz .LBB7_2994
.LBB7_2957:
	s_waitcnt vmcnt(0)
	v_cmp_gt_i16_e32 vcc, 5, v6
	s_mov_b64 s[0:1], -1
	s_cbranch_vccnz .LBB7_2978
; %bb.2958:
	v_cmp_gt_i16_e32 vcc, 8, v6
	s_cbranch_vccnz .LBB7_2968
; %bb.2959:
	v_cmp_gt_i16_e32 vcc, 9, v6
	s_cbranch_vccnz .LBB7_2965
; %bb.2960:
	v_cmp_lt_i16_e32 vcc, 9, v6
	s_cbranch_vccz .LBB7_2962
; %bb.2961:
	v_mov_b32_e32 v2, 0
	v_mov_b32_e32 v3, v2
	global_store_dwordx4 v[4:5], v[0:3], off
	s_mov_b64 s[0:1], 0
.LBB7_2962:
	s_andn2_b64 vcc, exec, s[0:1]
	s_cbranch_vccnz .LBB7_2964
; %bb.2963:
	v_cvt_f32_f64_e32 v2, v[0:1]
	v_mov_b32_e32 v3, 0
	global_store_dwordx2 v[4:5], v[2:3], off
.LBB7_2964:
	s_mov_b64 s[0:1], 0
.LBB7_2965:
	s_andn2_b64 vcc, exec, s[0:1]
	s_cbranch_vccnz .LBB7_2967
; %bb.2966:
	v_cvt_f32_f64_e32 v2, v[0:1]
	v_cvt_f16_f32_e32 v2, v2
	global_store_dword v[4:5], v2, off
.LBB7_2967:
	s_mov_b64 s[0:1], 0
.LBB7_2968:
	s_andn2_b64 vcc, exec, s[0:1]
	s_cbranch_vccnz .LBB7_2977
; %bb.2969:
	v_cmp_gt_i16_e32 vcc, 6, v6
	s_mov_b64 s[0:1], -1
	s_cbranch_vccnz .LBB7_2975
; %bb.2970:
	v_cmp_lt_i16_e32 vcc, 6, v6
	s_cbranch_vccz .LBB7_2972
; %bb.2971:
	global_store_dwordx2 v[4:5], v[0:1], off
	s_mov_b64 s[0:1], 0
.LBB7_2972:
	s_andn2_b64 vcc, exec, s[0:1]
	s_cbranch_vccnz .LBB7_2974
; %bb.2973:
	v_cvt_f32_f64_e32 v2, v[0:1]
	global_store_dword v[4:5], v2, off
.LBB7_2974:
	s_mov_b64 s[0:1], 0
.LBB7_2975:
	s_andn2_b64 vcc, exec, s[0:1]
	s_cbranch_vccnz .LBB7_2977
; %bb.2976:
	v_cvt_f32_f64_e32 v2, v[0:1]
	v_cvt_f16_f32_e32 v2, v2
	global_store_short v[4:5], v2, off
.LBB7_2977:
	s_mov_b64 s[0:1], 0
.LBB7_2978:
	s_andn2_b64 vcc, exec, s[0:1]
	s_cbranch_vccnz .LBB7_2994
; %bb.2979:
	v_cmp_gt_i16_e32 vcc, 2, v6
	s_mov_b64 s[0:1], -1
	s_cbranch_vccnz .LBB7_2989
; %bb.2980:
	v_cmp_gt_i16_e32 vcc, 3, v6
	s_cbranch_vccnz .LBB7_2986
; %bb.2981:
	v_cmp_lt_i16_e32 vcc, 3, v6
	s_cbranch_vccz .LBB7_2983
; %bb.2982:
	v_trunc_f64_e32 v[2:3], v[0:1]
	s_movk_i32 s0, 0xffe0
	v_ldexp_f64 v[8:9], v[2:3], s0
	v_floor_f64_e32 v[8:9], v[8:9]
	v_fmac_f64_e32 v[2:3], 0xc1f00000, v[8:9]
	v_cvt_i32_f64_e32 v11, v[8:9]
	v_cvt_u32_f64_e32 v10, v[2:3]
	global_store_dwordx2 v[4:5], v[10:11], off
	s_mov_b64 s[0:1], 0
.LBB7_2983:
	s_andn2_b64 vcc, exec, s[0:1]
	s_cbranch_vccnz .LBB7_2985
; %bb.2984:
	v_cvt_i32_f64_e32 v2, v[0:1]
	global_store_dword v[4:5], v2, off
.LBB7_2985:
	s_mov_b64 s[0:1], 0
.LBB7_2986:
	s_andn2_b64 vcc, exec, s[0:1]
	s_cbranch_vccnz .LBB7_2988
; %bb.2987:
	v_cvt_i32_f64_e32 v2, v[0:1]
	global_store_short v[4:5], v2, off
.LBB7_2988:
	s_mov_b64 s[0:1], 0
.LBB7_2989:
	s_andn2_b64 vcc, exec, s[0:1]
	s_cbranch_vccnz .LBB7_2994
; %bb.2990:
	v_cmp_lt_i16_e32 vcc, 0, v6
	s_mov_b64 s[0:1], -1
	s_cbranch_vccz .LBB7_2992
; %bb.2991:
	v_cvt_i32_f64_e32 v2, v[0:1]
	global_store_byte v[4:5], v2, off
	s_mov_b64 s[0:1], 0
.LBB7_2992:
	s_andn2_b64 vcc, exec, s[0:1]
	s_cbranch_vccnz .LBB7_2994
; %bb.2993:
	v_trunc_f64_e32 v[0:1], v[0:1]
	s_movk_i32 s0, 0xffe0
	v_ldexp_f64 v[2:3], v[0:1], s0
	v_floor_f64_e32 v[2:3], v[2:3]
	v_fmac_f64_e32 v[0:1], 0xc1f00000, v[2:3]
	v_cvt_u32_f64_e32 v0, v[0:1]
	global_store_byte v[4:5], v0, off
	s_endpgm
.LBB7_2994:
	s_endpgm
.LBB7_2995:
	s_mov_b64 s[0:1], 0
	s_branch .LBB7_3013
.LBB7_2996:
	s_or_saveexec_b64 s[16:17], s[16:17]
                                        ; implicit-def: $sgpr19
	s_xor_b64 exec, exec, s[16:17]
	s_cbranch_execz .LBB7_2853
.LBB7_2997:
	s_mov_b32 s19, 0x46000000
	v_add_f32_e64 v3, |v2|, s19
	v_and_b32_e32 v3, 0xff, v3
	v_cmp_ne_u32_e32 vcc, 0, v3
	s_andn2_b64 s[10:11], s[10:11], exec
	s_and_b64 s[20:21], vcc, exec
	s_mov_b32 s19, 0
	s_or_b64 s[10:11], s[10:11], s[20:21]
	s_or_b64 exec, exec, s[16:17]
	v_mov_b32_e32 v5, s19
	s_and_saveexec_b64 s[16:17], s[10:11]
	s_cbranch_execnz .LBB7_2854
	s_branch .LBB7_2855
.LBB7_2998:
	s_mov_b64 s[0:1], 0
	s_branch .LBB7_3009
.LBB7_2999:
	s_trap 2
	s_or_b64 s[4:5], s[4:5], exec
	s_cbranch_execz .LBB7_2901
	s_branch .LBB7_2902
.LBB7_3000:
	s_or_saveexec_b64 s[10:11], s[10:11]
                                        ; implicit-def: $sgpr16
	s_xor_b64 exec, exec, s[10:11]
	s_cbranch_execz .LBB7_2866
.LBB7_3001:
	s_mov_b32 s16, 0x42800000
	v_add_f32_e64 v3, |v2|, s16
	v_and_b32_e32 v3, 0xff, v3
	v_cmp_ne_u32_e32 vcc, 0, v3
	s_andn2_b64 s[6:7], s[6:7], exec
	s_and_b64 s[20:21], vcc, exec
	s_mov_b32 s16, 0
	s_or_b64 s[6:7], s[6:7], s[20:21]
	s_or_b64 exec, exec, s[10:11]
	v_mov_b32_e32 v5, s16
	s_and_saveexec_b64 s[10:11], s[6:7]
	s_cbranch_execnz .LBB7_2867
	s_branch .LBB7_2868
.LBB7_3002:
	s_mov_b64 s[0:1], 0
.LBB7_3003:
	s_and_b64 vcc, exec, s[10:11]
	s_cbranch_vccz .LBB7_3008
; %bb.3004:
	v_mov_b32_e32 v2, 44
	v_cmp_eq_u16_sdwa s[10:11], s18, v2 src0_sel:BYTE_0 src1_sel:DWORD
	s_mov_b64 s[0:1], -1
	s_and_b64 vcc, exec, s[10:11]
	s_cbranch_vccz .LBB7_3008
; %bb.3005:
	v_cvt_f32_f64_e32 v2, v[0:1]
	v_bfe_u32 v3, v2, 23, 8
	s_movk_i32 s0, 0xff
	v_cmp_ne_u32_e32 vcc, s0, v3
	v_mov_b32_e32 v5, 0xff
	s_and_saveexec_b64 s[6:7], vcc
; %bb.3006:
	s_mov_b32 s0, 0x3fffff
	v_lshrrev_b32_e32 v5, 23, v2
	v_and_b32_e32 v8, 0x400000, v2
	v_and_or_b32 v2, v2, s0, v3
	v_cmp_ne_u32_e32 vcc, 0, v8
	v_cmp_ne_u32_e64 s[0:1], 0, v2
	s_and_b64 s[0:1], vcc, s[0:1]
	v_cndmask_b32_e64 v2, 0, 1, s[0:1]
	v_add_u32_e32 v5, v5, v2
; %bb.3007:
	s_or_b64 exec, exec, s[6:7]
	s_mov_b64 s[0:1], 0
	s_mov_b64 s[6:7], -1
	global_store_byte v[6:7], v5, off
.LBB7_3008:
	s_mov_b64 s[10:11], 0
.LBB7_3009:
	s_and_b64 vcc, exec, s[10:11]
	s_cbranch_vccz .LBB7_3012
; %bb.3010:
	v_mov_b32_e32 v2, 29
	v_cmp_eq_u16_sdwa s[10:11], s18, v2 src0_sel:BYTE_0 src1_sel:DWORD
	s_mov_b64 s[0:1], -1
	s_and_b64 vcc, exec, s[10:11]
	s_cbranch_vccz .LBB7_3012
; %bb.3011:
	v_trunc_f64_e32 v[2:3], v[0:1]
	s_movk_i32 s0, 0xffe0
	v_ldexp_f64 v[8:9], v[2:3], s0
	v_floor_f64_e32 v[8:9], v[8:9]
	v_fmac_f64_e32 v[2:3], 0xc1f00000, v[8:9]
	v_cvt_u32_f64_e32 v13, v[8:9]
	v_cvt_u32_f64_e32 v12, v[2:3]
	global_store_dwordx2 v[6:7], v[12:13], off
	s_mov_b64 s[0:1], 0
	s_mov_b64 s[6:7], -1
.LBB7_3012:
	s_mov_b64 s[10:11], 0
.LBB7_3013:
	s_and_b64 vcc, exec, s[10:11]
	s_cbranch_vccz .LBB7_3029
; %bb.3014:
	v_mov_b32_e32 v2, 27
	v_cmp_lt_i16_sdwa s[10:11], s18, v2 src0_sel:BYTE_0 src1_sel:DWORD
	s_mov_b64 s[6:7], -1
	s_and_b64 vcc, exec, s[10:11]
	s_cbranch_vccnz .LBB7_3020
; %bb.3015:
	v_cmp_gt_i16_sdwa s[10:11], s18, v2 src0_sel:BYTE_0 src1_sel:DWORD
	s_and_b64 vcc, exec, s[10:11]
	s_cbranch_vccz .LBB7_3017
; %bb.3016:
	v_cvt_u32_f64_e32 v2, v[0:1]
	s_mov_b64 s[6:7], 0
	global_store_dword v[6:7], v2, off
.LBB7_3017:
	s_andn2_b64 vcc, exec, s[6:7]
	s_cbranch_vccnz .LBB7_3019
; %bb.3018:
	v_cvt_u32_f64_e32 v2, v[0:1]
	global_store_short v[6:7], v2, off
.LBB7_3019:
	s_mov_b64 s[6:7], 0
.LBB7_3020:
	s_andn2_b64 vcc, exec, s[6:7]
	s_cbranch_vccnz .LBB7_3028
; %bb.3021:
	v_cvt_f32_f64_e32 v2, v[0:1]
	v_and_b32_e32 v3, 0x7fffffff, v2
	s_mov_b32 s6, 0x43800000
	v_cmp_gt_u32_e32 vcc, s6, v3
	v_mov_b32_e32 v5, 0x80
	s_and_saveexec_b64 s[6:7], vcc
	s_cbranch_execz .LBB7_3027
; %bb.3022:
	s_mov_b32 s10, 0x3bffffff
	v_cmp_lt_u32_e32 vcc, s10, v3
	s_mov_b64 s[10:11], 0
                                        ; implicit-def: $vgpr3
	s_and_saveexec_b64 s[16:17], vcc
	s_xor_b64 s[16:17], exec, s[16:17]
	s_cbranch_execz .LBB7_3151
; %bb.3023:
	v_bfe_u32 v3, v2, 20, 1
	s_mov_b32 s19, 0x487ffff
	v_add3_u32 v3, v2, v3, s19
	s_mov_b64 s[10:11], exec
	v_lshrrev_b32_e32 v3, 20, v3
	s_or_saveexec_b64 s[16:17], s[16:17]
                                        ; implicit-def: $sgpr19
	s_xor_b64 exec, exec, s[16:17]
	s_cbranch_execnz .LBB7_3152
.LBB7_3024:
	s_or_b64 exec, exec, s[16:17]
	v_mov_b32_e32 v5, s19
	s_and_saveexec_b64 s[16:17], s[10:11]
.LBB7_3025:
	v_lshrrev_b32_e32 v2, 24, v2
	s_movk_i32 s10, 0x80
	v_and_or_b32 v5, v2, s10, v3
.LBB7_3026:
	s_or_b64 exec, exec, s[16:17]
.LBB7_3027:
	s_or_b64 exec, exec, s[6:7]
	global_store_byte v[6:7], v5, off
.LBB7_3028:
	s_mov_b64 s[6:7], -1
.LBB7_3029:
	s_mov_b64 s[10:11], 0
.LBB7_3030:
	s_and_b64 vcc, exec, s[10:11]
	s_cbranch_vccz .LBB7_3070
; %bb.3031:
	v_mov_b32_e32 v2, 22
	v_cmp_gt_i16_sdwa s[10:11], s18, v2 src0_sel:BYTE_0 src1_sel:DWORD
	s_mov_b64 s[2:3], -1
	s_and_b64 vcc, exec, s[10:11]
	s_cbranch_vccz .LBB7_3063
; %bb.3032:
	v_mov_b32_e32 v2, 24
	v_cmp_lt_i16_sdwa s[6:7], s18, v2 src0_sel:BYTE_0 src1_sel:DWORD
	s_and_b64 vcc, exec, s[6:7]
	s_cbranch_vccnz .LBB7_3052
; %bb.3033:
	v_cmp_gt_i16_sdwa s[6:7], s18, v2 src0_sel:BYTE_0 src1_sel:DWORD
	s_and_b64 vcc, exec, s[6:7]
	s_cbranch_vccz .LBB7_3041
; %bb.3034:
	v_cvt_f32_f64_e32 v2, v[0:1]
	v_and_b32_e32 v3, 0x7fffffff, v2
	s_mov_b32 s2, 0x47800000
	v_cmp_gt_u32_e32 vcc, s2, v3
	v_mov_b32_e32 v5, 0x80
	s_and_saveexec_b64 s[2:3], vcc
	s_cbranch_execz .LBB7_3040
; %bb.3035:
	s_mov_b32 s6, 0x37ffffff
	v_cmp_lt_u32_e32 vcc, s6, v3
	s_mov_b64 s[6:7], 0
                                        ; implicit-def: $vgpr3
	s_and_saveexec_b64 s[10:11], vcc
	s_xor_b64 s[10:11], exec, s[10:11]
	s_cbranch_execz .LBB7_3154
; %bb.3036:
	v_bfe_u32 v3, v2, 21, 1
	s_mov_b32 s16, 0x88fffff
	v_add3_u32 v3, v2, v3, s16
	s_mov_b64 s[6:7], exec
	v_lshrrev_b32_e32 v3, 21, v3
	s_or_saveexec_b64 s[10:11], s[10:11]
                                        ; implicit-def: $sgpr16
	s_xor_b64 exec, exec, s[10:11]
	s_cbranch_execnz .LBB7_3155
.LBB7_3037:
	s_or_b64 exec, exec, s[10:11]
	v_mov_b32_e32 v5, s16
	s_and_saveexec_b64 s[10:11], s[6:7]
.LBB7_3038:
	v_lshrrev_b32_e32 v2, 24, v2
	s_movk_i32 s6, 0x80
	v_and_or_b32 v5, v2, s6, v3
.LBB7_3039:
	s_or_b64 exec, exec, s[10:11]
.LBB7_3040:
	s_or_b64 exec, exec, s[2:3]
	s_mov_b64 s[2:3], 0
	global_store_byte v[6:7], v5, off
.LBB7_3041:
	s_and_b64 vcc, exec, s[2:3]
	s_cbranch_vccz .LBB7_3051
; %bb.3042:
	v_cvt_f32_f64_e32 v2, v[0:1]
	v_and_b32_e32 v5, 0x7fffffff, v2
	s_mov_b32 s2, 0x43f00000
	v_cmp_gt_u32_e32 vcc, s2, v5
                                        ; implicit-def: $vgpr3
	s_and_saveexec_b64 s[2:3], vcc
	s_xor_b64 s[2:3], exec, s[2:3]
	s_cbranch_execz .LBB7_3048
; %bb.3043:
	s_mov_b32 s6, 0x3c7fffff
	v_cmp_lt_u32_e32 vcc, s6, v5
                                        ; implicit-def: $vgpr3
	s_and_saveexec_b64 s[6:7], vcc
	s_xor_b64 s[6:7], exec, s[6:7]
; %bb.3044:
	v_bfe_u32 v3, v2, 20, 1
	s_mov_b32 s10, 0x407ffff
	v_add3_u32 v3, v2, v3, s10
	v_lshrrev_b32_e32 v5, 20, v3
	v_and_b32_e32 v3, 0xff00000, v3
	s_mov_b32 s10, 0x7f00000
	v_mov_b32_e32 v8, 0x7e
	v_cmp_ne_u32_e32 vcc, s10, v3
	v_cndmask_b32_e32 v3, v8, v5, vcc
; %bb.3045:
	s_andn2_saveexec_b64 s[6:7], s[6:7]
; %bb.3046:
	s_mov_b32 s10, 0x46800000
	v_add_f32_e64 v3, |v2|, s10
; %bb.3047:
	s_or_b64 exec, exec, s[6:7]
                                        ; implicit-def: $vgpr5
.LBB7_3048:
	s_andn2_saveexec_b64 s[2:3], s[2:3]
; %bb.3049:
	s_mov_b32 s6, 0x7f800000
	v_mov_b32_e32 v3, 0x7e
	v_mov_b32_e32 v8, 0x7f
	v_cmp_lt_u32_e32 vcc, s6, v5
	v_cndmask_b32_e32 v3, v3, v8, vcc
; %bb.3050:
	s_or_b64 exec, exec, s[2:3]
	v_lshrrev_b32_e32 v2, 24, v2
	s_movk_i32 s2, 0x80
	v_and_or_b32 v2, v2, s2, v3
	global_store_byte v[6:7], v2, off
.LBB7_3051:
	s_mov_b64 s[2:3], 0
.LBB7_3052:
	s_andn2_b64 vcc, exec, s[2:3]
	s_cbranch_vccnz .LBB7_3062
; %bb.3053:
	v_cvt_f32_f64_e32 v2, v[0:1]
	v_and_b32_e32 v5, 0x7fffffff, v2
	s_mov_b32 s2, 0x47800000
	v_cmp_gt_u32_e32 vcc, s2, v5
                                        ; implicit-def: $vgpr3
	s_and_saveexec_b64 s[2:3], vcc
	s_xor_b64 s[2:3], exec, s[2:3]
	s_cbranch_execz .LBB7_3059
; %bb.3054:
	s_mov_b32 s6, 0x387fffff
	v_cmp_lt_u32_e32 vcc, s6, v5
                                        ; implicit-def: $vgpr3
	s_and_saveexec_b64 s[6:7], vcc
	s_xor_b64 s[6:7], exec, s[6:7]
; %bb.3055:
	v_bfe_u32 v3, v2, 21, 1
	s_mov_b32 s10, 0x80fffff
	v_add3_u32 v3, v2, v3, s10
	v_lshrrev_b32_e32 v3, 21, v3
; %bb.3056:
	s_andn2_saveexec_b64 s[6:7], s[6:7]
; %bb.3057:
	s_mov_b32 s10, 0x43000000
	v_add_f32_e64 v3, |v2|, s10
; %bb.3058:
	s_or_b64 exec, exec, s[6:7]
                                        ; implicit-def: $vgpr5
.LBB7_3059:
	s_andn2_saveexec_b64 s[2:3], s[2:3]
; %bb.3060:
	s_mov_b32 s6, 0x7f800000
	v_mov_b32_e32 v3, 0x7c
	v_mov_b32_e32 v8, 0x7f
	v_cmp_lt_u32_e32 vcc, s6, v5
	v_cndmask_b32_e32 v3, v3, v8, vcc
; %bb.3061:
	s_or_b64 exec, exec, s[2:3]
	v_lshrrev_b32_e32 v2, 24, v2
	s_movk_i32 s2, 0x80
	v_and_or_b32 v2, v2, s2, v3
	global_store_byte v[6:7], v2, off
.LBB7_3062:
	s_mov_b64 s[2:3], 0
	s_mov_b64 s[6:7], -1
.LBB7_3063:
	s_andn2_b64 vcc, exec, s[2:3]
	s_mov_b64 s[2:3], 0
	s_cbranch_vccnz .LBB7_3070
; %bb.3064:
	v_mov_b32_e32 v2, 14
	v_cmp_gt_i16_sdwa s[2:3], s18, v2 src0_sel:BYTE_0 src1_sel:DWORD
	s_mov_b64 s[10:11], -1
	s_and_b64 vcc, exec, s[2:3]
	s_cbranch_vccz .LBB7_3068
; %bb.3065:
	v_mov_b32_e32 v2, 15
	v_cmp_eq_u16_sdwa s[2:3], s18, v2 src0_sel:BYTE_0 src1_sel:DWORD
	s_mov_b64 s[0:1], -1
	s_and_b64 vcc, exec, s[2:3]
	s_cbranch_vccz .LBB7_3067
; %bb.3066:
	v_cvt_f32_f64_e32 v2, v[0:1]
	v_bfe_u32 v3, v2, 16, 1
	s_movk_i32 s0, 0x7fff
	v_add3_u32 v3, v2, v3, s0
	v_lshrrev_b32_e32 v3, 16, v3
	v_mov_b32_e32 v5, 0x7fc0
	v_cmp_o_f32_e32 vcc, v2, v2
	v_cndmask_b32_e32 v2, v5, v3, vcc
	global_store_short v[6:7], v2, off
	s_mov_b64 s[0:1], 0
	s_mov_b64 s[6:7], -1
.LBB7_3067:
	s_mov_b64 s[10:11], 0
.LBB7_3068:
	s_mov_b64 s[2:3], 0
	s_and_b64 vcc, exec, s[10:11]
	s_cbranch_vccz .LBB7_3070
; %bb.3069:
	v_mov_b32_e32 v2, 11
	v_cmp_ne_u16_sdwa s[0:1], s18, v2 src0_sel:BYTE_0 src1_sel:DWORD
	s_mov_b64 s[2:3], -1
.LBB7_3070:
	s_and_b64 vcc, exec, s[0:1]
	s_cbranch_vccnz .LBB7_3153
; %bb.3071:
	s_andn2_b64 vcc, exec, s[2:3]
	s_cbranch_vccnz .LBB7_3073
.LBB7_3072:
	v_cmp_neq_f64_e32 vcc, 0, v[0:1]
	v_cndmask_b32_e64 v2, 0, 1, vcc
	s_mov_b64 s[6:7], -1
	global_store_byte v[6:7], v2, off
.LBB7_3073:
.LBB7_3074:
	s_andn2_b64 vcc, exec, s[6:7]
	s_cbranch_vccnz .LBB7_2950
.LBB7_3075:
	v_mul_f64 v[0:1], v[16:17], v[10:11]
	v_cmp_lt_f64_e32 vcc, 0, v[16:17]
	v_mov_b32_e32 v2, 0xff
	v_cndmask_b32_e32 v1, v1, v17, vcc
	v_cndmask_b32_e32 v0, v0, v16, vcc
	v_and_b32_e32 v6, s18, v2
	v_mov_b32_e32 v2, s9
	v_add_co_u32_e32 v4, vcc, s8, v4
	v_addc_co_u32_e32 v5, vcc, 0, v2, vcc
	v_cmp_gt_i16_e32 vcc, 11, v6
	s_mov_b64 s[2:3], 0
	s_mov_b64 s[0:1], -1
	s_cbranch_vccnz .LBB7_2951
; %bb.3076:
	v_cmp_lt_i16_e32 vcc, 25, v6
	s_mov_b64 s[6:7], -1
	s_mov_b64 s[0:1], 0
	s_cbranch_vccz .LBB7_3109
; %bb.3077:
	v_cmp_lt_i16_e32 vcc, 28, v6
	s_cbranch_vccz .LBB7_3093
; %bb.3078:
	v_cmp_lt_i16_e32 vcc, 43, v6
	s_cbranch_vccz .LBB7_3089
; %bb.3079:
	v_cmp_lt_i16_e32 vcc, 45, v6
	s_cbranch_vccz .LBB7_3083
; %bb.3080:
	v_cmp_eq_u16_e32 vcc, 46, v6
	s_mov_b64 s[0:1], -1
	s_cbranch_vccz .LBB7_3082
; %bb.3081:
	v_cvt_f32_f64_e32 v2, v[0:1]
	v_bfe_u32 v3, v2, 16, 1
	s_movk_i32 s0, 0x7fff
	v_add3_u32 v3, v2, v3, s0
	v_lshrrev_b32_e32 v3, 16, v3
	v_mov_b32_e32 v7, 0x7fc0
	v_cmp_o_f32_e32 vcc, v2, v2
	v_cndmask_b32_e32 v2, v7, v3, vcc
	global_store_dword v[4:5], v2, off
	s_mov_b64 s[0:1], 0
.LBB7_3082:
	s_mov_b64 s[6:7], 0
.LBB7_3083:
	s_and_b64 vcc, exec, s[6:7]
	s_cbranch_vccz .LBB7_3088
; %bb.3084:
	v_cmp_eq_u16_e32 vcc, 44, v6
	s_mov_b64 s[0:1], -1
	s_cbranch_vccz .LBB7_3088
; %bb.3085:
	v_cvt_f32_f64_e32 v2, v[0:1]
	v_bfe_u32 v3, v2, 23, 8
	s_movk_i32 s0, 0xff
	v_cmp_ne_u32_e32 vcc, s0, v3
	v_mov_b32_e32 v7, 0xff
	s_and_saveexec_b64 s[6:7], vcc
; %bb.3086:
	s_mov_b32 s0, 0x3fffff
	v_lshrrev_b32_e32 v7, 23, v2
	v_and_b32_e32 v8, 0x400000, v2
	v_and_or_b32 v2, v2, s0, v3
	v_cmp_ne_u32_e32 vcc, 0, v8
	v_cmp_ne_u32_e64 s[0:1], 0, v2
	s_and_b64 s[0:1], vcc, s[0:1]
	v_cndmask_b32_e64 v2, 0, 1, s[0:1]
	v_add_u32_e32 v7, v7, v2
; %bb.3087:
	s_or_b64 exec, exec, s[6:7]
	s_mov_b64 s[0:1], 0
	global_store_byte v[4:5], v7, off
.LBB7_3088:
	s_mov_b64 s[6:7], 0
.LBB7_3089:
	s_and_b64 vcc, exec, s[6:7]
	s_cbranch_vccz .LBB7_3092
; %bb.3090:
	v_cmp_eq_u16_e32 vcc, 29, v6
	s_mov_b64 s[0:1], -1
	s_cbranch_vccz .LBB7_3092
; %bb.3091:
	v_trunc_f64_e32 v[2:3], v[0:1]
	s_movk_i32 s0, 0xffe0
	v_ldexp_f64 v[8:9], v[2:3], s0
	v_floor_f64_e32 v[8:9], v[8:9]
	v_fmac_f64_e32 v[2:3], 0xc1f00000, v[8:9]
	v_cvt_u32_f64_e32 v11, v[8:9]
	v_cvt_u32_f64_e32 v10, v[2:3]
	global_store_dwordx2 v[4:5], v[10:11], off
	s_mov_b64 s[0:1], 0
.LBB7_3092:
	s_mov_b64 s[6:7], 0
.LBB7_3093:
	s_and_b64 vcc, exec, s[6:7]
	s_cbranch_vccz .LBB7_3108
; %bb.3094:
	v_cmp_gt_i16_e32 vcc, 27, v6
	s_mov_b64 s[6:7], -1
	s_cbranch_vccnz .LBB7_3100
; %bb.3095:
	v_cmp_lt_i16_e32 vcc, 27, v6
	v_cvt_u32_f64_e32 v2, v[0:1]
	s_cbranch_vccz .LBB7_3097
; %bb.3096:
	global_store_dword v[4:5], v2, off
	s_mov_b64 s[6:7], 0
.LBB7_3097:
	s_andn2_b64 vcc, exec, s[6:7]
	s_cbranch_vccnz .LBB7_3099
; %bb.3098:
	global_store_short v[4:5], v2, off
.LBB7_3099:
	s_mov_b64 s[6:7], 0
.LBB7_3100:
	s_andn2_b64 vcc, exec, s[6:7]
	s_cbranch_vccnz .LBB7_3108
; %bb.3101:
	v_cvt_f32_f64_e32 v2, v[0:1]
	v_and_b32_e32 v3, 0x7fffffff, v2
	s_mov_b32 s6, 0x43800000
	v_cmp_gt_u32_e32 vcc, s6, v3
	v_mov_b32_e32 v7, 0x80
	s_and_saveexec_b64 s[6:7], vcc
	s_cbranch_execz .LBB7_3107
; %bb.3102:
	s_mov_b32 s8, 0x3bffffff
	v_cmp_lt_u32_e32 vcc, s8, v3
	s_mov_b64 s[8:9], 0
                                        ; implicit-def: $vgpr3
	s_and_saveexec_b64 s[10:11], vcc
	s_xor_b64 s[10:11], exec, s[10:11]
	s_cbranch_execz .LBB7_3156
; %bb.3103:
	v_bfe_u32 v3, v2, 20, 1
	s_mov_b32 s16, 0x487ffff
	v_add3_u32 v3, v2, v3, s16
	s_mov_b64 s[8:9], exec
	v_lshrrev_b32_e32 v3, 20, v3
	s_or_saveexec_b64 s[10:11], s[10:11]
                                        ; implicit-def: $sgpr16
	s_xor_b64 exec, exec, s[10:11]
	s_cbranch_execnz .LBB7_3157
.LBB7_3104:
	s_or_b64 exec, exec, s[10:11]
	v_mov_b32_e32 v7, s16
	s_and_saveexec_b64 s[10:11], s[8:9]
.LBB7_3105:
	v_lshrrev_b32_e32 v2, 24, v2
	s_movk_i32 s8, 0x80
	v_and_or_b32 v7, v2, s8, v3
.LBB7_3106:
	s_or_b64 exec, exec, s[10:11]
.LBB7_3107:
	s_or_b64 exec, exec, s[6:7]
	global_store_byte v[4:5], v7, off
.LBB7_3108:
	s_mov_b64 s[6:7], 0
.LBB7_3109:
	s_and_b64 vcc, exec, s[6:7]
	s_cbranch_vccz .LBB7_3149
; %bb.3110:
	v_cmp_lt_i16_e32 vcc, 22, v6
	s_mov_b64 s[2:3], -1
	s_cbranch_vccz .LBB7_3142
; %bb.3111:
	v_cmp_gt_i16_e32 vcc, 24, v6
	s_cbranch_vccnz .LBB7_3131
; %bb.3112:
	v_cmp_lt_i16_e32 vcc, 24, v6
	s_cbranch_vccz .LBB7_3120
; %bb.3113:
	v_cvt_f32_f64_e32 v2, v[0:1]
	v_and_b32_e32 v3, 0x7fffffff, v2
	s_mov_b32 s2, 0x47800000
	v_cmp_gt_u32_e32 vcc, s2, v3
	v_mov_b32_e32 v7, 0x80
	s_and_saveexec_b64 s[2:3], vcc
	s_cbranch_execz .LBB7_3119
; %bb.3114:
	s_mov_b32 s6, 0x37ffffff
	v_cmp_lt_u32_e32 vcc, s6, v3
	s_mov_b64 s[6:7], 0
                                        ; implicit-def: $vgpr3
	s_and_saveexec_b64 s[8:9], vcc
	s_xor_b64 s[8:9], exec, s[8:9]
	s_cbranch_execz .LBB7_3159
; %bb.3115:
	v_bfe_u32 v3, v2, 21, 1
	s_mov_b32 s10, 0x88fffff
	v_add3_u32 v3, v2, v3, s10
	s_mov_b64 s[6:7], exec
	v_lshrrev_b32_e32 v3, 21, v3
	s_or_saveexec_b64 s[8:9], s[8:9]
                                        ; implicit-def: $sgpr10
	s_xor_b64 exec, exec, s[8:9]
	s_cbranch_execnz .LBB7_3160
.LBB7_3116:
	s_or_b64 exec, exec, s[8:9]
	v_mov_b32_e32 v7, s10
	s_and_saveexec_b64 s[8:9], s[6:7]
.LBB7_3117:
	v_lshrrev_b32_e32 v2, 24, v2
	s_movk_i32 s6, 0x80
	v_and_or_b32 v7, v2, s6, v3
.LBB7_3118:
	s_or_b64 exec, exec, s[8:9]
.LBB7_3119:
	s_or_b64 exec, exec, s[2:3]
	s_mov_b64 s[2:3], 0
	global_store_byte v[4:5], v7, off
.LBB7_3120:
	s_and_b64 vcc, exec, s[2:3]
	s_cbranch_vccz .LBB7_3130
; %bb.3121:
	v_cvt_f32_f64_e32 v2, v[0:1]
	v_and_b32_e32 v7, 0x7fffffff, v2
	s_mov_b32 s2, 0x43f00000
	v_cmp_gt_u32_e32 vcc, s2, v7
                                        ; implicit-def: $vgpr3
	s_and_saveexec_b64 s[2:3], vcc
	s_xor_b64 s[2:3], exec, s[2:3]
	s_cbranch_execz .LBB7_3127
; %bb.3122:
	s_mov_b32 s6, 0x3c7fffff
	v_cmp_lt_u32_e32 vcc, s6, v7
                                        ; implicit-def: $vgpr3
	s_and_saveexec_b64 s[6:7], vcc
	s_xor_b64 s[6:7], exec, s[6:7]
; %bb.3123:
	v_bfe_u32 v3, v2, 20, 1
	s_mov_b32 s8, 0x407ffff
	v_add3_u32 v3, v2, v3, s8
	v_lshrrev_b32_e32 v7, 20, v3
	v_and_b32_e32 v3, 0xff00000, v3
	s_mov_b32 s8, 0x7f00000
	v_mov_b32_e32 v8, 0x7e
	v_cmp_ne_u32_e32 vcc, s8, v3
	v_cndmask_b32_e32 v3, v8, v7, vcc
; %bb.3124:
	s_andn2_saveexec_b64 s[6:7], s[6:7]
; %bb.3125:
	s_mov_b32 s8, 0x46800000
	v_add_f32_e64 v3, |v2|, s8
; %bb.3126:
	s_or_b64 exec, exec, s[6:7]
                                        ; implicit-def: $vgpr7
.LBB7_3127:
	s_andn2_saveexec_b64 s[2:3], s[2:3]
; %bb.3128:
	s_mov_b32 s6, 0x7f800000
	v_mov_b32_e32 v3, 0x7e
	v_mov_b32_e32 v8, 0x7f
	v_cmp_lt_u32_e32 vcc, s6, v7
	v_cndmask_b32_e32 v3, v3, v8, vcc
; %bb.3129:
	s_or_b64 exec, exec, s[2:3]
	v_lshrrev_b32_e32 v2, 24, v2
	s_movk_i32 s2, 0x80
	v_and_or_b32 v2, v2, s2, v3
	global_store_byte v[4:5], v2, off
.LBB7_3130:
	s_mov_b64 s[2:3], 0
.LBB7_3131:
	s_andn2_b64 vcc, exec, s[2:3]
	s_cbranch_vccnz .LBB7_3141
; %bb.3132:
	v_cvt_f32_f64_e32 v2, v[0:1]
	v_and_b32_e32 v7, 0x7fffffff, v2
	s_mov_b32 s2, 0x47800000
	v_cmp_gt_u32_e32 vcc, s2, v7
                                        ; implicit-def: $vgpr3
	s_and_saveexec_b64 s[2:3], vcc
	s_xor_b64 s[2:3], exec, s[2:3]
	s_cbranch_execz .LBB7_3138
; %bb.3133:
	s_mov_b32 s6, 0x387fffff
	v_cmp_lt_u32_e32 vcc, s6, v7
                                        ; implicit-def: $vgpr3
	s_and_saveexec_b64 s[6:7], vcc
	s_xor_b64 s[6:7], exec, s[6:7]
; %bb.3134:
	v_bfe_u32 v3, v2, 21, 1
	s_mov_b32 s8, 0x80fffff
	v_add3_u32 v3, v2, v3, s8
	v_lshrrev_b32_e32 v3, 21, v3
; %bb.3135:
	s_andn2_saveexec_b64 s[6:7], s[6:7]
; %bb.3136:
	s_mov_b32 s8, 0x43000000
	v_add_f32_e64 v3, |v2|, s8
; %bb.3137:
	s_or_b64 exec, exec, s[6:7]
                                        ; implicit-def: $vgpr7
.LBB7_3138:
	s_andn2_saveexec_b64 s[2:3], s[2:3]
; %bb.3139:
	s_mov_b32 s6, 0x7f800000
	v_mov_b32_e32 v3, 0x7c
	v_mov_b32_e32 v8, 0x7f
	v_cmp_lt_u32_e32 vcc, s6, v7
	v_cndmask_b32_e32 v3, v3, v8, vcc
; %bb.3140:
	s_or_b64 exec, exec, s[2:3]
	v_lshrrev_b32_e32 v2, 24, v2
	s_movk_i32 s2, 0x80
	v_and_or_b32 v2, v2, s2, v3
	global_store_byte v[4:5], v2, off
.LBB7_3141:
	s_mov_b64 s[2:3], 0
.LBB7_3142:
	s_andn2_b64 vcc, exec, s[2:3]
	s_mov_b64 s[2:3], 0
	s_cbranch_vccnz .LBB7_3149
; %bb.3143:
	v_cmp_lt_i16_e32 vcc, 14, v6
	s_mov_b64 s[6:7], -1
	s_cbranch_vccz .LBB7_3147
; %bb.3144:
	v_cmp_eq_u16_e32 vcc, 15, v6
	s_mov_b64 s[0:1], -1
	s_cbranch_vccz .LBB7_3146
; %bb.3145:
	v_cvt_f32_f64_e32 v2, v[0:1]
	v_bfe_u32 v3, v2, 16, 1
	s_movk_i32 s0, 0x7fff
	v_add3_u32 v3, v2, v3, s0
	v_lshrrev_b32_e32 v3, 16, v3
	v_mov_b32_e32 v7, 0x7fc0
	v_cmp_o_f32_e32 vcc, v2, v2
	v_cndmask_b32_e32 v2, v7, v3, vcc
	global_store_short v[4:5], v2, off
	s_mov_b64 s[0:1], 0
.LBB7_3146:
	s_mov_b64 s[6:7], 0
.LBB7_3147:
	s_and_b64 vcc, exec, s[6:7]
	s_cbranch_vccz .LBB7_3149
; %bb.3148:
	v_cmp_ne_u16_e64 s[0:1], 11, v6
	s_mov_b64 s[2:3], -1
.LBB7_3149:
	s_and_b64 vcc, exec, s[0:1]
	s_cbranch_vccnz .LBB7_3158
.LBB7_3150:
	s_mov_b64 s[0:1], 0
	s_branch .LBB7_2951
.LBB7_3151:
	s_or_saveexec_b64 s[16:17], s[16:17]
                                        ; implicit-def: $sgpr19
	s_xor_b64 exec, exec, s[16:17]
	s_cbranch_execz .LBB7_3024
.LBB7_3152:
	s_mov_b32 s19, 0x46000000
	v_add_f32_e64 v3, |v2|, s19
	v_and_b32_e32 v3, 0xff, v3
	v_cmp_ne_u32_e32 vcc, 0, v3
	s_andn2_b64 s[10:11], s[10:11], exec
	s_and_b64 s[20:21], vcc, exec
	s_mov_b32 s19, 0
	s_or_b64 s[10:11], s[10:11], s[20:21]
	s_or_b64 exec, exec, s[16:17]
	v_mov_b32_e32 v5, s19
	s_and_saveexec_b64 s[16:17], s[10:11]
	s_cbranch_execnz .LBB7_3025
	s_branch .LBB7_3026
.LBB7_3153:
	s_trap 2
	s_or_b64 s[4:5], s[4:5], exec
	s_cbranch_execz .LBB7_3072
	s_branch .LBB7_3073
.LBB7_3154:
	s_or_saveexec_b64 s[10:11], s[10:11]
                                        ; implicit-def: $sgpr16
	s_xor_b64 exec, exec, s[10:11]
	s_cbranch_execz .LBB7_3037
.LBB7_3155:
	s_mov_b32 s16, 0x42800000
	v_add_f32_e64 v3, |v2|, s16
	v_and_b32_e32 v3, 0xff, v3
	v_cmp_ne_u32_e32 vcc, 0, v3
	s_andn2_b64 s[6:7], s[6:7], exec
	s_and_b64 s[20:21], vcc, exec
	s_mov_b32 s16, 0
	s_or_b64 s[6:7], s[6:7], s[20:21]
	s_or_b64 exec, exec, s[10:11]
	v_mov_b32_e32 v5, s16
	s_and_saveexec_b64 s[10:11], s[6:7]
	s_cbranch_execnz .LBB7_3038
	s_branch .LBB7_3039
.LBB7_3156:
	s_or_saveexec_b64 s[10:11], s[10:11]
                                        ; implicit-def: $sgpr16
	s_xor_b64 exec, exec, s[10:11]
	s_cbranch_execz .LBB7_3104
.LBB7_3157:
	s_mov_b32 s16, 0x46000000
	v_add_f32_e64 v3, |v2|, s16
	v_and_b32_e32 v3, 0xff, v3
	v_cmp_ne_u32_e32 vcc, 0, v3
	s_andn2_b64 s[8:9], s[8:9], exec
	s_and_b64 s[18:19], vcc, exec
	s_mov_b32 s16, 0
	s_or_b64 s[8:9], s[8:9], s[18:19]
	s_or_b64 exec, exec, s[10:11]
	v_mov_b32_e32 v7, s16
	s_and_saveexec_b64 s[10:11], s[8:9]
	s_cbranch_execnz .LBB7_3105
	s_branch .LBB7_3106
.LBB7_3158:
	s_mov_b64 s[2:3], 0
	s_or_b64 s[4:5], s[4:5], exec
	s_trap 2
	s_branch .LBB7_3150
.LBB7_3159:
	s_or_saveexec_b64 s[8:9], s[8:9]
                                        ; implicit-def: $sgpr10
	s_xor_b64 exec, exec, s[8:9]
	s_cbranch_execz .LBB7_3116
.LBB7_3160:
	s_mov_b32 s10, 0x42800000
	v_add_f32_e64 v3, |v2|, s10
	v_and_b32_e32 v3, 0xff, v3
	v_cmp_ne_u32_e32 vcc, 0, v3
	s_andn2_b64 s[6:7], s[6:7], exec
	s_and_b64 s[16:17], vcc, exec
	s_mov_b32 s10, 0
	s_or_b64 s[6:7], s[6:7], s[16:17]
	s_or_b64 exec, exec, s[8:9]
	v_mov_b32_e32 v7, s10
	s_and_saveexec_b64 s[8:9], s[6:7]
	s_cbranch_execnz .LBB7_3117
	s_branch .LBB7_3118
	.section	.rodata,"a",@progbits
	.p2align	6, 0x0
	.amdhsa_kernel _ZN2at6native32elementwise_kernel_manual_unrollILi128ELi4EZNS0_15gpu_kernel_implIZZZNS0_12prelu_kernelERNS_14TensorIteratorEENKUlvE_clEvENKUlvE_clEvEUlddE_EEvRNS_18TensorIteratorBaseERKT_EUlibE0_EEviT1_
		.amdhsa_group_segment_fixed_size 0
		.amdhsa_private_segment_fixed_size 0
		.amdhsa_kernarg_size 432
		.amdhsa_user_sgpr_count 6
		.amdhsa_user_sgpr_private_segment_buffer 1
		.amdhsa_user_sgpr_dispatch_ptr 0
		.amdhsa_user_sgpr_queue_ptr 0
		.amdhsa_user_sgpr_kernarg_segment_ptr 1
		.amdhsa_user_sgpr_dispatch_id 0
		.amdhsa_user_sgpr_flat_scratch_init 0
		.amdhsa_user_sgpr_kernarg_preload_length 0
		.amdhsa_user_sgpr_kernarg_preload_offset 0
		.amdhsa_user_sgpr_private_segment_size 0
		.amdhsa_uses_dynamic_stack 0
		.amdhsa_system_sgpr_private_segment_wavefront_offset 0
		.amdhsa_system_sgpr_workgroup_id_x 1
		.amdhsa_system_sgpr_workgroup_id_y 0
		.amdhsa_system_sgpr_workgroup_id_z 0
		.amdhsa_system_sgpr_workgroup_info 0
		.amdhsa_system_vgpr_workitem_id 0
		.amdhsa_next_free_vgpr 28
		.amdhsa_next_free_sgpr 78
		.amdhsa_accum_offset 28
		.amdhsa_reserve_vcc 1
		.amdhsa_reserve_flat_scratch 0
		.amdhsa_float_round_mode_32 0
		.amdhsa_float_round_mode_16_64 0
		.amdhsa_float_denorm_mode_32 3
		.amdhsa_float_denorm_mode_16_64 3
		.amdhsa_dx10_clamp 1
		.amdhsa_ieee_mode 1
		.amdhsa_fp16_overflow 0
		.amdhsa_tg_split 0
		.amdhsa_exception_fp_ieee_invalid_op 0
		.amdhsa_exception_fp_denorm_src 0
		.amdhsa_exception_fp_ieee_div_zero 0
		.amdhsa_exception_fp_ieee_overflow 0
		.amdhsa_exception_fp_ieee_underflow 0
		.amdhsa_exception_fp_ieee_inexact 0
		.amdhsa_exception_int_div_zero 0
	.end_amdhsa_kernel
	.section	.text._ZN2at6native32elementwise_kernel_manual_unrollILi128ELi4EZNS0_15gpu_kernel_implIZZZNS0_12prelu_kernelERNS_14TensorIteratorEENKUlvE_clEvENKUlvE_clEvEUlddE_EEvRNS_18TensorIteratorBaseERKT_EUlibE0_EEviT1_,"axG",@progbits,_ZN2at6native32elementwise_kernel_manual_unrollILi128ELi4EZNS0_15gpu_kernel_implIZZZNS0_12prelu_kernelERNS_14TensorIteratorEENKUlvE_clEvENKUlvE_clEvEUlddE_EEvRNS_18TensorIteratorBaseERKT_EUlibE0_EEviT1_,comdat
.Lfunc_end7:
	.size	_ZN2at6native32elementwise_kernel_manual_unrollILi128ELi4EZNS0_15gpu_kernel_implIZZZNS0_12prelu_kernelERNS_14TensorIteratorEENKUlvE_clEvENKUlvE_clEvEUlddE_EEvRNS_18TensorIteratorBaseERKT_EUlibE0_EEviT1_, .Lfunc_end7-_ZN2at6native32elementwise_kernel_manual_unrollILi128ELi4EZNS0_15gpu_kernel_implIZZZNS0_12prelu_kernelERNS_14TensorIteratorEENKUlvE_clEvENKUlvE_clEvEUlddE_EEvRNS_18TensorIteratorBaseERKT_EUlibE0_EEviT1_
                                        ; -- End function
	.section	.AMDGPU.csdata,"",@progbits
; Kernel info:
; codeLenInByte = 57708
; NumSgprs: 82
; NumVgprs: 28
; NumAgprs: 0
; TotalNumVgprs: 28
; ScratchSize: 0
; MemoryBound: 1
; FloatMode: 240
; IeeeMode: 1
; LDSByteSize: 0 bytes/workgroup (compile time only)
; SGPRBlocks: 10
; VGPRBlocks: 3
; NumSGPRsForWavesPerEU: 82
; NumVGPRsForWavesPerEU: 28
; AccumOffset: 28
; Occupancy: 8
; WaveLimiterHint : 1
; COMPUTE_PGM_RSRC2:SCRATCH_EN: 0
; COMPUTE_PGM_RSRC2:USER_SGPR: 6
; COMPUTE_PGM_RSRC2:TRAP_HANDLER: 0
; COMPUTE_PGM_RSRC2:TGID_X_EN: 1
; COMPUTE_PGM_RSRC2:TGID_Y_EN: 0
; COMPUTE_PGM_RSRC2:TGID_Z_EN: 0
; COMPUTE_PGM_RSRC2:TIDIG_COMP_CNT: 0
; COMPUTE_PGM_RSRC3_GFX90A:ACCUM_OFFSET: 6
; COMPUTE_PGM_RSRC3_GFX90A:TG_SPLIT: 0
	.section	.text._ZN2at6native29vectorized_elementwise_kernelILi16EZZZNS0_12prelu_kernelERNS_14TensorIteratorEENKUlvE_clEvENKUlvE0_clEvEUlffE_St5arrayIPcLm3EEEEviT0_T1_,"axG",@progbits,_ZN2at6native29vectorized_elementwise_kernelILi16EZZZNS0_12prelu_kernelERNS_14TensorIteratorEENKUlvE_clEvENKUlvE0_clEvEUlffE_St5arrayIPcLm3EEEEviT0_T1_,comdat
	.globl	_ZN2at6native29vectorized_elementwise_kernelILi16EZZZNS0_12prelu_kernelERNS_14TensorIteratorEENKUlvE_clEvENKUlvE0_clEvEUlffE_St5arrayIPcLm3EEEEviT0_T1_ ; -- Begin function _ZN2at6native29vectorized_elementwise_kernelILi16EZZZNS0_12prelu_kernelERNS_14TensorIteratorEENKUlvE_clEvENKUlvE0_clEvEUlffE_St5arrayIPcLm3EEEEviT0_T1_
	.p2align	8
	.type	_ZN2at6native29vectorized_elementwise_kernelILi16EZZZNS0_12prelu_kernelERNS_14TensorIteratorEENKUlvE_clEvENKUlvE0_clEvEUlffE_St5arrayIPcLm3EEEEviT0_T1_,@function
_ZN2at6native29vectorized_elementwise_kernelILi16EZZZNS0_12prelu_kernelERNS_14TensorIteratorEENKUlvE_clEvENKUlvE0_clEvEUlffE_St5arrayIPcLm3EEEEviT0_T1_: ; @_ZN2at6native29vectorized_elementwise_kernelILi16EZZZNS0_12prelu_kernelERNS_14TensorIteratorEENKUlvE_clEvENKUlvE0_clEvEUlffE_St5arrayIPcLm3EEEEviT0_T1_
; %bb.0:
	s_load_dword s0, s[4:5], 0x0
	s_load_dwordx4 s[8:11], s[4:5], 0x8
	s_load_dwordx2 s[12:13], s[4:5], 0x18
	s_lshl_b32 s2, s6, 10
	s_waitcnt lgkmcnt(0)
	s_sub_i32 s6, s0, s2
	s_cmpk_gt_i32 s6, 0x3ff
	s_mov_b64 s[0:1], -1
	s_cbranch_scc0 .LBB8_2
; %bb.1:
	s_ashr_i32 s3, s2, 31
	s_lshl_b64 s[0:1], s[2:3], 2
	s_add_u32 s4, s10, s0
	s_addc_u32 s5, s11, s1
	v_lshlrev_b32_e32 v1, 4, v0
	s_add_u32 s14, s12, s0
	s_addc_u32 s15, s13, s1
	global_load_dwordx4 v[2:5], v1, s[4:5]
	global_load_dwordx4 v[6:9], v1, s[14:15]
	s_add_u32 s0, s8, s0
	s_addc_u32 s1, s9, s1
	s_waitcnt vmcnt(1)
	v_cmp_lt_f32_e32 vcc, 0, v3
	s_waitcnt vmcnt(0)
	v_pk_mul_f32 v[6:7], v[2:3], v[6:7]
	v_cndmask_b32_e32 v3, v7, v3, vcc
	v_cmp_lt_f32_e32 vcc, 0, v2
	v_pk_mul_f32 v[8:9], v[4:5], v[8:9]
	v_cndmask_b32_e32 v2, v6, v2, vcc
	v_cmp_lt_f32_e32 vcc, 0, v5
	v_cndmask_b32_e32 v5, v9, v5, vcc
	v_cmp_lt_f32_e32 vcc, 0, v4
	v_cndmask_b32_e32 v4, v8, v4, vcc
	global_store_dwordx4 v1, v[2:5], s[0:1]
	s_mov_b64 s[0:1], 0
.LBB8_2:
	s_andn2_b64 vcc, exec, s[0:1]
	s_cbranch_vccnz .LBB8_16
; %bb.3:
	v_cmp_gt_i32_e32 vcc, s6, v0
	v_mov_b32_e32 v1, 0
	v_or_b32_e32 v2, s2, v0
	v_mov_b32_e32 v3, 0
	v_mov_b32_e32 v4, 0
	;; [unrolled: 1-line block ×3, first 2 shown]
	s_and_saveexec_b64 s[4:5], vcc
	s_cbranch_execz .LBB8_5
; %bb.4:
	v_mov_b32_e32 v3, 0
	v_lshlrev_b64 v[4:5], 2, v[2:3]
	v_mov_b32_e32 v3, s13
	v_add_co_u32_e64 v6, s[0:1], s12, v4
	v_addc_co_u32_e64 v7, s[0:1], v3, v5, s[0:1]
	v_mov_b32_e32 v3, s11
	v_add_co_u32_e64 v8, s[0:1], s10, v4
	v_addc_co_u32_e64 v9, s[0:1], v3, v5, s[0:1]
	global_load_dword v3, v[8:9], off
	global_load_dword v4, v[6:7], off
	v_or_b32_e32 v6, 0x100, v0
.LBB8_5:
	s_or_b64 exec, exec, s[4:5]
	v_cmp_gt_i32_e64 s[0:1], s6, v6
	v_mov_b32_e32 v5, 0
	s_and_saveexec_b64 s[4:5], s[0:1]
	s_cbranch_execz .LBB8_7
; %bb.6:
	v_add_u32_e32 v8, s2, v6
	v_mov_b32_e32 v9, 0
	v_lshlrev_b64 v[8:9], 2, v[8:9]
	v_mov_b32_e32 v1, s13
	v_add_co_u32_e64 v10, s[0:1], s12, v8
	v_addc_co_u32_e64 v11, s[0:1], v1, v9, s[0:1]
	v_mov_b32_e32 v1, s11
	v_add_co_u32_e64 v8, s[0:1], s10, v8
	v_addc_co_u32_e64 v9, s[0:1], v1, v9, s[0:1]
	global_load_dword v1, v[8:9], off
	global_load_dword v5, v[10:11], off
	v_add_u32_e32 v6, 0x100, v6
.LBB8_7:
	s_or_b64 exec, exec, s[4:5]
	v_cmp_gt_i32_e64 s[0:1], s6, v6
	v_mov_b32_e32 v7, 0
	v_mov_b32_e32 v8, 0
	;; [unrolled: 1-line block ×3, first 2 shown]
	s_and_saveexec_b64 s[4:5], s[0:1]
	s_cbranch_execz .LBB8_9
; %bb.8:
	v_add_u32_e32 v8, s2, v6
	v_mov_b32_e32 v9, 0
	v_lshlrev_b64 v[8:9], 2, v[8:9]
	v_mov_b32_e32 v11, s13
	v_add_co_u32_e64 v10, s[0:1], s12, v8
	v_addc_co_u32_e64 v11, s[0:1], v11, v9, s[0:1]
	v_mov_b32_e32 v13, s11
	v_add_co_u32_e64 v12, s[0:1], s10, v8
	v_addc_co_u32_e64 v13, s[0:1], v13, v9, s[0:1]
	global_load_dword v8, v[12:13], off
	global_load_dword v9, v[10:11], off
	v_add_u32_e32 v6, 0x100, v6
.LBB8_9:
	s_or_b64 exec, exec, s[4:5]
	v_cmp_gt_i32_e64 s[0:1], s6, v6
	v_mov_b32_e32 v10, 0
	s_and_saveexec_b64 s[4:5], s[0:1]
	s_cbranch_execz .LBB8_11
; %bb.10:
	v_add_u32_e32 v6, s2, v6
	v_mov_b32_e32 v7, 0
	v_lshlrev_b64 v[6:7], 2, v[6:7]
	v_mov_b32_e32 v10, s13
	v_add_co_u32_e64 v12, s[0:1], s12, v6
	v_addc_co_u32_e64 v13, s[0:1], v10, v7, s[0:1]
	v_mov_b32_e32 v10, s11
	v_add_co_u32_e64 v14, s[0:1], s10, v6
	v_addc_co_u32_e64 v15, s[0:1], v10, v7, s[0:1]
	global_load_dword v7, v[14:15], off
	global_load_dword v10, v[12:13], off
.LBB8_11:
	s_or_b64 exec, exec, s[4:5]
	s_waitcnt vmcnt(0)
	v_mul_f32_e32 v4, v3, v4
	v_cmp_lt_f32_e64 s[0:1], 0, v3
	v_cndmask_b32_e64 v6, v4, v3, s[0:1]
	v_mul_f32_e32 v3, v1, v5
	v_cmp_lt_f32_e64 s[0:1], 0, v1
	v_cndmask_b32_e64 v5, v3, v1, s[0:1]
	;; [unrolled: 3-line block ×4, first 2 shown]
	s_and_saveexec_b64 s[0:1], vcc
	s_cbranch_execnz .LBB8_17
; %bb.12:
	s_or_b64 exec, exec, s[0:1]
	v_cmp_gt_i32_e32 vcc, s6, v0
	s_and_saveexec_b64 s[0:1], vcc
	s_cbranch_execnz .LBB8_18
.LBB8_13:
	s_or_b64 exec, exec, s[0:1]
	v_cmp_gt_i32_e32 vcc, s6, v0
	s_and_saveexec_b64 s[0:1], vcc
	s_cbranch_execnz .LBB8_19
.LBB8_14:
	s_or_b64 exec, exec, s[0:1]
	v_cmp_gt_i32_e32 vcc, s6, v0
	s_and_saveexec_b64 s[0:1], vcc
	s_cbranch_execz .LBB8_16
.LBB8_15:
	v_add_u32_e32 v2, s2, v0
	v_mov_b32_e32 v3, 0
	v_lshlrev_b64 v[2:3], 2, v[2:3]
	v_mov_b32_e32 v0, s9
	v_add_co_u32_e32 v2, vcc, s8, v2
	v_addc_co_u32_e32 v3, vcc, v0, v3, vcc
	global_store_dword v[2:3], v1, off
.LBB8_16:
	s_endpgm
.LBB8_17:
	v_mov_b32_e32 v3, 0
	v_lshlrev_b64 v[2:3], 2, v[2:3]
	v_mov_b32_e32 v7, s9
	v_add_co_u32_e32 v2, vcc, s8, v2
	v_or_b32_e32 v0, 0x100, v0
	v_addc_co_u32_e32 v3, vcc, v7, v3, vcc
	global_store_dword v[2:3], v6, off
	s_or_b64 exec, exec, s[0:1]
	v_cmp_gt_i32_e32 vcc, s6, v0
	s_and_saveexec_b64 s[0:1], vcc
	s_cbranch_execz .LBB8_13
.LBB8_18:
	v_add_u32_e32 v2, s2, v0
	v_mov_b32_e32 v3, 0
	v_lshlrev_b64 v[2:3], 2, v[2:3]
	v_mov_b32_e32 v6, s9
	v_add_co_u32_e32 v2, vcc, s8, v2
	v_addc_co_u32_e32 v3, vcc, v6, v3, vcc
	v_add_u32_e32 v0, 0x100, v0
	global_store_dword v[2:3], v5, off
	s_or_b64 exec, exec, s[0:1]
	v_cmp_gt_i32_e32 vcc, s6, v0
	s_and_saveexec_b64 s[0:1], vcc
	s_cbranch_execz .LBB8_14
.LBB8_19:
	v_add_u32_e32 v2, s2, v0
	v_mov_b32_e32 v3, 0
	v_lshlrev_b64 v[2:3], 2, v[2:3]
	v_mov_b32_e32 v5, s9
	v_add_co_u32_e32 v2, vcc, s8, v2
	v_addc_co_u32_e32 v3, vcc, v5, v3, vcc
	v_add_u32_e32 v0, 0x100, v0
	global_store_dword v[2:3], v4, off
	s_or_b64 exec, exec, s[0:1]
	v_cmp_gt_i32_e32 vcc, s6, v0
	s_and_saveexec_b64 s[0:1], vcc
	s_cbranch_execnz .LBB8_15
	s_branch .LBB8_16
	.section	.rodata,"a",@progbits
	.p2align	6, 0x0
	.amdhsa_kernel _ZN2at6native29vectorized_elementwise_kernelILi16EZZZNS0_12prelu_kernelERNS_14TensorIteratorEENKUlvE_clEvENKUlvE0_clEvEUlffE_St5arrayIPcLm3EEEEviT0_T1_
		.amdhsa_group_segment_fixed_size 0
		.amdhsa_private_segment_fixed_size 0
		.amdhsa_kernarg_size 32
		.amdhsa_user_sgpr_count 6
		.amdhsa_user_sgpr_private_segment_buffer 1
		.amdhsa_user_sgpr_dispatch_ptr 0
		.amdhsa_user_sgpr_queue_ptr 0
		.amdhsa_user_sgpr_kernarg_segment_ptr 1
		.amdhsa_user_sgpr_dispatch_id 0
		.amdhsa_user_sgpr_flat_scratch_init 0
		.amdhsa_user_sgpr_kernarg_preload_length 0
		.amdhsa_user_sgpr_kernarg_preload_offset 0
		.amdhsa_user_sgpr_private_segment_size 0
		.amdhsa_uses_dynamic_stack 0
		.amdhsa_system_sgpr_private_segment_wavefront_offset 0
		.amdhsa_system_sgpr_workgroup_id_x 1
		.amdhsa_system_sgpr_workgroup_id_y 0
		.amdhsa_system_sgpr_workgroup_id_z 0
		.amdhsa_system_sgpr_workgroup_info 0
		.amdhsa_system_vgpr_workitem_id 0
		.amdhsa_next_free_vgpr 16
		.amdhsa_next_free_sgpr 16
		.amdhsa_accum_offset 16
		.amdhsa_reserve_vcc 1
		.amdhsa_reserve_flat_scratch 0
		.amdhsa_float_round_mode_32 0
		.amdhsa_float_round_mode_16_64 0
		.amdhsa_float_denorm_mode_32 3
		.amdhsa_float_denorm_mode_16_64 3
		.amdhsa_dx10_clamp 1
		.amdhsa_ieee_mode 1
		.amdhsa_fp16_overflow 0
		.amdhsa_tg_split 0
		.amdhsa_exception_fp_ieee_invalid_op 0
		.amdhsa_exception_fp_denorm_src 0
		.amdhsa_exception_fp_ieee_div_zero 0
		.amdhsa_exception_fp_ieee_overflow 0
		.amdhsa_exception_fp_ieee_underflow 0
		.amdhsa_exception_fp_ieee_inexact 0
		.amdhsa_exception_int_div_zero 0
	.end_amdhsa_kernel
	.section	.text._ZN2at6native29vectorized_elementwise_kernelILi16EZZZNS0_12prelu_kernelERNS_14TensorIteratorEENKUlvE_clEvENKUlvE0_clEvEUlffE_St5arrayIPcLm3EEEEviT0_T1_,"axG",@progbits,_ZN2at6native29vectorized_elementwise_kernelILi16EZZZNS0_12prelu_kernelERNS_14TensorIteratorEENKUlvE_clEvENKUlvE0_clEvEUlffE_St5arrayIPcLm3EEEEviT0_T1_,comdat
.Lfunc_end8:
	.size	_ZN2at6native29vectorized_elementwise_kernelILi16EZZZNS0_12prelu_kernelERNS_14TensorIteratorEENKUlvE_clEvENKUlvE0_clEvEUlffE_St5arrayIPcLm3EEEEviT0_T1_, .Lfunc_end8-_ZN2at6native29vectorized_elementwise_kernelILi16EZZZNS0_12prelu_kernelERNS_14TensorIteratorEENKUlvE_clEvENKUlvE0_clEvEUlffE_St5arrayIPcLm3EEEEviT0_T1_
                                        ; -- End function
	.section	.AMDGPU.csdata,"",@progbits
; Kernel info:
; codeLenInByte = 960
; NumSgprs: 20
; NumVgprs: 16
; NumAgprs: 0
; TotalNumVgprs: 16
; ScratchSize: 0
; MemoryBound: 0
; FloatMode: 240
; IeeeMode: 1
; LDSByteSize: 0 bytes/workgroup (compile time only)
; SGPRBlocks: 2
; VGPRBlocks: 1
; NumSGPRsForWavesPerEU: 20
; NumVGPRsForWavesPerEU: 16
; AccumOffset: 16
; Occupancy: 8
; WaveLimiterHint : 0
; COMPUTE_PGM_RSRC2:SCRATCH_EN: 0
; COMPUTE_PGM_RSRC2:USER_SGPR: 6
; COMPUTE_PGM_RSRC2:TRAP_HANDLER: 0
; COMPUTE_PGM_RSRC2:TGID_X_EN: 1
; COMPUTE_PGM_RSRC2:TGID_Y_EN: 0
; COMPUTE_PGM_RSRC2:TGID_Z_EN: 0
; COMPUTE_PGM_RSRC2:TIDIG_COMP_CNT: 0
; COMPUTE_PGM_RSRC3_GFX90A:ACCUM_OFFSET: 3
; COMPUTE_PGM_RSRC3_GFX90A:TG_SPLIT: 0
	.section	.text._ZN2at6native29vectorized_elementwise_kernelILi8EZZZNS0_12prelu_kernelERNS_14TensorIteratorEENKUlvE_clEvENKUlvE0_clEvEUlffE_St5arrayIPcLm3EEEEviT0_T1_,"axG",@progbits,_ZN2at6native29vectorized_elementwise_kernelILi8EZZZNS0_12prelu_kernelERNS_14TensorIteratorEENKUlvE_clEvENKUlvE0_clEvEUlffE_St5arrayIPcLm3EEEEviT0_T1_,comdat
	.globl	_ZN2at6native29vectorized_elementwise_kernelILi8EZZZNS0_12prelu_kernelERNS_14TensorIteratorEENKUlvE_clEvENKUlvE0_clEvEUlffE_St5arrayIPcLm3EEEEviT0_T1_ ; -- Begin function _ZN2at6native29vectorized_elementwise_kernelILi8EZZZNS0_12prelu_kernelERNS_14TensorIteratorEENKUlvE_clEvENKUlvE0_clEvEUlffE_St5arrayIPcLm3EEEEviT0_T1_
	.p2align	8
	.type	_ZN2at6native29vectorized_elementwise_kernelILi8EZZZNS0_12prelu_kernelERNS_14TensorIteratorEENKUlvE_clEvENKUlvE0_clEvEUlffE_St5arrayIPcLm3EEEEviT0_T1_,@function
_ZN2at6native29vectorized_elementwise_kernelILi8EZZZNS0_12prelu_kernelERNS_14TensorIteratorEENKUlvE_clEvENKUlvE0_clEvEUlffE_St5arrayIPcLm3EEEEviT0_T1_: ; @_ZN2at6native29vectorized_elementwise_kernelILi8EZZZNS0_12prelu_kernelERNS_14TensorIteratorEENKUlvE_clEvENKUlvE0_clEvEUlffE_St5arrayIPcLm3EEEEviT0_T1_
; %bb.0:
	s_load_dword s0, s[4:5], 0x0
	s_load_dwordx4 s[8:11], s[4:5], 0x8
	s_load_dwordx2 s[12:13], s[4:5], 0x18
	s_lshl_b32 s2, s6, 10
	s_waitcnt lgkmcnt(0)
	s_sub_i32 s6, s0, s2
	s_cmpk_gt_i32 s6, 0x3ff
	s_mov_b64 s[0:1], -1
	s_cbranch_scc0 .LBB9_2
; %bb.1:
	s_ashr_i32 s3, s2, 31
	s_lshl_b64 s[0:1], s[2:3], 2
	s_add_u32 s4, s10, s0
	s_addc_u32 s5, s11, s1
	v_lshlrev_b32_e32 v1, 4, v0
	s_add_u32 s14, s12, s0
	s_addc_u32 s15, s13, s1
	global_load_dwordx4 v[2:5], v1, s[4:5]
	global_load_dwordx4 v[6:9], v1, s[14:15]
	s_add_u32 s0, s8, s0
	s_addc_u32 s1, s9, s1
	s_waitcnt vmcnt(1)
	v_cmp_lt_f32_e32 vcc, 0, v3
	s_waitcnt vmcnt(0)
	v_pk_mul_f32 v[6:7], v[2:3], v[6:7]
	v_cndmask_b32_e32 v3, v7, v3, vcc
	v_cmp_lt_f32_e32 vcc, 0, v2
	v_pk_mul_f32 v[8:9], v[4:5], v[8:9]
	v_cndmask_b32_e32 v2, v6, v2, vcc
	v_cmp_lt_f32_e32 vcc, 0, v5
	v_cndmask_b32_e32 v5, v9, v5, vcc
	v_cmp_lt_f32_e32 vcc, 0, v4
	v_cndmask_b32_e32 v4, v8, v4, vcc
	global_store_dwordx4 v1, v[2:5], s[0:1]
	s_mov_b64 s[0:1], 0
.LBB9_2:
	s_andn2_b64 vcc, exec, s[0:1]
	s_cbranch_vccnz .LBB9_16
; %bb.3:
	v_cmp_gt_i32_e32 vcc, s6, v0
	v_mov_b32_e32 v1, 0
	v_or_b32_e32 v2, s2, v0
	v_mov_b32_e32 v3, 0
	v_mov_b32_e32 v4, 0
	;; [unrolled: 1-line block ×3, first 2 shown]
	s_and_saveexec_b64 s[4:5], vcc
	s_cbranch_execz .LBB9_5
; %bb.4:
	v_mov_b32_e32 v3, 0
	v_lshlrev_b64 v[4:5], 2, v[2:3]
	v_mov_b32_e32 v3, s13
	v_add_co_u32_e64 v6, s[0:1], s12, v4
	v_addc_co_u32_e64 v7, s[0:1], v3, v5, s[0:1]
	v_mov_b32_e32 v3, s11
	v_add_co_u32_e64 v8, s[0:1], s10, v4
	v_addc_co_u32_e64 v9, s[0:1], v3, v5, s[0:1]
	global_load_dword v3, v[8:9], off
	global_load_dword v4, v[6:7], off
	v_or_b32_e32 v6, 0x100, v0
.LBB9_5:
	s_or_b64 exec, exec, s[4:5]
	v_cmp_gt_i32_e64 s[0:1], s6, v6
	v_mov_b32_e32 v5, 0
	s_and_saveexec_b64 s[4:5], s[0:1]
	s_cbranch_execz .LBB9_7
; %bb.6:
	v_add_u32_e32 v8, s2, v6
	v_mov_b32_e32 v9, 0
	v_lshlrev_b64 v[8:9], 2, v[8:9]
	v_mov_b32_e32 v1, s13
	v_add_co_u32_e64 v10, s[0:1], s12, v8
	v_addc_co_u32_e64 v11, s[0:1], v1, v9, s[0:1]
	v_mov_b32_e32 v1, s11
	v_add_co_u32_e64 v8, s[0:1], s10, v8
	v_addc_co_u32_e64 v9, s[0:1], v1, v9, s[0:1]
	global_load_dword v1, v[8:9], off
	global_load_dword v5, v[10:11], off
	v_add_u32_e32 v6, 0x100, v6
.LBB9_7:
	s_or_b64 exec, exec, s[4:5]
	v_cmp_gt_i32_e64 s[0:1], s6, v6
	v_mov_b32_e32 v7, 0
	v_mov_b32_e32 v8, 0
	;; [unrolled: 1-line block ×3, first 2 shown]
	s_and_saveexec_b64 s[4:5], s[0:1]
	s_cbranch_execz .LBB9_9
; %bb.8:
	v_add_u32_e32 v8, s2, v6
	v_mov_b32_e32 v9, 0
	v_lshlrev_b64 v[8:9], 2, v[8:9]
	v_mov_b32_e32 v11, s13
	v_add_co_u32_e64 v10, s[0:1], s12, v8
	v_addc_co_u32_e64 v11, s[0:1], v11, v9, s[0:1]
	v_mov_b32_e32 v13, s11
	v_add_co_u32_e64 v12, s[0:1], s10, v8
	v_addc_co_u32_e64 v13, s[0:1], v13, v9, s[0:1]
	global_load_dword v8, v[12:13], off
	global_load_dword v9, v[10:11], off
	v_add_u32_e32 v6, 0x100, v6
.LBB9_9:
	s_or_b64 exec, exec, s[4:5]
	v_cmp_gt_i32_e64 s[0:1], s6, v6
	v_mov_b32_e32 v10, 0
	s_and_saveexec_b64 s[4:5], s[0:1]
	s_cbranch_execz .LBB9_11
; %bb.10:
	v_add_u32_e32 v6, s2, v6
	v_mov_b32_e32 v7, 0
	v_lshlrev_b64 v[6:7], 2, v[6:7]
	v_mov_b32_e32 v10, s13
	v_add_co_u32_e64 v12, s[0:1], s12, v6
	v_addc_co_u32_e64 v13, s[0:1], v10, v7, s[0:1]
	v_mov_b32_e32 v10, s11
	v_add_co_u32_e64 v14, s[0:1], s10, v6
	v_addc_co_u32_e64 v15, s[0:1], v10, v7, s[0:1]
	global_load_dword v7, v[14:15], off
	global_load_dword v10, v[12:13], off
.LBB9_11:
	s_or_b64 exec, exec, s[4:5]
	s_waitcnt vmcnt(0)
	v_mul_f32_e32 v4, v3, v4
	v_cmp_lt_f32_e64 s[0:1], 0, v3
	v_cndmask_b32_e64 v6, v4, v3, s[0:1]
	v_mul_f32_e32 v3, v1, v5
	v_cmp_lt_f32_e64 s[0:1], 0, v1
	v_cndmask_b32_e64 v5, v3, v1, s[0:1]
	;; [unrolled: 3-line block ×4, first 2 shown]
	s_and_saveexec_b64 s[0:1], vcc
	s_cbranch_execnz .LBB9_17
; %bb.12:
	s_or_b64 exec, exec, s[0:1]
	v_cmp_gt_i32_e32 vcc, s6, v0
	s_and_saveexec_b64 s[0:1], vcc
	s_cbranch_execnz .LBB9_18
.LBB9_13:
	s_or_b64 exec, exec, s[0:1]
	v_cmp_gt_i32_e32 vcc, s6, v0
	s_and_saveexec_b64 s[0:1], vcc
	s_cbranch_execnz .LBB9_19
.LBB9_14:
	s_or_b64 exec, exec, s[0:1]
	v_cmp_gt_i32_e32 vcc, s6, v0
	s_and_saveexec_b64 s[0:1], vcc
	s_cbranch_execz .LBB9_16
.LBB9_15:
	v_add_u32_e32 v2, s2, v0
	v_mov_b32_e32 v3, 0
	v_lshlrev_b64 v[2:3], 2, v[2:3]
	v_mov_b32_e32 v0, s9
	v_add_co_u32_e32 v2, vcc, s8, v2
	v_addc_co_u32_e32 v3, vcc, v0, v3, vcc
	global_store_dword v[2:3], v1, off
.LBB9_16:
	s_endpgm
.LBB9_17:
	v_mov_b32_e32 v3, 0
	v_lshlrev_b64 v[2:3], 2, v[2:3]
	v_mov_b32_e32 v7, s9
	v_add_co_u32_e32 v2, vcc, s8, v2
	v_or_b32_e32 v0, 0x100, v0
	v_addc_co_u32_e32 v3, vcc, v7, v3, vcc
	global_store_dword v[2:3], v6, off
	s_or_b64 exec, exec, s[0:1]
	v_cmp_gt_i32_e32 vcc, s6, v0
	s_and_saveexec_b64 s[0:1], vcc
	s_cbranch_execz .LBB9_13
.LBB9_18:
	v_add_u32_e32 v2, s2, v0
	v_mov_b32_e32 v3, 0
	v_lshlrev_b64 v[2:3], 2, v[2:3]
	v_mov_b32_e32 v6, s9
	v_add_co_u32_e32 v2, vcc, s8, v2
	v_addc_co_u32_e32 v3, vcc, v6, v3, vcc
	v_add_u32_e32 v0, 0x100, v0
	global_store_dword v[2:3], v5, off
	s_or_b64 exec, exec, s[0:1]
	v_cmp_gt_i32_e32 vcc, s6, v0
	s_and_saveexec_b64 s[0:1], vcc
	s_cbranch_execz .LBB9_14
.LBB9_19:
	v_add_u32_e32 v2, s2, v0
	v_mov_b32_e32 v3, 0
	v_lshlrev_b64 v[2:3], 2, v[2:3]
	v_mov_b32_e32 v5, s9
	v_add_co_u32_e32 v2, vcc, s8, v2
	v_addc_co_u32_e32 v3, vcc, v5, v3, vcc
	v_add_u32_e32 v0, 0x100, v0
	global_store_dword v[2:3], v4, off
	s_or_b64 exec, exec, s[0:1]
	v_cmp_gt_i32_e32 vcc, s6, v0
	s_and_saveexec_b64 s[0:1], vcc
	s_cbranch_execnz .LBB9_15
	s_branch .LBB9_16
	.section	.rodata,"a",@progbits
	.p2align	6, 0x0
	.amdhsa_kernel _ZN2at6native29vectorized_elementwise_kernelILi8EZZZNS0_12prelu_kernelERNS_14TensorIteratorEENKUlvE_clEvENKUlvE0_clEvEUlffE_St5arrayIPcLm3EEEEviT0_T1_
		.amdhsa_group_segment_fixed_size 0
		.amdhsa_private_segment_fixed_size 0
		.amdhsa_kernarg_size 32
		.amdhsa_user_sgpr_count 6
		.amdhsa_user_sgpr_private_segment_buffer 1
		.amdhsa_user_sgpr_dispatch_ptr 0
		.amdhsa_user_sgpr_queue_ptr 0
		.amdhsa_user_sgpr_kernarg_segment_ptr 1
		.amdhsa_user_sgpr_dispatch_id 0
		.amdhsa_user_sgpr_flat_scratch_init 0
		.amdhsa_user_sgpr_kernarg_preload_length 0
		.amdhsa_user_sgpr_kernarg_preload_offset 0
		.amdhsa_user_sgpr_private_segment_size 0
		.amdhsa_uses_dynamic_stack 0
		.amdhsa_system_sgpr_private_segment_wavefront_offset 0
		.amdhsa_system_sgpr_workgroup_id_x 1
		.amdhsa_system_sgpr_workgroup_id_y 0
		.amdhsa_system_sgpr_workgroup_id_z 0
		.amdhsa_system_sgpr_workgroup_info 0
		.amdhsa_system_vgpr_workitem_id 0
		.amdhsa_next_free_vgpr 16
		.amdhsa_next_free_sgpr 16
		.amdhsa_accum_offset 16
		.amdhsa_reserve_vcc 1
		.amdhsa_reserve_flat_scratch 0
		.amdhsa_float_round_mode_32 0
		.amdhsa_float_round_mode_16_64 0
		.amdhsa_float_denorm_mode_32 3
		.amdhsa_float_denorm_mode_16_64 3
		.amdhsa_dx10_clamp 1
		.amdhsa_ieee_mode 1
		.amdhsa_fp16_overflow 0
		.amdhsa_tg_split 0
		.amdhsa_exception_fp_ieee_invalid_op 0
		.amdhsa_exception_fp_denorm_src 0
		.amdhsa_exception_fp_ieee_div_zero 0
		.amdhsa_exception_fp_ieee_overflow 0
		.amdhsa_exception_fp_ieee_underflow 0
		.amdhsa_exception_fp_ieee_inexact 0
		.amdhsa_exception_int_div_zero 0
	.end_amdhsa_kernel
	.section	.text._ZN2at6native29vectorized_elementwise_kernelILi8EZZZNS0_12prelu_kernelERNS_14TensorIteratorEENKUlvE_clEvENKUlvE0_clEvEUlffE_St5arrayIPcLm3EEEEviT0_T1_,"axG",@progbits,_ZN2at6native29vectorized_elementwise_kernelILi8EZZZNS0_12prelu_kernelERNS_14TensorIteratorEENKUlvE_clEvENKUlvE0_clEvEUlffE_St5arrayIPcLm3EEEEviT0_T1_,comdat
.Lfunc_end9:
	.size	_ZN2at6native29vectorized_elementwise_kernelILi8EZZZNS0_12prelu_kernelERNS_14TensorIteratorEENKUlvE_clEvENKUlvE0_clEvEUlffE_St5arrayIPcLm3EEEEviT0_T1_, .Lfunc_end9-_ZN2at6native29vectorized_elementwise_kernelILi8EZZZNS0_12prelu_kernelERNS_14TensorIteratorEENKUlvE_clEvENKUlvE0_clEvEUlffE_St5arrayIPcLm3EEEEviT0_T1_
                                        ; -- End function
	.section	.AMDGPU.csdata,"",@progbits
; Kernel info:
; codeLenInByte = 960
; NumSgprs: 20
; NumVgprs: 16
; NumAgprs: 0
; TotalNumVgprs: 16
; ScratchSize: 0
; MemoryBound: 0
; FloatMode: 240
; IeeeMode: 1
; LDSByteSize: 0 bytes/workgroup (compile time only)
; SGPRBlocks: 2
; VGPRBlocks: 1
; NumSGPRsForWavesPerEU: 20
; NumVGPRsForWavesPerEU: 16
; AccumOffset: 16
; Occupancy: 8
; WaveLimiterHint : 0
; COMPUTE_PGM_RSRC2:SCRATCH_EN: 0
; COMPUTE_PGM_RSRC2:USER_SGPR: 6
; COMPUTE_PGM_RSRC2:TRAP_HANDLER: 0
; COMPUTE_PGM_RSRC2:TGID_X_EN: 1
; COMPUTE_PGM_RSRC2:TGID_Y_EN: 0
; COMPUTE_PGM_RSRC2:TGID_Z_EN: 0
; COMPUTE_PGM_RSRC2:TIDIG_COMP_CNT: 0
; COMPUTE_PGM_RSRC3_GFX90A:ACCUM_OFFSET: 3
; COMPUTE_PGM_RSRC3_GFX90A:TG_SPLIT: 0
	.section	.text._ZN2at6native29vectorized_elementwise_kernelILi4EZZZNS0_12prelu_kernelERNS_14TensorIteratorEENKUlvE_clEvENKUlvE0_clEvEUlffE_St5arrayIPcLm3EEEEviT0_T1_,"axG",@progbits,_ZN2at6native29vectorized_elementwise_kernelILi4EZZZNS0_12prelu_kernelERNS_14TensorIteratorEENKUlvE_clEvENKUlvE0_clEvEUlffE_St5arrayIPcLm3EEEEviT0_T1_,comdat
	.globl	_ZN2at6native29vectorized_elementwise_kernelILi4EZZZNS0_12prelu_kernelERNS_14TensorIteratorEENKUlvE_clEvENKUlvE0_clEvEUlffE_St5arrayIPcLm3EEEEviT0_T1_ ; -- Begin function _ZN2at6native29vectorized_elementwise_kernelILi4EZZZNS0_12prelu_kernelERNS_14TensorIteratorEENKUlvE_clEvENKUlvE0_clEvEUlffE_St5arrayIPcLm3EEEEviT0_T1_
	.p2align	8
	.type	_ZN2at6native29vectorized_elementwise_kernelILi4EZZZNS0_12prelu_kernelERNS_14TensorIteratorEENKUlvE_clEvENKUlvE0_clEvEUlffE_St5arrayIPcLm3EEEEviT0_T1_,@function
_ZN2at6native29vectorized_elementwise_kernelILi4EZZZNS0_12prelu_kernelERNS_14TensorIteratorEENKUlvE_clEvENKUlvE0_clEvEUlffE_St5arrayIPcLm3EEEEviT0_T1_: ; @_ZN2at6native29vectorized_elementwise_kernelILi4EZZZNS0_12prelu_kernelERNS_14TensorIteratorEENKUlvE_clEvENKUlvE0_clEvEUlffE_St5arrayIPcLm3EEEEviT0_T1_
; %bb.0:
	s_load_dword s0, s[4:5], 0x0
	s_load_dwordx4 s[8:11], s[4:5], 0x8
	s_load_dwordx2 s[12:13], s[4:5], 0x18
	s_lshl_b32 s2, s6, 10
	s_waitcnt lgkmcnt(0)
	s_sub_i32 s6, s0, s2
	s_cmpk_gt_i32 s6, 0x3ff
	s_mov_b64 s[0:1], -1
	s_cbranch_scc0 .LBB10_2
; %bb.1:
	s_ashr_i32 s3, s2, 31
	s_lshl_b64 s[0:1], s[2:3], 2
	s_add_u32 s4, s10, s0
	s_addc_u32 s5, s11, s1
	v_lshlrev_b32_e32 v1, 4, v0
	s_add_u32 s14, s12, s0
	s_addc_u32 s15, s13, s1
	global_load_dwordx4 v[2:5], v1, s[4:5]
	global_load_dwordx4 v[6:9], v1, s[14:15]
	s_add_u32 s0, s8, s0
	s_addc_u32 s1, s9, s1
	s_waitcnt vmcnt(1)
	v_cmp_lt_f32_e32 vcc, 0, v3
	s_waitcnt vmcnt(0)
	v_pk_mul_f32 v[6:7], v[2:3], v[6:7]
	v_cndmask_b32_e32 v3, v7, v3, vcc
	v_cmp_lt_f32_e32 vcc, 0, v2
	v_pk_mul_f32 v[8:9], v[4:5], v[8:9]
	v_cndmask_b32_e32 v2, v6, v2, vcc
	v_cmp_lt_f32_e32 vcc, 0, v5
	v_cndmask_b32_e32 v5, v9, v5, vcc
	v_cmp_lt_f32_e32 vcc, 0, v4
	v_cndmask_b32_e32 v4, v8, v4, vcc
	global_store_dwordx4 v1, v[2:5], s[0:1]
	s_mov_b64 s[0:1], 0
.LBB10_2:
	s_andn2_b64 vcc, exec, s[0:1]
	s_cbranch_vccnz .LBB10_16
; %bb.3:
	v_cmp_gt_i32_e32 vcc, s6, v0
	v_mov_b32_e32 v1, 0
	v_or_b32_e32 v2, s2, v0
	v_mov_b32_e32 v3, 0
	v_mov_b32_e32 v4, 0
	v_mov_b32_e32 v6, v0
	s_and_saveexec_b64 s[4:5], vcc
	s_cbranch_execz .LBB10_5
; %bb.4:
	v_mov_b32_e32 v3, 0
	v_lshlrev_b64 v[4:5], 2, v[2:3]
	v_mov_b32_e32 v3, s13
	v_add_co_u32_e64 v6, s[0:1], s12, v4
	v_addc_co_u32_e64 v7, s[0:1], v3, v5, s[0:1]
	v_mov_b32_e32 v3, s11
	v_add_co_u32_e64 v8, s[0:1], s10, v4
	v_addc_co_u32_e64 v9, s[0:1], v3, v5, s[0:1]
	global_load_dword v3, v[8:9], off
	global_load_dword v4, v[6:7], off
	v_or_b32_e32 v6, 0x100, v0
.LBB10_5:
	s_or_b64 exec, exec, s[4:5]
	v_cmp_gt_i32_e64 s[0:1], s6, v6
	v_mov_b32_e32 v5, 0
	s_and_saveexec_b64 s[4:5], s[0:1]
	s_cbranch_execz .LBB10_7
; %bb.6:
	v_add_u32_e32 v8, s2, v6
	v_mov_b32_e32 v9, 0
	v_lshlrev_b64 v[8:9], 2, v[8:9]
	v_mov_b32_e32 v1, s13
	v_add_co_u32_e64 v10, s[0:1], s12, v8
	v_addc_co_u32_e64 v11, s[0:1], v1, v9, s[0:1]
	v_mov_b32_e32 v1, s11
	v_add_co_u32_e64 v8, s[0:1], s10, v8
	v_addc_co_u32_e64 v9, s[0:1], v1, v9, s[0:1]
	global_load_dword v1, v[8:9], off
	global_load_dword v5, v[10:11], off
	v_add_u32_e32 v6, 0x100, v6
.LBB10_7:
	s_or_b64 exec, exec, s[4:5]
	v_cmp_gt_i32_e64 s[0:1], s6, v6
	v_mov_b32_e32 v7, 0
	v_mov_b32_e32 v8, 0
	;; [unrolled: 1-line block ×3, first 2 shown]
	s_and_saveexec_b64 s[4:5], s[0:1]
	s_cbranch_execz .LBB10_9
; %bb.8:
	v_add_u32_e32 v8, s2, v6
	v_mov_b32_e32 v9, 0
	v_lshlrev_b64 v[8:9], 2, v[8:9]
	v_mov_b32_e32 v11, s13
	v_add_co_u32_e64 v10, s[0:1], s12, v8
	v_addc_co_u32_e64 v11, s[0:1], v11, v9, s[0:1]
	v_mov_b32_e32 v13, s11
	v_add_co_u32_e64 v12, s[0:1], s10, v8
	v_addc_co_u32_e64 v13, s[0:1], v13, v9, s[0:1]
	global_load_dword v8, v[12:13], off
	global_load_dword v9, v[10:11], off
	v_add_u32_e32 v6, 0x100, v6
.LBB10_9:
	s_or_b64 exec, exec, s[4:5]
	v_cmp_gt_i32_e64 s[0:1], s6, v6
	v_mov_b32_e32 v10, 0
	s_and_saveexec_b64 s[4:5], s[0:1]
	s_cbranch_execz .LBB10_11
; %bb.10:
	v_add_u32_e32 v6, s2, v6
	v_mov_b32_e32 v7, 0
	v_lshlrev_b64 v[6:7], 2, v[6:7]
	v_mov_b32_e32 v10, s13
	v_add_co_u32_e64 v12, s[0:1], s12, v6
	v_addc_co_u32_e64 v13, s[0:1], v10, v7, s[0:1]
	v_mov_b32_e32 v10, s11
	v_add_co_u32_e64 v14, s[0:1], s10, v6
	v_addc_co_u32_e64 v15, s[0:1], v10, v7, s[0:1]
	global_load_dword v7, v[14:15], off
	global_load_dword v10, v[12:13], off
.LBB10_11:
	s_or_b64 exec, exec, s[4:5]
	s_waitcnt vmcnt(0)
	v_mul_f32_e32 v4, v3, v4
	v_cmp_lt_f32_e64 s[0:1], 0, v3
	v_cndmask_b32_e64 v6, v4, v3, s[0:1]
	v_mul_f32_e32 v3, v1, v5
	v_cmp_lt_f32_e64 s[0:1], 0, v1
	v_cndmask_b32_e64 v5, v3, v1, s[0:1]
	;; [unrolled: 3-line block ×4, first 2 shown]
	s_and_saveexec_b64 s[0:1], vcc
	s_cbranch_execnz .LBB10_17
; %bb.12:
	s_or_b64 exec, exec, s[0:1]
	v_cmp_gt_i32_e32 vcc, s6, v0
	s_and_saveexec_b64 s[0:1], vcc
	s_cbranch_execnz .LBB10_18
.LBB10_13:
	s_or_b64 exec, exec, s[0:1]
	v_cmp_gt_i32_e32 vcc, s6, v0
	s_and_saveexec_b64 s[0:1], vcc
	s_cbranch_execnz .LBB10_19
.LBB10_14:
	s_or_b64 exec, exec, s[0:1]
	v_cmp_gt_i32_e32 vcc, s6, v0
	s_and_saveexec_b64 s[0:1], vcc
	s_cbranch_execz .LBB10_16
.LBB10_15:
	v_add_u32_e32 v2, s2, v0
	v_mov_b32_e32 v3, 0
	v_lshlrev_b64 v[2:3], 2, v[2:3]
	v_mov_b32_e32 v0, s9
	v_add_co_u32_e32 v2, vcc, s8, v2
	v_addc_co_u32_e32 v3, vcc, v0, v3, vcc
	global_store_dword v[2:3], v1, off
.LBB10_16:
	s_endpgm
.LBB10_17:
	v_mov_b32_e32 v3, 0
	v_lshlrev_b64 v[2:3], 2, v[2:3]
	v_mov_b32_e32 v7, s9
	v_add_co_u32_e32 v2, vcc, s8, v2
	v_or_b32_e32 v0, 0x100, v0
	v_addc_co_u32_e32 v3, vcc, v7, v3, vcc
	global_store_dword v[2:3], v6, off
	s_or_b64 exec, exec, s[0:1]
	v_cmp_gt_i32_e32 vcc, s6, v0
	s_and_saveexec_b64 s[0:1], vcc
	s_cbranch_execz .LBB10_13
.LBB10_18:
	v_add_u32_e32 v2, s2, v0
	v_mov_b32_e32 v3, 0
	v_lshlrev_b64 v[2:3], 2, v[2:3]
	v_mov_b32_e32 v6, s9
	v_add_co_u32_e32 v2, vcc, s8, v2
	v_addc_co_u32_e32 v3, vcc, v6, v3, vcc
	v_add_u32_e32 v0, 0x100, v0
	global_store_dword v[2:3], v5, off
	s_or_b64 exec, exec, s[0:1]
	v_cmp_gt_i32_e32 vcc, s6, v0
	s_and_saveexec_b64 s[0:1], vcc
	s_cbranch_execz .LBB10_14
.LBB10_19:
	v_add_u32_e32 v2, s2, v0
	v_mov_b32_e32 v3, 0
	v_lshlrev_b64 v[2:3], 2, v[2:3]
	v_mov_b32_e32 v5, s9
	v_add_co_u32_e32 v2, vcc, s8, v2
	v_addc_co_u32_e32 v3, vcc, v5, v3, vcc
	v_add_u32_e32 v0, 0x100, v0
	global_store_dword v[2:3], v4, off
	s_or_b64 exec, exec, s[0:1]
	v_cmp_gt_i32_e32 vcc, s6, v0
	s_and_saveexec_b64 s[0:1], vcc
	s_cbranch_execnz .LBB10_15
	s_branch .LBB10_16
	.section	.rodata,"a",@progbits
	.p2align	6, 0x0
	.amdhsa_kernel _ZN2at6native29vectorized_elementwise_kernelILi4EZZZNS0_12prelu_kernelERNS_14TensorIteratorEENKUlvE_clEvENKUlvE0_clEvEUlffE_St5arrayIPcLm3EEEEviT0_T1_
		.amdhsa_group_segment_fixed_size 0
		.amdhsa_private_segment_fixed_size 0
		.amdhsa_kernarg_size 32
		.amdhsa_user_sgpr_count 6
		.amdhsa_user_sgpr_private_segment_buffer 1
		.amdhsa_user_sgpr_dispatch_ptr 0
		.amdhsa_user_sgpr_queue_ptr 0
		.amdhsa_user_sgpr_kernarg_segment_ptr 1
		.amdhsa_user_sgpr_dispatch_id 0
		.amdhsa_user_sgpr_flat_scratch_init 0
		.amdhsa_user_sgpr_kernarg_preload_length 0
		.amdhsa_user_sgpr_kernarg_preload_offset 0
		.amdhsa_user_sgpr_private_segment_size 0
		.amdhsa_uses_dynamic_stack 0
		.amdhsa_system_sgpr_private_segment_wavefront_offset 0
		.amdhsa_system_sgpr_workgroup_id_x 1
		.amdhsa_system_sgpr_workgroup_id_y 0
		.amdhsa_system_sgpr_workgroup_id_z 0
		.amdhsa_system_sgpr_workgroup_info 0
		.amdhsa_system_vgpr_workitem_id 0
		.amdhsa_next_free_vgpr 16
		.amdhsa_next_free_sgpr 16
		.amdhsa_accum_offset 16
		.amdhsa_reserve_vcc 1
		.amdhsa_reserve_flat_scratch 0
		.amdhsa_float_round_mode_32 0
		.amdhsa_float_round_mode_16_64 0
		.amdhsa_float_denorm_mode_32 3
		.amdhsa_float_denorm_mode_16_64 3
		.amdhsa_dx10_clamp 1
		.amdhsa_ieee_mode 1
		.amdhsa_fp16_overflow 0
		.amdhsa_tg_split 0
		.amdhsa_exception_fp_ieee_invalid_op 0
		.amdhsa_exception_fp_denorm_src 0
		.amdhsa_exception_fp_ieee_div_zero 0
		.amdhsa_exception_fp_ieee_overflow 0
		.amdhsa_exception_fp_ieee_underflow 0
		.amdhsa_exception_fp_ieee_inexact 0
		.amdhsa_exception_int_div_zero 0
	.end_amdhsa_kernel
	.section	.text._ZN2at6native29vectorized_elementwise_kernelILi4EZZZNS0_12prelu_kernelERNS_14TensorIteratorEENKUlvE_clEvENKUlvE0_clEvEUlffE_St5arrayIPcLm3EEEEviT0_T1_,"axG",@progbits,_ZN2at6native29vectorized_elementwise_kernelILi4EZZZNS0_12prelu_kernelERNS_14TensorIteratorEENKUlvE_clEvENKUlvE0_clEvEUlffE_St5arrayIPcLm3EEEEviT0_T1_,comdat
.Lfunc_end10:
	.size	_ZN2at6native29vectorized_elementwise_kernelILi4EZZZNS0_12prelu_kernelERNS_14TensorIteratorEENKUlvE_clEvENKUlvE0_clEvEUlffE_St5arrayIPcLm3EEEEviT0_T1_, .Lfunc_end10-_ZN2at6native29vectorized_elementwise_kernelILi4EZZZNS0_12prelu_kernelERNS_14TensorIteratorEENKUlvE_clEvENKUlvE0_clEvEUlffE_St5arrayIPcLm3EEEEviT0_T1_
                                        ; -- End function
	.section	.AMDGPU.csdata,"",@progbits
; Kernel info:
; codeLenInByte = 960
; NumSgprs: 20
; NumVgprs: 16
; NumAgprs: 0
; TotalNumVgprs: 16
; ScratchSize: 0
; MemoryBound: 0
; FloatMode: 240
; IeeeMode: 1
; LDSByteSize: 0 bytes/workgroup (compile time only)
; SGPRBlocks: 2
; VGPRBlocks: 1
; NumSGPRsForWavesPerEU: 20
; NumVGPRsForWavesPerEU: 16
; AccumOffset: 16
; Occupancy: 8
; WaveLimiterHint : 0
; COMPUTE_PGM_RSRC2:SCRATCH_EN: 0
; COMPUTE_PGM_RSRC2:USER_SGPR: 6
; COMPUTE_PGM_RSRC2:TRAP_HANDLER: 0
; COMPUTE_PGM_RSRC2:TGID_X_EN: 1
; COMPUTE_PGM_RSRC2:TGID_Y_EN: 0
; COMPUTE_PGM_RSRC2:TGID_Z_EN: 0
; COMPUTE_PGM_RSRC2:TIDIG_COMP_CNT: 0
; COMPUTE_PGM_RSRC3_GFX90A:ACCUM_OFFSET: 3
; COMPUTE_PGM_RSRC3_GFX90A:TG_SPLIT: 0
	.section	.text._ZN2at6native29vectorized_elementwise_kernelILi2EZZZNS0_12prelu_kernelERNS_14TensorIteratorEENKUlvE_clEvENKUlvE0_clEvEUlffE_St5arrayIPcLm3EEEEviT0_T1_,"axG",@progbits,_ZN2at6native29vectorized_elementwise_kernelILi2EZZZNS0_12prelu_kernelERNS_14TensorIteratorEENKUlvE_clEvENKUlvE0_clEvEUlffE_St5arrayIPcLm3EEEEviT0_T1_,comdat
	.globl	_ZN2at6native29vectorized_elementwise_kernelILi2EZZZNS0_12prelu_kernelERNS_14TensorIteratorEENKUlvE_clEvENKUlvE0_clEvEUlffE_St5arrayIPcLm3EEEEviT0_T1_ ; -- Begin function _ZN2at6native29vectorized_elementwise_kernelILi2EZZZNS0_12prelu_kernelERNS_14TensorIteratorEENKUlvE_clEvENKUlvE0_clEvEUlffE_St5arrayIPcLm3EEEEviT0_T1_
	.p2align	8
	.type	_ZN2at6native29vectorized_elementwise_kernelILi2EZZZNS0_12prelu_kernelERNS_14TensorIteratorEENKUlvE_clEvENKUlvE0_clEvEUlffE_St5arrayIPcLm3EEEEviT0_T1_,@function
_ZN2at6native29vectorized_elementwise_kernelILi2EZZZNS0_12prelu_kernelERNS_14TensorIteratorEENKUlvE_clEvENKUlvE0_clEvEUlffE_St5arrayIPcLm3EEEEviT0_T1_: ; @_ZN2at6native29vectorized_elementwise_kernelILi2EZZZNS0_12prelu_kernelERNS_14TensorIteratorEENKUlvE_clEvENKUlvE0_clEvEUlffE_St5arrayIPcLm3EEEEviT0_T1_
; %bb.0:
	s_load_dword s0, s[4:5], 0x0
	s_load_dwordx4 s[8:11], s[4:5], 0x8
	s_load_dwordx2 s[12:13], s[4:5], 0x18
	s_lshl_b32 s2, s6, 10
	s_waitcnt lgkmcnt(0)
	s_sub_i32 s6, s0, s2
	s_cmpk_gt_i32 s6, 0x3ff
	s_mov_b64 s[0:1], -1
	s_cbranch_scc0 .LBB11_2
; %bb.1:
	s_ashr_i32 s3, s2, 31
	s_lshl_b64 s[0:1], s[2:3], 2
	s_add_u32 s4, s10, s0
	s_addc_u32 s5, s11, s1
	v_lshlrev_b32_e32 v1, 3, v0
	s_add_u32 s14, s12, s0
	s_addc_u32 s15, s13, s1
	global_load_dwordx2 v[2:3], v1, s[4:5]
	global_load_dwordx2 v[4:5], v1, s[14:15] offset:2048
	global_load_dwordx2 v[6:7], v1, s[14:15]
	global_load_dwordx2 v[8:9], v1, s[4:5] offset:2048
	s_add_u32 s0, s8, s0
	s_addc_u32 s1, s9, s1
	s_waitcnt vmcnt(3)
	v_cmp_lt_f32_e32 vcc, 0, v3
	s_waitcnt vmcnt(1)
	v_pk_mul_f32 v[6:7], v[2:3], v[6:7]
	v_cndmask_b32_e32 v3, v7, v3, vcc
	v_cmp_lt_f32_e32 vcc, 0, v2
	s_waitcnt vmcnt(0)
	v_pk_mul_f32 v[4:5], v[8:9], v[4:5]
	v_cndmask_b32_e32 v2, v6, v2, vcc
	v_cmp_lt_f32_e32 vcc, 0, v9
	v_cndmask_b32_e32 v5, v5, v9, vcc
	v_cmp_lt_f32_e32 vcc, 0, v8
	v_cndmask_b32_e32 v4, v4, v8, vcc
	global_store_dwordx2 v1, v[2:3], s[0:1]
	global_store_dwordx2 v1, v[4:5], s[0:1] offset:2048
	s_mov_b64 s[0:1], 0
.LBB11_2:
	s_andn2_b64 vcc, exec, s[0:1]
	s_cbranch_vccnz .LBB11_16
; %bb.3:
	v_cmp_gt_i32_e32 vcc, s6, v0
	v_mov_b32_e32 v1, 0
	v_or_b32_e32 v2, s2, v0
	v_mov_b32_e32 v3, 0
	v_mov_b32_e32 v4, 0
	;; [unrolled: 1-line block ×3, first 2 shown]
	s_and_saveexec_b64 s[4:5], vcc
	s_cbranch_execz .LBB11_5
; %bb.4:
	v_mov_b32_e32 v3, 0
	v_lshlrev_b64 v[4:5], 2, v[2:3]
	v_mov_b32_e32 v3, s13
	v_add_co_u32_e64 v6, s[0:1], s12, v4
	v_addc_co_u32_e64 v7, s[0:1], v3, v5, s[0:1]
	v_mov_b32_e32 v3, s11
	v_add_co_u32_e64 v8, s[0:1], s10, v4
	v_addc_co_u32_e64 v9, s[0:1], v3, v5, s[0:1]
	global_load_dword v3, v[8:9], off
	global_load_dword v4, v[6:7], off
	v_or_b32_e32 v6, 0x100, v0
.LBB11_5:
	s_or_b64 exec, exec, s[4:5]
	v_cmp_gt_i32_e64 s[0:1], s6, v6
	v_mov_b32_e32 v5, 0
	s_and_saveexec_b64 s[4:5], s[0:1]
	s_cbranch_execz .LBB11_7
; %bb.6:
	v_add_u32_e32 v8, s2, v6
	v_mov_b32_e32 v9, 0
	v_lshlrev_b64 v[8:9], 2, v[8:9]
	v_mov_b32_e32 v1, s13
	v_add_co_u32_e64 v10, s[0:1], s12, v8
	v_addc_co_u32_e64 v11, s[0:1], v1, v9, s[0:1]
	v_mov_b32_e32 v1, s11
	v_add_co_u32_e64 v8, s[0:1], s10, v8
	v_addc_co_u32_e64 v9, s[0:1], v1, v9, s[0:1]
	global_load_dword v1, v[8:9], off
	global_load_dword v5, v[10:11], off
	v_add_u32_e32 v6, 0x100, v6
.LBB11_7:
	s_or_b64 exec, exec, s[4:5]
	v_cmp_gt_i32_e64 s[0:1], s6, v6
	v_mov_b32_e32 v7, 0
	v_mov_b32_e32 v8, 0
	;; [unrolled: 1-line block ×3, first 2 shown]
	s_and_saveexec_b64 s[4:5], s[0:1]
	s_cbranch_execz .LBB11_9
; %bb.8:
	v_add_u32_e32 v8, s2, v6
	v_mov_b32_e32 v9, 0
	v_lshlrev_b64 v[8:9], 2, v[8:9]
	v_mov_b32_e32 v11, s13
	v_add_co_u32_e64 v10, s[0:1], s12, v8
	v_addc_co_u32_e64 v11, s[0:1], v11, v9, s[0:1]
	v_mov_b32_e32 v13, s11
	v_add_co_u32_e64 v12, s[0:1], s10, v8
	v_addc_co_u32_e64 v13, s[0:1], v13, v9, s[0:1]
	global_load_dword v8, v[12:13], off
	global_load_dword v9, v[10:11], off
	v_add_u32_e32 v6, 0x100, v6
.LBB11_9:
	s_or_b64 exec, exec, s[4:5]
	v_cmp_gt_i32_e64 s[0:1], s6, v6
	v_mov_b32_e32 v10, 0
	s_and_saveexec_b64 s[4:5], s[0:1]
	s_cbranch_execz .LBB11_11
; %bb.10:
	v_add_u32_e32 v6, s2, v6
	v_mov_b32_e32 v7, 0
	v_lshlrev_b64 v[6:7], 2, v[6:7]
	v_mov_b32_e32 v10, s13
	v_add_co_u32_e64 v12, s[0:1], s12, v6
	v_addc_co_u32_e64 v13, s[0:1], v10, v7, s[0:1]
	v_mov_b32_e32 v10, s11
	v_add_co_u32_e64 v14, s[0:1], s10, v6
	v_addc_co_u32_e64 v15, s[0:1], v10, v7, s[0:1]
	global_load_dword v7, v[14:15], off
	global_load_dword v10, v[12:13], off
.LBB11_11:
	s_or_b64 exec, exec, s[4:5]
	s_waitcnt vmcnt(0)
	v_mul_f32_e32 v4, v3, v4
	v_cmp_lt_f32_e64 s[0:1], 0, v3
	v_cndmask_b32_e64 v6, v4, v3, s[0:1]
	v_mul_f32_e32 v3, v1, v5
	v_cmp_lt_f32_e64 s[0:1], 0, v1
	v_cndmask_b32_e64 v5, v3, v1, s[0:1]
	;; [unrolled: 3-line block ×4, first 2 shown]
	s_and_saveexec_b64 s[0:1], vcc
	s_cbranch_execnz .LBB11_17
; %bb.12:
	s_or_b64 exec, exec, s[0:1]
	v_cmp_gt_i32_e32 vcc, s6, v0
	s_and_saveexec_b64 s[0:1], vcc
	s_cbranch_execnz .LBB11_18
.LBB11_13:
	s_or_b64 exec, exec, s[0:1]
	v_cmp_gt_i32_e32 vcc, s6, v0
	s_and_saveexec_b64 s[0:1], vcc
	s_cbranch_execnz .LBB11_19
.LBB11_14:
	s_or_b64 exec, exec, s[0:1]
	v_cmp_gt_i32_e32 vcc, s6, v0
	s_and_saveexec_b64 s[0:1], vcc
	s_cbranch_execz .LBB11_16
.LBB11_15:
	v_add_u32_e32 v2, s2, v0
	v_mov_b32_e32 v3, 0
	v_lshlrev_b64 v[2:3], 2, v[2:3]
	v_mov_b32_e32 v0, s9
	v_add_co_u32_e32 v2, vcc, s8, v2
	v_addc_co_u32_e32 v3, vcc, v0, v3, vcc
	global_store_dword v[2:3], v1, off
.LBB11_16:
	s_endpgm
.LBB11_17:
	v_mov_b32_e32 v3, 0
	v_lshlrev_b64 v[2:3], 2, v[2:3]
	v_mov_b32_e32 v7, s9
	v_add_co_u32_e32 v2, vcc, s8, v2
	v_or_b32_e32 v0, 0x100, v0
	v_addc_co_u32_e32 v3, vcc, v7, v3, vcc
	global_store_dword v[2:3], v6, off
	s_or_b64 exec, exec, s[0:1]
	v_cmp_gt_i32_e32 vcc, s6, v0
	s_and_saveexec_b64 s[0:1], vcc
	s_cbranch_execz .LBB11_13
.LBB11_18:
	v_add_u32_e32 v2, s2, v0
	v_mov_b32_e32 v3, 0
	v_lshlrev_b64 v[2:3], 2, v[2:3]
	v_mov_b32_e32 v6, s9
	v_add_co_u32_e32 v2, vcc, s8, v2
	v_addc_co_u32_e32 v3, vcc, v6, v3, vcc
	v_add_u32_e32 v0, 0x100, v0
	global_store_dword v[2:3], v5, off
	s_or_b64 exec, exec, s[0:1]
	v_cmp_gt_i32_e32 vcc, s6, v0
	s_and_saveexec_b64 s[0:1], vcc
	s_cbranch_execz .LBB11_14
.LBB11_19:
	v_add_u32_e32 v2, s2, v0
	v_mov_b32_e32 v3, 0
	v_lshlrev_b64 v[2:3], 2, v[2:3]
	v_mov_b32_e32 v5, s9
	v_add_co_u32_e32 v2, vcc, s8, v2
	v_addc_co_u32_e32 v3, vcc, v5, v3, vcc
	v_add_u32_e32 v0, 0x100, v0
	global_store_dword v[2:3], v4, off
	s_or_b64 exec, exec, s[0:1]
	v_cmp_gt_i32_e32 vcc, s6, v0
	s_and_saveexec_b64 s[0:1], vcc
	s_cbranch_execnz .LBB11_15
	s_branch .LBB11_16
	.section	.rodata,"a",@progbits
	.p2align	6, 0x0
	.amdhsa_kernel _ZN2at6native29vectorized_elementwise_kernelILi2EZZZNS0_12prelu_kernelERNS_14TensorIteratorEENKUlvE_clEvENKUlvE0_clEvEUlffE_St5arrayIPcLm3EEEEviT0_T1_
		.amdhsa_group_segment_fixed_size 0
		.amdhsa_private_segment_fixed_size 0
		.amdhsa_kernarg_size 32
		.amdhsa_user_sgpr_count 6
		.amdhsa_user_sgpr_private_segment_buffer 1
		.amdhsa_user_sgpr_dispatch_ptr 0
		.amdhsa_user_sgpr_queue_ptr 0
		.amdhsa_user_sgpr_kernarg_segment_ptr 1
		.amdhsa_user_sgpr_dispatch_id 0
		.amdhsa_user_sgpr_flat_scratch_init 0
		.amdhsa_user_sgpr_kernarg_preload_length 0
		.amdhsa_user_sgpr_kernarg_preload_offset 0
		.amdhsa_user_sgpr_private_segment_size 0
		.amdhsa_uses_dynamic_stack 0
		.amdhsa_system_sgpr_private_segment_wavefront_offset 0
		.amdhsa_system_sgpr_workgroup_id_x 1
		.amdhsa_system_sgpr_workgroup_id_y 0
		.amdhsa_system_sgpr_workgroup_id_z 0
		.amdhsa_system_sgpr_workgroup_info 0
		.amdhsa_system_vgpr_workitem_id 0
		.amdhsa_next_free_vgpr 16
		.amdhsa_next_free_sgpr 16
		.amdhsa_accum_offset 16
		.amdhsa_reserve_vcc 1
		.amdhsa_reserve_flat_scratch 0
		.amdhsa_float_round_mode_32 0
		.amdhsa_float_round_mode_16_64 0
		.amdhsa_float_denorm_mode_32 3
		.amdhsa_float_denorm_mode_16_64 3
		.amdhsa_dx10_clamp 1
		.amdhsa_ieee_mode 1
		.amdhsa_fp16_overflow 0
		.amdhsa_tg_split 0
		.amdhsa_exception_fp_ieee_invalid_op 0
		.amdhsa_exception_fp_denorm_src 0
		.amdhsa_exception_fp_ieee_div_zero 0
		.amdhsa_exception_fp_ieee_overflow 0
		.amdhsa_exception_fp_ieee_underflow 0
		.amdhsa_exception_fp_ieee_inexact 0
		.amdhsa_exception_int_div_zero 0
	.end_amdhsa_kernel
	.section	.text._ZN2at6native29vectorized_elementwise_kernelILi2EZZZNS0_12prelu_kernelERNS_14TensorIteratorEENKUlvE_clEvENKUlvE0_clEvEUlffE_St5arrayIPcLm3EEEEviT0_T1_,"axG",@progbits,_ZN2at6native29vectorized_elementwise_kernelILi2EZZZNS0_12prelu_kernelERNS_14TensorIteratorEENKUlvE_clEvENKUlvE0_clEvEUlffE_St5arrayIPcLm3EEEEviT0_T1_,comdat
.Lfunc_end11:
	.size	_ZN2at6native29vectorized_elementwise_kernelILi2EZZZNS0_12prelu_kernelERNS_14TensorIteratorEENKUlvE_clEvENKUlvE0_clEvEUlffE_St5arrayIPcLm3EEEEviT0_T1_, .Lfunc_end11-_ZN2at6native29vectorized_elementwise_kernelILi2EZZZNS0_12prelu_kernelERNS_14TensorIteratorEENKUlvE_clEvENKUlvE0_clEvEUlffE_St5arrayIPcLm3EEEEviT0_T1_
                                        ; -- End function
	.section	.AMDGPU.csdata,"",@progbits
; Kernel info:
; codeLenInByte = 988
; NumSgprs: 20
; NumVgprs: 16
; NumAgprs: 0
; TotalNumVgprs: 16
; ScratchSize: 0
; MemoryBound: 0
; FloatMode: 240
; IeeeMode: 1
; LDSByteSize: 0 bytes/workgroup (compile time only)
; SGPRBlocks: 2
; VGPRBlocks: 1
; NumSGPRsForWavesPerEU: 20
; NumVGPRsForWavesPerEU: 16
; AccumOffset: 16
; Occupancy: 8
; WaveLimiterHint : 1
; COMPUTE_PGM_RSRC2:SCRATCH_EN: 0
; COMPUTE_PGM_RSRC2:USER_SGPR: 6
; COMPUTE_PGM_RSRC2:TRAP_HANDLER: 0
; COMPUTE_PGM_RSRC2:TGID_X_EN: 1
; COMPUTE_PGM_RSRC2:TGID_Y_EN: 0
; COMPUTE_PGM_RSRC2:TGID_Z_EN: 0
; COMPUTE_PGM_RSRC2:TIDIG_COMP_CNT: 0
; COMPUTE_PGM_RSRC3_GFX90A:ACCUM_OFFSET: 3
; COMPUTE_PGM_RSRC3_GFX90A:TG_SPLIT: 0
	.section	.text._ZN2at6native27unrolled_elementwise_kernelIZZZNS0_12prelu_kernelERNS_14TensorIteratorEENKUlvE_clEvENKUlvE0_clEvEUlffE_St5arrayIPcLm3EELi4E23TrivialOffsetCalculatorILi2EjESA_ILi1EjENS0_6memory15LoadWithoutCastENSD_16StoreWithoutCastEEEviT_T0_T2_T3_T4_T5_,"axG",@progbits,_ZN2at6native27unrolled_elementwise_kernelIZZZNS0_12prelu_kernelERNS_14TensorIteratorEENKUlvE_clEvENKUlvE0_clEvEUlffE_St5arrayIPcLm3EELi4E23TrivialOffsetCalculatorILi2EjESA_ILi1EjENS0_6memory15LoadWithoutCastENSD_16StoreWithoutCastEEEviT_T0_T2_T3_T4_T5_,comdat
	.globl	_ZN2at6native27unrolled_elementwise_kernelIZZZNS0_12prelu_kernelERNS_14TensorIteratorEENKUlvE_clEvENKUlvE0_clEvEUlffE_St5arrayIPcLm3EELi4E23TrivialOffsetCalculatorILi2EjESA_ILi1EjENS0_6memory15LoadWithoutCastENSD_16StoreWithoutCastEEEviT_T0_T2_T3_T4_T5_ ; -- Begin function _ZN2at6native27unrolled_elementwise_kernelIZZZNS0_12prelu_kernelERNS_14TensorIteratorEENKUlvE_clEvENKUlvE0_clEvEUlffE_St5arrayIPcLm3EELi4E23TrivialOffsetCalculatorILi2EjESA_ILi1EjENS0_6memory15LoadWithoutCastENSD_16StoreWithoutCastEEEviT_T0_T2_T3_T4_T5_
	.p2align	8
	.type	_ZN2at6native27unrolled_elementwise_kernelIZZZNS0_12prelu_kernelERNS_14TensorIteratorEENKUlvE_clEvENKUlvE0_clEvEUlffE_St5arrayIPcLm3EELi4E23TrivialOffsetCalculatorILi2EjESA_ILi1EjENS0_6memory15LoadWithoutCastENSD_16StoreWithoutCastEEEviT_T0_T2_T3_T4_T5_,@function
_ZN2at6native27unrolled_elementwise_kernelIZZZNS0_12prelu_kernelERNS_14TensorIteratorEENKUlvE_clEvENKUlvE0_clEvEUlffE_St5arrayIPcLm3EELi4E23TrivialOffsetCalculatorILi2EjESA_ILi1EjENS0_6memory15LoadWithoutCastENSD_16StoreWithoutCastEEEviT_T0_T2_T3_T4_T5_: ; @_ZN2at6native27unrolled_elementwise_kernelIZZZNS0_12prelu_kernelERNS_14TensorIteratorEENKUlvE_clEvENKUlvE0_clEvEUlffE_St5arrayIPcLm3EELi4E23TrivialOffsetCalculatorILi2EjESA_ILi1EjENS0_6memory15LoadWithoutCastENSD_16StoreWithoutCastEEEviT_T0_T2_T3_T4_T5_
; %bb.0:
	s_load_dword s0, s[4:5], 0x0
	s_load_dwordx4 s[8:11], s[4:5], 0x8
	s_load_dwordx2 s[2:3], s[4:5], 0x18
	s_lshl_b32 s6, s6, 10
	v_mov_b32_e32 v1, 0
	s_waitcnt lgkmcnt(0)
	s_sub_i32 s7, s0, s6
	v_cmp_gt_i32_e32 vcc, s7, v0
	v_or_b32_e32 v2, s6, v0
	v_mov_b32_e32 v3, 0
	v_mov_b32_e32 v4, 0
	;; [unrolled: 1-line block ×3, first 2 shown]
	s_and_saveexec_b64 s[4:5], vcc
	s_cbranch_execz .LBB12_2
; %bb.1:
	v_mov_b32_e32 v3, 0
	v_lshlrev_b64 v[4:5], 2, v[2:3]
	v_mov_b32_e32 v3, s11
	v_add_co_u32_e64 v6, s[0:1], s10, v4
	v_addc_co_u32_e64 v7, s[0:1], v3, v5, s[0:1]
	v_mov_b32_e32 v3, s3
	v_add_co_u32_e64 v8, s[0:1], s2, v4
	v_addc_co_u32_e64 v9, s[0:1], v3, v5, s[0:1]
	global_load_dword v3, v[6:7], off
	global_load_dword v4, v[8:9], off
	v_or_b32_e32 v5, 0x100, v0
.LBB12_2:
	s_or_b64 exec, exec, s[4:5]
	v_cmp_gt_i32_e64 s[0:1], s7, v5
	v_mov_b32_e32 v6, 0
	s_and_saveexec_b64 s[4:5], s[0:1]
	s_cbranch_execz .LBB12_4
; %bb.3:
	v_add_u32_e32 v6, s6, v5
	v_mov_b32_e32 v7, 0
	v_lshlrev_b64 v[6:7], 2, v[6:7]
	v_mov_b32_e32 v1, s11
	v_add_co_u32_e64 v8, s[0:1], s10, v6
	v_addc_co_u32_e64 v9, s[0:1], v1, v7, s[0:1]
	v_mov_b32_e32 v1, s3
	v_add_co_u32_e64 v10, s[0:1], s2, v6
	v_addc_co_u32_e64 v11, s[0:1], v1, v7, s[0:1]
	global_load_dword v1, v[8:9], off
	global_load_dword v6, v[10:11], off
	v_add_u32_e32 v5, 0x100, v5
.LBB12_4:
	s_or_b64 exec, exec, s[4:5]
	v_cmp_gt_i32_e64 s[0:1], s7, v5
	v_mov_b32_e32 v7, 0
	v_mov_b32_e32 v8, 0
	;; [unrolled: 1-line block ×3, first 2 shown]
	s_and_saveexec_b64 s[4:5], s[0:1]
	s_cbranch_execz .LBB12_6
; %bb.5:
	v_add_u32_e32 v8, s6, v5
	v_mov_b32_e32 v9, 0
	v_lshlrev_b64 v[8:9], 2, v[8:9]
	v_mov_b32_e32 v11, s11
	v_add_co_u32_e64 v10, s[0:1], s10, v8
	v_addc_co_u32_e64 v11, s[0:1], v11, v9, s[0:1]
	v_mov_b32_e32 v13, s3
	v_add_co_u32_e64 v12, s[0:1], s2, v8
	v_addc_co_u32_e64 v13, s[0:1], v13, v9, s[0:1]
	global_load_dword v8, v[10:11], off
	global_load_dword v9, v[12:13], off
	v_add_u32_e32 v5, 0x100, v5
.LBB12_6:
	s_or_b64 exec, exec, s[4:5]
	v_cmp_gt_i32_e64 s[0:1], s7, v5
	v_mov_b32_e32 v11, 0
	s_and_saveexec_b64 s[4:5], s[0:1]
	s_cbranch_execz .LBB12_8
; %bb.7:
	v_add_u32_e32 v10, s6, v5
	v_mov_b32_e32 v11, 0
	v_lshlrev_b64 v[10:11], 2, v[10:11]
	v_mov_b32_e32 v5, s11
	v_add_co_u32_e64 v12, s[0:1], s10, v10
	v_addc_co_u32_e64 v13, s[0:1], v5, v11, s[0:1]
	v_mov_b32_e32 v5, s3
	v_add_co_u32_e64 v14, s[0:1], s2, v10
	v_addc_co_u32_e64 v15, s[0:1], v5, v11, s[0:1]
	global_load_dword v7, v[12:13], off
	global_load_dword v11, v[14:15], off
.LBB12_8:
	s_or_b64 exec, exec, s[4:5]
	s_waitcnt vmcnt(0)
	v_mul_f32_e32 v4, v3, v4
	v_cmp_lt_f32_e64 s[0:1], 0, v3
	v_cndmask_b32_e64 v10, v4, v3, s[0:1]
	v_mul_f32_e32 v3, v1, v6
	v_cmp_lt_f32_e64 s[0:1], 0, v1
	v_cndmask_b32_e64 v5, v3, v1, s[0:1]
	;; [unrolled: 3-line block ×4, first 2 shown]
	s_and_saveexec_b64 s[0:1], vcc
	s_cbranch_execnz .LBB12_13
; %bb.9:
	s_or_b64 exec, exec, s[0:1]
	v_cmp_gt_i32_e32 vcc, s7, v0
	s_and_saveexec_b64 s[0:1], vcc
	s_cbranch_execnz .LBB12_14
.LBB12_10:
	s_or_b64 exec, exec, s[0:1]
	v_cmp_gt_i32_e32 vcc, s7, v0
	s_and_saveexec_b64 s[0:1], vcc
	s_cbranch_execnz .LBB12_15
.LBB12_11:
	s_or_b64 exec, exec, s[0:1]
	v_cmp_gt_i32_e32 vcc, s7, v0
	s_and_saveexec_b64 s[0:1], vcc
	s_cbranch_execnz .LBB12_16
.LBB12_12:
	s_endpgm
.LBB12_13:
	v_mov_b32_e32 v3, 0
	v_lshlrev_b64 v[2:3], 2, v[2:3]
	v_mov_b32_e32 v6, s9
	v_add_co_u32_e32 v2, vcc, s8, v2
	v_or_b32_e32 v0, 0x100, v0
	v_addc_co_u32_e32 v3, vcc, v6, v3, vcc
	global_store_dword v[2:3], v10, off
	s_or_b64 exec, exec, s[0:1]
	v_cmp_gt_i32_e32 vcc, s7, v0
	s_and_saveexec_b64 s[0:1], vcc
	s_cbranch_execz .LBB12_10
.LBB12_14:
	v_add_u32_e32 v2, s6, v0
	v_mov_b32_e32 v3, 0
	v_lshlrev_b64 v[2:3], 2, v[2:3]
	v_add_u32_e32 v6, 0x100, v0
	v_mov_b32_e32 v0, s9
	v_add_co_u32_e32 v2, vcc, s8, v2
	v_addc_co_u32_e32 v3, vcc, v0, v3, vcc
	v_mov_b32_e32 v0, v6
	global_store_dword v[2:3], v5, off
	s_or_b64 exec, exec, s[0:1]
	v_cmp_gt_i32_e32 vcc, s7, v0
	s_and_saveexec_b64 s[0:1], vcc
	s_cbranch_execz .LBB12_11
.LBB12_15:
	v_add_u32_e32 v2, s6, v0
	v_mov_b32_e32 v3, 0
	v_lshlrev_b64 v[2:3], 2, v[2:3]
	v_add_u32_e32 v5, 0x100, v0
	v_mov_b32_e32 v0, s9
	v_add_co_u32_e32 v2, vcc, s8, v2
	v_addc_co_u32_e32 v3, vcc, v0, v3, vcc
	v_mov_b32_e32 v0, v5
	global_store_dword v[2:3], v4, off
	s_or_b64 exec, exec, s[0:1]
	v_cmp_gt_i32_e32 vcc, s7, v0
	s_and_saveexec_b64 s[0:1], vcc
	s_cbranch_execz .LBB12_12
.LBB12_16:
	v_add_u32_e32 v2, s6, v0
	v_mov_b32_e32 v3, 0
	v_lshlrev_b64 v[2:3], 2, v[2:3]
	v_mov_b32_e32 v0, s9
	v_add_co_u32_e32 v2, vcc, s8, v2
	v_addc_co_u32_e32 v3, vcc, v0, v3, vcc
	global_store_dword v[2:3], v1, off
	s_endpgm
	.section	.rodata,"a",@progbits
	.p2align	6, 0x0
	.amdhsa_kernel _ZN2at6native27unrolled_elementwise_kernelIZZZNS0_12prelu_kernelERNS_14TensorIteratorEENKUlvE_clEvENKUlvE0_clEvEUlffE_St5arrayIPcLm3EELi4E23TrivialOffsetCalculatorILi2EjESA_ILi1EjENS0_6memory15LoadWithoutCastENSD_16StoreWithoutCastEEEviT_T0_T2_T3_T4_T5_
		.amdhsa_group_segment_fixed_size 0
		.amdhsa_private_segment_fixed_size 0
		.amdhsa_kernarg_size 36
		.amdhsa_user_sgpr_count 6
		.amdhsa_user_sgpr_private_segment_buffer 1
		.amdhsa_user_sgpr_dispatch_ptr 0
		.amdhsa_user_sgpr_queue_ptr 0
		.amdhsa_user_sgpr_kernarg_segment_ptr 1
		.amdhsa_user_sgpr_dispatch_id 0
		.amdhsa_user_sgpr_flat_scratch_init 0
		.amdhsa_user_sgpr_kernarg_preload_length 0
		.amdhsa_user_sgpr_kernarg_preload_offset 0
		.amdhsa_user_sgpr_private_segment_size 0
		.amdhsa_uses_dynamic_stack 0
		.amdhsa_system_sgpr_private_segment_wavefront_offset 0
		.amdhsa_system_sgpr_workgroup_id_x 1
		.amdhsa_system_sgpr_workgroup_id_y 0
		.amdhsa_system_sgpr_workgroup_id_z 0
		.amdhsa_system_sgpr_workgroup_info 0
		.amdhsa_system_vgpr_workitem_id 0
		.amdhsa_next_free_vgpr 16
		.amdhsa_next_free_sgpr 12
		.amdhsa_accum_offset 16
		.amdhsa_reserve_vcc 1
		.amdhsa_reserve_flat_scratch 0
		.amdhsa_float_round_mode_32 0
		.amdhsa_float_round_mode_16_64 0
		.amdhsa_float_denorm_mode_32 3
		.amdhsa_float_denorm_mode_16_64 3
		.amdhsa_dx10_clamp 1
		.amdhsa_ieee_mode 1
		.amdhsa_fp16_overflow 0
		.amdhsa_tg_split 0
		.amdhsa_exception_fp_ieee_invalid_op 0
		.amdhsa_exception_fp_denorm_src 0
		.amdhsa_exception_fp_ieee_div_zero 0
		.amdhsa_exception_fp_ieee_overflow 0
		.amdhsa_exception_fp_ieee_underflow 0
		.amdhsa_exception_fp_ieee_inexact 0
		.amdhsa_exception_int_div_zero 0
	.end_amdhsa_kernel
	.section	.text._ZN2at6native27unrolled_elementwise_kernelIZZZNS0_12prelu_kernelERNS_14TensorIteratorEENKUlvE_clEvENKUlvE0_clEvEUlffE_St5arrayIPcLm3EELi4E23TrivialOffsetCalculatorILi2EjESA_ILi1EjENS0_6memory15LoadWithoutCastENSD_16StoreWithoutCastEEEviT_T0_T2_T3_T4_T5_,"axG",@progbits,_ZN2at6native27unrolled_elementwise_kernelIZZZNS0_12prelu_kernelERNS_14TensorIteratorEENKUlvE_clEvENKUlvE0_clEvEUlffE_St5arrayIPcLm3EELi4E23TrivialOffsetCalculatorILi2EjESA_ILi1EjENS0_6memory15LoadWithoutCastENSD_16StoreWithoutCastEEEviT_T0_T2_T3_T4_T5_,comdat
.Lfunc_end12:
	.size	_ZN2at6native27unrolled_elementwise_kernelIZZZNS0_12prelu_kernelERNS_14TensorIteratorEENKUlvE_clEvENKUlvE0_clEvEUlffE_St5arrayIPcLm3EELi4E23TrivialOffsetCalculatorILi2EjESA_ILi1EjENS0_6memory15LoadWithoutCastENSD_16StoreWithoutCastEEEviT_T0_T2_T3_T4_T5_, .Lfunc_end12-_ZN2at6native27unrolled_elementwise_kernelIZZZNS0_12prelu_kernelERNS_14TensorIteratorEENKUlvE_clEvENKUlvE0_clEvEUlffE_St5arrayIPcLm3EELi4E23TrivialOffsetCalculatorILi2EjESA_ILi1EjENS0_6memory15LoadWithoutCastENSD_16StoreWithoutCastEEEviT_T0_T2_T3_T4_T5_
                                        ; -- End function
	.section	.AMDGPU.csdata,"",@progbits
; Kernel info:
; codeLenInByte = 828
; NumSgprs: 16
; NumVgprs: 16
; NumAgprs: 0
; TotalNumVgprs: 16
; ScratchSize: 0
; MemoryBound: 0
; FloatMode: 240
; IeeeMode: 1
; LDSByteSize: 0 bytes/workgroup (compile time only)
; SGPRBlocks: 1
; VGPRBlocks: 1
; NumSGPRsForWavesPerEU: 16
; NumVGPRsForWavesPerEU: 16
; AccumOffset: 16
; Occupancy: 8
; WaveLimiterHint : 0
; COMPUTE_PGM_RSRC2:SCRATCH_EN: 0
; COMPUTE_PGM_RSRC2:USER_SGPR: 6
; COMPUTE_PGM_RSRC2:TRAP_HANDLER: 0
; COMPUTE_PGM_RSRC2:TGID_X_EN: 1
; COMPUTE_PGM_RSRC2:TGID_Y_EN: 0
; COMPUTE_PGM_RSRC2:TGID_Z_EN: 0
; COMPUTE_PGM_RSRC2:TIDIG_COMP_CNT: 0
; COMPUTE_PGM_RSRC3_GFX90A:ACCUM_OFFSET: 3
; COMPUTE_PGM_RSRC3_GFX90A:TG_SPLIT: 0
	.section	.text._ZN2at6native32elementwise_kernel_manual_unrollILi128ELi4EZNS0_22gpu_kernel_impl_nocastIZZZNS0_12prelu_kernelERNS_14TensorIteratorEENKUlvE_clEvENKUlvE0_clEvEUlffE_EEvRNS_18TensorIteratorBaseERKT_EUlibE_EEviT1_,"axG",@progbits,_ZN2at6native32elementwise_kernel_manual_unrollILi128ELi4EZNS0_22gpu_kernel_impl_nocastIZZZNS0_12prelu_kernelERNS_14TensorIteratorEENKUlvE_clEvENKUlvE0_clEvEUlffE_EEvRNS_18TensorIteratorBaseERKT_EUlibE_EEviT1_,comdat
	.globl	_ZN2at6native32elementwise_kernel_manual_unrollILi128ELi4EZNS0_22gpu_kernel_impl_nocastIZZZNS0_12prelu_kernelERNS_14TensorIteratorEENKUlvE_clEvENKUlvE0_clEvEUlffE_EEvRNS_18TensorIteratorBaseERKT_EUlibE_EEviT1_ ; -- Begin function _ZN2at6native32elementwise_kernel_manual_unrollILi128ELi4EZNS0_22gpu_kernel_impl_nocastIZZZNS0_12prelu_kernelERNS_14TensorIteratorEENKUlvE_clEvENKUlvE0_clEvEUlffE_EEvRNS_18TensorIteratorBaseERKT_EUlibE_EEviT1_
	.p2align	8
	.type	_ZN2at6native32elementwise_kernel_manual_unrollILi128ELi4EZNS0_22gpu_kernel_impl_nocastIZZZNS0_12prelu_kernelERNS_14TensorIteratorEENKUlvE_clEvENKUlvE0_clEvEUlffE_EEvRNS_18TensorIteratorBaseERKT_EUlibE_EEviT1_,@function
_ZN2at6native32elementwise_kernel_manual_unrollILi128ELi4EZNS0_22gpu_kernel_impl_nocastIZZZNS0_12prelu_kernelERNS_14TensorIteratorEENKUlvE_clEvENKUlvE0_clEvEUlffE_EEvRNS_18TensorIteratorBaseERKT_EUlibE_EEviT1_: ; @_ZN2at6native32elementwise_kernel_manual_unrollILi128ELi4EZNS0_22gpu_kernel_impl_nocastIZZZNS0_12prelu_kernelERNS_14TensorIteratorEENKUlvE_clEvENKUlvE0_clEvEUlffE_EEvRNS_18TensorIteratorBaseERKT_EUlibE_EEviT1_
; %bb.0:
	s_load_dword s36, s[4:5], 0x0
	s_load_dword s33, s[4:5], 0x8
	s_or_b32 s4, s4, 8
	v_lshl_or_b32 v12, s6, 9, v0
	v_or_b32_e32 v24, 0x180, v12
	s_waitcnt lgkmcnt(0)
	v_cmp_le_i32_e32 vcc, s36, v24
	s_add_i32 s34, s33, -1
	s_cmp_gt_u32 s34, 1
	s_cselect_b64 s[6:7], -1, 0
	s_and_saveexec_b64 s[0:1], vcc
	s_xor_b64 s[16:17], exec, s[0:1]
	s_cbranch_execz .LBB13_50
; %bb.1:
	s_load_dwordx4 s[12:15], s[4:5], 0x4
	s_load_dwordx2 s[22:23], s[4:5], 0x14
	s_load_dwordx4 s[8:11], s[4:5], 0xc4
	s_load_dwordx2 s[20:21], s[4:5], 0xd4
	s_load_dwordx2 s[18:19], s[4:5], 0x198
	s_load_dwordx4 s[0:3], s[4:5], 0x188
	s_cmp_lg_u32 s33, 0
	s_cselect_b64 s[26:27], -1, 0
	s_min_u32 s35, s34, 15
	s_cmp_gt_u32 s33, 1
	s_cselect_b64 s[24:25], -1, 0
	v_cmp_gt_i32_e32 vcc, s36, v12
	s_and_saveexec_b64 s[28:29], vcc
	s_cbranch_execnz .LBB13_5
; %bb.2:
	s_or_b64 exec, exec, s[28:29]
	v_cmp_gt_i32_e32 vcc, s36, v12
	s_and_saveexec_b64 s[28:29], vcc
	s_cbranch_execnz .LBB13_16
.LBB13_3:
	s_or_b64 exec, exec, s[28:29]
	v_cmp_gt_i32_e32 vcc, s36, v12
	s_and_saveexec_b64 s[28:29], vcc
	s_cbranch_execnz .LBB13_27
.LBB13_4:
	s_or_b64 exec, exec, s[28:29]
	v_cmp_gt_i32_e32 vcc, s36, v12
	s_and_saveexec_b64 s[28:29], vcc
	s_cbranch_execnz .LBB13_38
	s_branch .LBB13_49
.LBB13_5:
	s_andn2_b64 vcc, exec, s[6:7]
	s_cbranch_vccnz .LBB13_12
; %bb.6:
	s_andn2_b64 vcc, exec, s[26:27]
	v_mov_b32_e32 v2, 0
	v_mov_b32_e32 v4, 0
	;; [unrolled: 1-line block ×3, first 2 shown]
	s_cbranch_vccnz .LBB13_11
; %bb.7:
	s_add_i32 s30, s35, 1
	s_and_b32 s37, s30, 30
	s_add_u32 s30, s4, 0xffffffec
	s_addc_u32 s31, s5, -1
	v_mov_b32_e32 v0, 0
	v_mov_b32_e32 v1, v12
	v_mov_b32_e32 v4, 0
	v_mov_b32_e32 v2, 0
.LBB13_8:                               ; =>This Inner Loop Header: Depth=1
	s_mov_b64 s[38:39], s[30:31]
	s_load_dwordx4 s[40:43], s[38:39], 0x18
	s_load_dwordx2 s[48:49], s[38:39], 0x28
	s_load_dwordx2 s[50:51], s[38:39], 0xe8
	s_load_dwordx4 s[44:47], s[38:39], 0xd8
	s_add_u32 s30, s38, 24
	s_waitcnt lgkmcnt(0)
	v_mul_hi_u32 v3, s41, v1
	v_add_u32_e32 v3, v1, v3
	v_lshrrev_b32_e32 v3, s42, v3
	v_mul_lo_u32 v5, v3, s40
	v_mul_hi_u32 v6, s48, v3
	v_sub_u32_e32 v1, v1, v5
	v_add_u32_e32 v5, v3, v6
	v_mul_lo_u32 v6, v1, s44
	v_mul_lo_u32 v7, v1, s45
	;; [unrolled: 1-line block ×3, first 2 shown]
	v_lshrrev_b32_e32 v1, s49, v5
	v_mul_lo_u32 v5, v1, s43
	v_sub_u32_e32 v3, v3, v5
	s_addc_u32 s31, s39, 0
	s_add_i32 s37, s37, -2
	v_mul_lo_u32 v5, v3, s47
	v_mul_lo_u32 v9, v3, s50
	;; [unrolled: 1-line block ×3, first 2 shown]
	s_cmp_lg_u32 s37, 0
	v_add3_u32 v0, v6, v0, v5
	v_add3_u32 v2, v8, v2, v3
	;; [unrolled: 1-line block ×3, first 2 shown]
	s_cbranch_scc1 .LBB13_8
; %bb.9:
	s_bitcmp1_b32 s35, 0
	s_cselect_b64 s[38:39], -1, 0
	s_and_b64 vcc, exec, s[38:39]
	s_cbranch_vccnz .LBB13_11
; %bb.10:
	s_load_dwordx2 s[38:39], s[30:31], 0x18
	s_load_dword s37, s[30:31], 0x20
	s_load_dword s42, s[30:31], 0xe0
	s_load_dwordx2 s[40:41], s[30:31], 0xd8
	s_waitcnt lgkmcnt(0)
	v_mul_hi_u32 v3, s39, v1
	v_add_u32_e32 v3, v1, v3
	v_lshrrev_b32_e32 v3, s37, v3
	v_mul_lo_u32 v3, v3, s38
	v_sub_u32_e32 v3, v1, v3
	v_mad_u64_u32 v[0:1], s[30:31], v3, s40, v[0:1]
	v_mad_u64_u32 v[4:5], s[30:31], v3, s41, v[4:5]
	;; [unrolled: 1-line block ×3, first 2 shown]
.LBB13_11:
	s_cbranch_execz .LBB13_13
	s_branch .LBB13_15
.LBB13_12:
                                        ; implicit-def: $vgpr2
                                        ; implicit-def: $vgpr4
                                        ; implicit-def: $vgpr0
.LBB13_13:
	s_waitcnt lgkmcnt(0)
	v_mul_hi_u32 v0, s13, v12
	v_add_u32_e32 v0, v12, v0
	v_lshrrev_b32_e32 v1, s14, v0
	v_mul_lo_u32 v0, v1, s12
	v_sub_u32_e32 v3, v12, v0
	v_mul_lo_u32 v0, v3, s8
	v_mul_lo_u32 v2, v3, s10
	s_andn2_b64 vcc, exec, s[24:25]
	v_mul_lo_u32 v4, v3, s9
	s_cbranch_vccnz .LBB13_15
; %bb.14:
	v_mul_hi_u32 v3, s22, v1
	v_add_u32_e32 v3, v1, v3
	v_lshrrev_b32_e32 v3, s23, v3
	v_mul_lo_u32 v3, v3, s15
	v_sub_u32_e32 v3, v1, v3
	v_mad_u64_u32 v[0:1], s[30:31], v3, s11, v[0:1]
	v_mad_u64_u32 v[4:5], s[30:31], v3, s20, v[4:5]
	;; [unrolled: 1-line block ×3, first 2 shown]
.LBB13_15:
	s_waitcnt lgkmcnt(0)
	global_load_dword v1, v4, s[2:3]
	global_load_dword v3, v2, s[18:19]
	v_add_u32_e32 v12, 0x80, v12
	s_waitcnt vmcnt(1)
	v_cmp_lt_f32_e32 vcc, 0, v1
	s_waitcnt vmcnt(0)
	v_mul_f32_e32 v2, v1, v3
	v_cndmask_b32_e32 v1, v2, v1, vcc
	global_store_dword v0, v1, s[0:1]
	s_or_b64 exec, exec, s[28:29]
	v_cmp_gt_i32_e32 vcc, s36, v12
	s_and_saveexec_b64 s[28:29], vcc
	s_cbranch_execz .LBB13_3
.LBB13_16:
	s_andn2_b64 vcc, exec, s[6:7]
	s_cbranch_vccnz .LBB13_23
; %bb.17:
	s_andn2_b64 vcc, exec, s[26:27]
	v_mov_b32_e32 v2, 0
	v_mov_b32_e32 v4, 0
	;; [unrolled: 1-line block ×3, first 2 shown]
	s_cbranch_vccnz .LBB13_22
; %bb.18:
	s_add_i32 s30, s35, 1
	s_and_b32 s37, s30, 30
	s_add_u32 s30, s4, 0xffffffec
	s_addc_u32 s31, s5, -1
	v_mov_b32_e32 v0, 0
	v_mov_b32_e32 v1, v12
	;; [unrolled: 1-line block ×4, first 2 shown]
.LBB13_19:                              ; =>This Inner Loop Header: Depth=1
	s_mov_b64 s[38:39], s[30:31]
	s_load_dwordx4 s[40:43], s[38:39], 0x18
	s_load_dwordx2 s[48:49], s[38:39], 0x28
	s_load_dwordx2 s[50:51], s[38:39], 0xe8
	s_load_dwordx4 s[44:47], s[38:39], 0xd8
	s_add_u32 s30, s38, 24
	s_waitcnt lgkmcnt(0)
	v_mul_hi_u32 v3, s41, v1
	v_add_u32_e32 v3, v1, v3
	v_lshrrev_b32_e32 v3, s42, v3
	v_mul_lo_u32 v5, v3, s40
	v_mul_hi_u32 v6, s48, v3
	v_sub_u32_e32 v1, v1, v5
	v_add_u32_e32 v5, v3, v6
	v_mul_lo_u32 v6, v1, s44
	v_mul_lo_u32 v7, v1, s45
	;; [unrolled: 1-line block ×3, first 2 shown]
	v_lshrrev_b32_e32 v1, s49, v5
	v_mul_lo_u32 v5, v1, s43
	v_sub_u32_e32 v3, v3, v5
	s_addc_u32 s31, s39, 0
	s_add_i32 s37, s37, -2
	v_mul_lo_u32 v5, v3, s47
	v_mul_lo_u32 v9, v3, s50
	;; [unrolled: 1-line block ×3, first 2 shown]
	s_cmp_eq_u32 s37, 0
	v_add3_u32 v0, v6, v0, v5
	v_add3_u32 v2, v8, v2, v3
	;; [unrolled: 1-line block ×3, first 2 shown]
	s_cbranch_scc0 .LBB13_19
; %bb.20:
	s_bitcmp1_b32 s35, 0
	s_cselect_b64 s[38:39], -1, 0
	s_and_b64 vcc, exec, s[38:39]
	s_cbranch_vccnz .LBB13_22
; %bb.21:
	s_load_dwordx2 s[38:39], s[30:31], 0x18
	s_load_dword s37, s[30:31], 0x20
	s_load_dword s42, s[30:31], 0xe0
	s_load_dwordx2 s[40:41], s[30:31], 0xd8
	s_waitcnt lgkmcnt(0)
	v_mul_hi_u32 v3, s39, v1
	v_add_u32_e32 v3, v1, v3
	v_lshrrev_b32_e32 v3, s37, v3
	v_mul_lo_u32 v3, v3, s38
	v_sub_u32_e32 v3, v1, v3
	v_mad_u64_u32 v[0:1], s[30:31], v3, s40, v[0:1]
	v_mad_u64_u32 v[4:5], s[30:31], v3, s41, v[4:5]
	;; [unrolled: 1-line block ×3, first 2 shown]
.LBB13_22:
	s_cbranch_execz .LBB13_24
	s_branch .LBB13_26
.LBB13_23:
                                        ; implicit-def: $vgpr2
                                        ; implicit-def: $vgpr4
                                        ; implicit-def: $vgpr0
.LBB13_24:
	s_waitcnt lgkmcnt(0)
	v_mul_hi_u32 v0, s13, v12
	v_add_u32_e32 v0, v12, v0
	v_lshrrev_b32_e32 v1, s14, v0
	v_mul_lo_u32 v0, v1, s12
	v_sub_u32_e32 v3, v12, v0
	v_mul_lo_u32 v0, v3, s8
	v_mul_lo_u32 v2, v3, s10
	s_andn2_b64 vcc, exec, s[24:25]
	v_mul_lo_u32 v4, v3, s9
	s_cbranch_vccnz .LBB13_26
; %bb.25:
	v_mul_hi_u32 v3, s22, v1
	v_add_u32_e32 v3, v1, v3
	v_lshrrev_b32_e32 v3, s23, v3
	v_mul_lo_u32 v3, v3, s15
	v_sub_u32_e32 v3, v1, v3
	v_mad_u64_u32 v[0:1], s[30:31], v3, s11, v[0:1]
	v_mad_u64_u32 v[4:5], s[30:31], v3, s20, v[4:5]
	;; [unrolled: 1-line block ×3, first 2 shown]
.LBB13_26:
	s_waitcnt lgkmcnt(0)
	global_load_dword v1, v4, s[2:3]
	global_load_dword v3, v2, s[18:19]
	v_add_u32_e32 v12, 0x80, v12
	s_waitcnt vmcnt(1)
	v_cmp_lt_f32_e32 vcc, 0, v1
	s_waitcnt vmcnt(0)
	v_mul_f32_e32 v2, v1, v3
	v_cndmask_b32_e32 v1, v2, v1, vcc
	global_store_dword v0, v1, s[0:1]
	s_or_b64 exec, exec, s[28:29]
	v_cmp_gt_i32_e32 vcc, s36, v12
	s_and_saveexec_b64 s[28:29], vcc
	s_cbranch_execz .LBB13_4
.LBB13_27:
	s_andn2_b64 vcc, exec, s[6:7]
	s_cbranch_vccnz .LBB13_34
; %bb.28:
	s_andn2_b64 vcc, exec, s[26:27]
	v_mov_b32_e32 v2, 0
	v_mov_b32_e32 v4, 0
	;; [unrolled: 1-line block ×3, first 2 shown]
	s_cbranch_vccnz .LBB13_33
; %bb.29:
	s_add_i32 s30, s35, 1
	s_and_b32 s37, s30, 30
	s_add_u32 s30, s4, 0xffffffec
	s_addc_u32 s31, s5, -1
	v_mov_b32_e32 v0, 0
	v_mov_b32_e32 v1, v12
	;; [unrolled: 1-line block ×4, first 2 shown]
.LBB13_30:                              ; =>This Inner Loop Header: Depth=1
	s_mov_b64 s[38:39], s[30:31]
	s_load_dwordx4 s[40:43], s[38:39], 0x18
	s_load_dwordx2 s[48:49], s[38:39], 0x28
	s_load_dwordx2 s[50:51], s[38:39], 0xe8
	s_load_dwordx4 s[44:47], s[38:39], 0xd8
	s_add_u32 s30, s38, 24
	s_waitcnt lgkmcnt(0)
	v_mul_hi_u32 v3, s41, v1
	v_add_u32_e32 v3, v1, v3
	v_lshrrev_b32_e32 v3, s42, v3
	v_mul_lo_u32 v5, v3, s40
	v_mul_hi_u32 v6, s48, v3
	v_sub_u32_e32 v1, v1, v5
	v_add_u32_e32 v5, v3, v6
	v_mul_lo_u32 v6, v1, s44
	v_mul_lo_u32 v7, v1, s45
	;; [unrolled: 1-line block ×3, first 2 shown]
	v_lshrrev_b32_e32 v1, s49, v5
	v_mul_lo_u32 v5, v1, s43
	v_sub_u32_e32 v3, v3, v5
	s_addc_u32 s31, s39, 0
	s_add_i32 s37, s37, -2
	v_mul_lo_u32 v5, v3, s47
	v_mul_lo_u32 v9, v3, s50
	;; [unrolled: 1-line block ×3, first 2 shown]
	s_cmp_eq_u32 s37, 0
	v_add3_u32 v0, v6, v0, v5
	v_add3_u32 v2, v8, v2, v3
	v_add3_u32 v4, v7, v4, v9
	s_cbranch_scc0 .LBB13_30
; %bb.31:
	s_bitcmp1_b32 s35, 0
	s_cselect_b64 s[38:39], -1, 0
	s_and_b64 vcc, exec, s[38:39]
	s_cbranch_vccnz .LBB13_33
; %bb.32:
	s_load_dwordx2 s[38:39], s[30:31], 0x18
	s_load_dword s37, s[30:31], 0x20
	s_load_dword s42, s[30:31], 0xe0
	s_load_dwordx2 s[40:41], s[30:31], 0xd8
	s_waitcnt lgkmcnt(0)
	v_mul_hi_u32 v3, s39, v1
	v_add_u32_e32 v3, v1, v3
	v_lshrrev_b32_e32 v3, s37, v3
	v_mul_lo_u32 v3, v3, s38
	v_sub_u32_e32 v3, v1, v3
	v_mad_u64_u32 v[0:1], s[30:31], v3, s40, v[0:1]
	v_mad_u64_u32 v[4:5], s[30:31], v3, s41, v[4:5]
	;; [unrolled: 1-line block ×3, first 2 shown]
.LBB13_33:
	s_cbranch_execz .LBB13_35
	s_branch .LBB13_37
.LBB13_34:
                                        ; implicit-def: $vgpr2
                                        ; implicit-def: $vgpr4
                                        ; implicit-def: $vgpr0
.LBB13_35:
	s_waitcnt lgkmcnt(0)
	v_mul_hi_u32 v0, s13, v12
	v_add_u32_e32 v0, v12, v0
	v_lshrrev_b32_e32 v1, s14, v0
	v_mul_lo_u32 v0, v1, s12
	v_sub_u32_e32 v3, v12, v0
	v_mul_lo_u32 v0, v3, s8
	v_mul_lo_u32 v2, v3, s10
	s_andn2_b64 vcc, exec, s[24:25]
	v_mul_lo_u32 v4, v3, s9
	s_cbranch_vccnz .LBB13_37
; %bb.36:
	v_mul_hi_u32 v3, s22, v1
	v_add_u32_e32 v3, v1, v3
	v_lshrrev_b32_e32 v3, s23, v3
	v_mul_lo_u32 v3, v3, s15
	v_sub_u32_e32 v3, v1, v3
	v_mad_u64_u32 v[0:1], s[30:31], v3, s11, v[0:1]
	v_mad_u64_u32 v[4:5], s[30:31], v3, s20, v[4:5]
	;; [unrolled: 1-line block ×3, first 2 shown]
.LBB13_37:
	s_waitcnt lgkmcnt(0)
	global_load_dword v1, v4, s[2:3]
	global_load_dword v3, v2, s[18:19]
	v_add_u32_e32 v12, 0x80, v12
	s_waitcnt vmcnt(1)
	v_cmp_lt_f32_e32 vcc, 0, v1
	s_waitcnt vmcnt(0)
	v_mul_f32_e32 v2, v1, v3
	v_cndmask_b32_e32 v1, v2, v1, vcc
	global_store_dword v0, v1, s[0:1]
	s_or_b64 exec, exec, s[28:29]
	v_cmp_gt_i32_e32 vcc, s36, v12
	s_and_saveexec_b64 s[28:29], vcc
	s_cbranch_execz .LBB13_49
.LBB13_38:
	s_andn2_b64 vcc, exec, s[6:7]
	s_cbranch_vccnz .LBB13_45
; %bb.39:
	s_andn2_b64 vcc, exec, s[26:27]
	v_mov_b32_e32 v2, 0
	v_mov_b32_e32 v4, 0
	;; [unrolled: 1-line block ×3, first 2 shown]
	s_cbranch_vccnz .LBB13_44
; %bb.40:
	s_add_i32 s26, s35, 1
	s_and_b32 s30, s26, 30
	s_add_u32 s26, s4, 0xffffffec
	s_addc_u32 s27, s5, -1
	v_mov_b32_e32 v0, 0
	v_mov_b32_e32 v1, v12
	;; [unrolled: 1-line block ×4, first 2 shown]
.LBB13_41:                              ; =>This Inner Loop Header: Depth=1
	s_mov_b64 s[44:45], s[26:27]
	s_load_dwordx4 s[36:39], s[44:45], 0x18
	s_load_dwordx2 s[46:47], s[44:45], 0x28
	s_load_dwordx2 s[48:49], s[44:45], 0xe8
	s_load_dwordx4 s[40:43], s[44:45], 0xd8
	s_add_u32 s26, s44, 24
	s_waitcnt lgkmcnt(0)
	v_mul_hi_u32 v3, s37, v1
	v_add_u32_e32 v3, v1, v3
	v_lshrrev_b32_e32 v3, s38, v3
	v_mul_lo_u32 v5, v3, s36
	v_mul_hi_u32 v6, s46, v3
	v_sub_u32_e32 v1, v1, v5
	v_add_u32_e32 v5, v3, v6
	v_mul_lo_u32 v6, v1, s40
	v_mul_lo_u32 v7, v1, s41
	v_mul_lo_u32 v8, v1, s42
	v_lshrrev_b32_e32 v1, s47, v5
	v_mul_lo_u32 v5, v1, s39
	v_sub_u32_e32 v3, v3, v5
	s_addc_u32 s27, s45, 0
	s_add_i32 s30, s30, -2
	v_mul_lo_u32 v5, v3, s43
	v_mul_lo_u32 v9, v3, s48
	;; [unrolled: 1-line block ×3, first 2 shown]
	s_cmp_eq_u32 s30, 0
	v_add3_u32 v0, v6, v0, v5
	v_add3_u32 v2, v8, v2, v3
	;; [unrolled: 1-line block ×3, first 2 shown]
	s_cbranch_scc0 .LBB13_41
; %bb.42:
	s_bitcmp1_b32 s35, 0
	s_cselect_b64 s[30:31], -1, 0
	s_and_b64 vcc, exec, s[30:31]
	s_cbranch_vccnz .LBB13_44
; %bb.43:
	s_load_dwordx2 s[30:31], s[26:27], 0x18
	s_load_dword s35, s[26:27], 0x20
	s_load_dword s38, s[26:27], 0xe0
	s_load_dwordx2 s[36:37], s[26:27], 0xd8
	s_waitcnt lgkmcnt(0)
	v_mul_hi_u32 v3, s31, v1
	v_add_u32_e32 v3, v1, v3
	v_lshrrev_b32_e32 v3, s35, v3
	v_mul_lo_u32 v3, v3, s30
	v_sub_u32_e32 v3, v1, v3
	v_mad_u64_u32 v[0:1], s[26:27], v3, s36, v[0:1]
	v_mad_u64_u32 v[4:5], s[26:27], v3, s37, v[4:5]
	v_mad_u64_u32 v[2:3], s[26:27], v3, s38, v[2:3]
.LBB13_44:
	s_cbranch_execz .LBB13_46
	s_branch .LBB13_48
.LBB13_45:
                                        ; implicit-def: $vgpr2
                                        ; implicit-def: $vgpr4
                                        ; implicit-def: $vgpr0
.LBB13_46:
	s_waitcnt lgkmcnt(0)
	v_mul_hi_u32 v0, s13, v12
	v_add_u32_e32 v0, v12, v0
	v_lshrrev_b32_e32 v1, s14, v0
	v_mul_lo_u32 v0, v1, s12
	v_sub_u32_e32 v3, v12, v0
	v_mul_lo_u32 v0, v3, s8
	v_mul_lo_u32 v2, v3, s10
	s_andn2_b64 vcc, exec, s[24:25]
	v_mul_lo_u32 v4, v3, s9
	s_cbranch_vccnz .LBB13_48
; %bb.47:
	v_mul_hi_u32 v3, s22, v1
	v_add_u32_e32 v3, v1, v3
	v_lshrrev_b32_e32 v3, s23, v3
	v_mul_lo_u32 v3, v3, s15
	v_sub_u32_e32 v3, v1, v3
	v_mad_u64_u32 v[0:1], s[8:9], v3, s11, v[0:1]
	v_mad_u64_u32 v[4:5], s[8:9], v3, s20, v[4:5]
	v_mad_u64_u32 v[2:3], s[8:9], v3, s21, v[2:3]
.LBB13_48:
	s_waitcnt lgkmcnt(0)
	global_load_dword v1, v4, s[2:3]
	global_load_dword v3, v2, s[18:19]
	s_waitcnt vmcnt(1)
	v_cmp_lt_f32_e32 vcc, 0, v1
	s_waitcnt vmcnt(0)
	v_mul_f32_e32 v2, v1, v3
	v_cndmask_b32_e32 v1, v2, v1, vcc
	global_store_dword v0, v1, s[0:1]
.LBB13_49:
	s_or_b64 exec, exec, s[28:29]
                                        ; implicit-def: $vgpr24
                                        ; implicit-def: $vgpr12
.LBB13_50:
	s_waitcnt lgkmcnt(0)
	s_andn2_saveexec_b64 s[0:1], s[16:17]
	s_cbranch_execz .LBB13_57
; %bb.51:
	v_cndmask_b32_e64 v0, 0, 1, s[6:7]
	v_cmp_ne_u32_e64 s[0:1], 1, v0
	s_andn2_b64 vcc, exec, s[6:7]
	s_cbranch_vccnz .LBB13_58
; %bb.52:
	s_cmp_lg_u32 s33, 0
	v_mov_b32_e32 v2, 0
	v_mov_b32_e32 v4, 0
	;; [unrolled: 1-line block ×3, first 2 shown]
	s_cbranch_scc0 .LBB13_59
; %bb.53:
	s_min_u32 s6, s34, 15
	s_add_i32 s2, s6, 1
	s_and_b32 s7, s2, 30
	s_add_u32 s2, s4, 0xffffffec
	s_addc_u32 s3, s5, -1
	v_mov_b32_e32 v0, 0
	v_mov_b32_e32 v1, v12
	;; [unrolled: 1-line block ×4, first 2 shown]
.LBB13_54:                              ; =>This Inner Loop Header: Depth=1
	s_mov_b64 s[16:17], s[2:3]
	s_load_dwordx4 s[8:11], s[16:17], 0x18
	s_load_dwordx2 s[18:19], s[16:17], 0x28
	s_load_dwordx2 s[20:21], s[16:17], 0xe8
	s_load_dwordx4 s[12:15], s[16:17], 0xd8
	s_add_u32 s2, s16, 24
	s_waitcnt lgkmcnt(0)
	v_mul_hi_u32 v3, s9, v1
	v_add_u32_e32 v3, v1, v3
	v_lshrrev_b32_e32 v3, s10, v3
	v_mul_lo_u32 v5, v3, s8
	v_mul_hi_u32 v6, s18, v3
	v_sub_u32_e32 v1, v1, v5
	v_add_u32_e32 v5, v3, v6
	v_mul_lo_u32 v6, v1, s12
	v_mul_lo_u32 v7, v1, s13
	;; [unrolled: 1-line block ×3, first 2 shown]
	v_lshrrev_b32_e32 v1, s19, v5
	v_mul_lo_u32 v5, v1, s11
	v_sub_u32_e32 v3, v3, v5
	s_addc_u32 s3, s17, 0
	s_add_i32 s7, s7, -2
	v_mul_lo_u32 v5, v3, s15
	v_mul_lo_u32 v9, v3, s20
	v_mul_lo_u32 v3, v3, s21
	s_cmp_lg_u32 s7, 0
	v_add3_u32 v0, v6, v0, v5
	v_add3_u32 v2, v8, v2, v3
	;; [unrolled: 1-line block ×3, first 2 shown]
	s_cbranch_scc1 .LBB13_54
; %bb.55:
	s_bitcmp1_b32 s6, 0
	s_cselect_b64 s[6:7], -1, 0
	s_and_b64 vcc, exec, s[6:7]
	s_cbranch_vccnz .LBB13_59
; %bb.56:
	s_load_dwordx2 s[6:7], s[2:3], 0x18
	s_load_dword s10, s[2:3], 0x20
	s_load_dword s11, s[2:3], 0xe0
	s_load_dwordx2 s[8:9], s[2:3], 0xd8
	s_waitcnt lgkmcnt(0)
	v_mul_hi_u32 v3, s7, v1
	v_add_u32_e32 v3, v1, v3
	v_lshrrev_b32_e32 v3, s10, v3
	v_mul_lo_u32 v3, v3, s6
	v_sub_u32_e32 v3, v1, v3
	v_mad_u64_u32 v[0:1], s[2:3], v3, s8, v[0:1]
	v_mad_u64_u32 v[4:5], s[2:3], v3, s9, v[4:5]
	;; [unrolled: 1-line block ×3, first 2 shown]
	s_cbranch_execz .LBB13_60
	s_branch .LBB13_62
.LBB13_57:
	s_endpgm
.LBB13_58:
                                        ; implicit-def: $vgpr2
                                        ; implicit-def: $vgpr4
                                        ; implicit-def: $vgpr0
	s_branch .LBB13_60
.LBB13_59:
	s_cbranch_execnz .LBB13_62
.LBB13_60:
	s_load_dwordx4 s[8:11], s[4:5], 0x4
	s_load_dwordx4 s[12:15], s[4:5], 0xc4
	s_cmp_lt_u32 s33, 2
	s_waitcnt lgkmcnt(0)
	v_mul_hi_u32 v0, s9, v12
	v_add_u32_e32 v0, v12, v0
	v_lshrrev_b32_e32 v1, s10, v0
	v_mul_lo_u32 v0, v1, s8
	v_sub_u32_e32 v3, v12, v0
	v_mul_lo_u32 v0, v3, s12
	v_mul_lo_u32 v2, v3, s14
	;; [unrolled: 1-line block ×3, first 2 shown]
	s_cbranch_scc1 .LBB13_62
; %bb.61:
	s_load_dwordx4 s[8:11], s[4:5], 0x10
	s_load_dwordx4 s[12:15], s[4:5], 0xd0
	s_waitcnt lgkmcnt(0)
	v_mul_hi_u32 v3, s9, v1
	v_add_u32_e32 v3, v1, v3
	v_lshrrev_b32_e32 v3, s10, v3
	v_mul_lo_u32 v3, v3, s8
	v_sub_u32_e32 v3, v1, v3
	v_mad_u64_u32 v[0:1], s[2:3], v3, s12, v[0:1]
	v_mad_u64_u32 v[4:5], s[2:3], v3, s13, v[4:5]
	;; [unrolled: 1-line block ×3, first 2 shown]
.LBB13_62:
	s_and_b64 vcc, exec, s[0:1]
	v_add_u32_e32 v1, 0x80, v12
	s_cbranch_vccnz .LBB13_68
; %bb.63:
	s_cmp_lg_u32 s33, 0
	v_mov_b32_e32 v8, 0
	v_mov_b32_e32 v10, 0
	;; [unrolled: 1-line block ×3, first 2 shown]
	s_cbranch_scc0 .LBB13_69
; %bb.64:
	s_min_u32 s6, s34, 15
	s_add_i32 s2, s6, 1
	s_and_b32 s7, s2, 30
	s_add_u32 s2, s4, 0xffffffec
	s_addc_u32 s3, s5, -1
	v_mov_b32_e32 v6, 0
	v_mov_b32_e32 v3, v1
	;; [unrolled: 1-line block ×4, first 2 shown]
.LBB13_65:                              ; =>This Inner Loop Header: Depth=1
	s_mov_b64 s[16:17], s[2:3]
	s_load_dwordx4 s[8:11], s[16:17], 0x18
	s_load_dwordx2 s[18:19], s[16:17], 0x28
	s_load_dwordx2 s[20:21], s[16:17], 0xe8
	s_load_dwordx4 s[12:15], s[16:17], 0xd8
	s_add_u32 s2, s16, 24
	s_waitcnt lgkmcnt(0)
	v_mul_hi_u32 v5, s9, v3
	v_add_u32_e32 v5, v3, v5
	v_lshrrev_b32_e32 v5, s10, v5
	v_mul_lo_u32 v7, v5, s8
	v_mul_hi_u32 v9, s18, v5
	v_sub_u32_e32 v3, v3, v7
	v_add_u32_e32 v7, v5, v9
	v_mul_lo_u32 v9, v3, s12
	v_mul_lo_u32 v11, v3, s13
	;; [unrolled: 1-line block ×3, first 2 shown]
	v_lshrrev_b32_e32 v3, s19, v7
	v_mul_lo_u32 v7, v3, s11
	v_sub_u32_e32 v5, v5, v7
	s_addc_u32 s3, s17, 0
	s_add_i32 s7, s7, -2
	v_mul_lo_u32 v7, v5, s15
	v_mul_lo_u32 v14, v5, s20
	v_mul_lo_u32 v5, v5, s21
	s_cmp_lg_u32 s7, 0
	v_add3_u32 v6, v9, v6, v7
	v_add3_u32 v8, v13, v8, v5
	;; [unrolled: 1-line block ×3, first 2 shown]
	s_cbranch_scc1 .LBB13_65
; %bb.66:
	s_bitcmp1_b32 s6, 0
	s_cselect_b64 s[6:7], -1, 0
	s_and_b64 vcc, exec, s[6:7]
	s_cbranch_vccnz .LBB13_69
; %bb.67:
	s_load_dwordx2 s[6:7], s[2:3], 0x18
	s_load_dword s10, s[2:3], 0x20
	s_load_dword s11, s[2:3], 0xe0
	s_load_dwordx2 s[8:9], s[2:3], 0xd8
	s_waitcnt lgkmcnt(0)
	v_mul_hi_u32 v5, s7, v3
	v_add_u32_e32 v5, v3, v5
	v_lshrrev_b32_e32 v5, s10, v5
	v_mul_lo_u32 v5, v5, s6
	v_sub_u32_e32 v3, v3, v5
	v_mad_u64_u32 v[6:7], s[2:3], v3, s8, v[6:7]
	v_mad_u64_u32 v[10:11], s[2:3], v3, s9, v[10:11]
	;; [unrolled: 1-line block ×3, first 2 shown]
	s_cbranch_execz .LBB13_70
	s_branch .LBB13_72
.LBB13_68:
                                        ; implicit-def: $vgpr8
                                        ; implicit-def: $vgpr10
                                        ; implicit-def: $vgpr6
	s_branch .LBB13_70
.LBB13_69:
	s_cbranch_execnz .LBB13_72
.LBB13_70:
	s_load_dwordx4 s[8:11], s[4:5], 0x4
	s_load_dwordx4 s[12:15], s[4:5], 0xc4
	s_cmp_lt_u32 s33, 2
	s_waitcnt lgkmcnt(0)
	v_mul_hi_u32 v3, s9, v1
	v_add_u32_e32 v3, v1, v3
	v_lshrrev_b32_e32 v3, s10, v3
	v_mul_lo_u32 v5, v3, s8
	v_sub_u32_e32 v1, v1, v5
	v_mul_lo_u32 v6, v1, s12
	v_mul_lo_u32 v8, v1, s14
	;; [unrolled: 1-line block ×3, first 2 shown]
	s_cbranch_scc1 .LBB13_72
; %bb.71:
	s_load_dwordx4 s[8:11], s[4:5], 0x10
	s_load_dwordx4 s[12:15], s[4:5], 0xd0
	s_waitcnt lgkmcnt(0)
	v_mul_hi_u32 v1, s9, v3
	v_add_u32_e32 v1, v3, v1
	v_lshrrev_b32_e32 v1, s10, v1
	v_mul_lo_u32 v1, v1, s8
	v_sub_u32_e32 v1, v3, v1
	v_mad_u64_u32 v[6:7], s[2:3], v1, s12, v[6:7]
	v_mad_u64_u32 v[10:11], s[2:3], v1, s13, v[10:11]
	;; [unrolled: 1-line block ×3, first 2 shown]
.LBB13_72:
	s_and_b64 vcc, exec, s[0:1]
	v_add_u32_e32 v1, 0x100, v12
	s_cbranch_vccnz .LBB13_78
; %bb.73:
	s_cmp_lg_u32 s33, 0
	v_mov_b32_e32 v14, 0
	v_mov_b32_e32 v16, 0
	;; [unrolled: 1-line block ×3, first 2 shown]
	s_cbranch_scc0 .LBB13_79
; %bb.74:
	s_min_u32 s6, s34, 15
	s_add_i32 s2, s6, 1
	s_and_b32 s7, s2, 30
	s_add_u32 s2, s4, 0xffffffec
	s_addc_u32 s3, s5, -1
	v_mov_b32_e32 v12, 0
	v_mov_b32_e32 v3, v1
	;; [unrolled: 1-line block ×4, first 2 shown]
.LBB13_75:                              ; =>This Inner Loop Header: Depth=1
	s_mov_b64 s[16:17], s[2:3]
	s_load_dwordx4 s[8:11], s[16:17], 0x18
	s_load_dwordx2 s[18:19], s[16:17], 0x28
	s_load_dwordx2 s[20:21], s[16:17], 0xe8
	s_load_dwordx4 s[12:15], s[16:17], 0xd8
	s_add_u32 s2, s16, 24
	s_waitcnt lgkmcnt(0)
	v_mul_hi_u32 v5, s9, v3
	v_add_u32_e32 v5, v3, v5
	v_lshrrev_b32_e32 v5, s10, v5
	v_mul_lo_u32 v7, v5, s8
	v_mul_hi_u32 v9, s18, v5
	v_sub_u32_e32 v3, v3, v7
	v_add_u32_e32 v7, v5, v9
	v_mul_lo_u32 v9, v3, s12
	v_mul_lo_u32 v11, v3, s13
	v_mul_lo_u32 v13, v3, s14
	v_lshrrev_b32_e32 v3, s19, v7
	v_mul_lo_u32 v7, v3, s11
	v_sub_u32_e32 v5, v5, v7
	s_addc_u32 s3, s17, 0
	s_add_i32 s7, s7, -2
	v_mul_lo_u32 v7, v5, s15
	v_mul_lo_u32 v15, v5, s20
	;; [unrolled: 1-line block ×3, first 2 shown]
	s_cmp_lg_u32 s7, 0
	v_add3_u32 v12, v9, v12, v7
	v_add3_u32 v14, v13, v14, v5
	;; [unrolled: 1-line block ×3, first 2 shown]
	s_cbranch_scc1 .LBB13_75
; %bb.76:
	s_bitcmp1_b32 s6, 0
	s_cselect_b64 s[6:7], -1, 0
	s_and_b64 vcc, exec, s[6:7]
	s_cbranch_vccnz .LBB13_79
; %bb.77:
	s_load_dwordx2 s[6:7], s[2:3], 0x18
	s_load_dword s10, s[2:3], 0x20
	s_load_dword s11, s[2:3], 0xe0
	s_load_dwordx2 s[8:9], s[2:3], 0xd8
	s_waitcnt lgkmcnt(0)
	v_mul_hi_u32 v5, s7, v3
	v_add_u32_e32 v5, v3, v5
	v_lshrrev_b32_e32 v5, s10, v5
	v_mul_lo_u32 v5, v5, s6
	v_sub_u32_e32 v3, v3, v5
	v_mad_u64_u32 v[12:13], s[2:3], v3, s8, v[12:13]
	v_mad_u64_u32 v[16:17], s[2:3], v3, s9, v[16:17]
	;; [unrolled: 1-line block ×3, first 2 shown]
	s_cbranch_execz .LBB13_80
	s_branch .LBB13_82
.LBB13_78:
                                        ; implicit-def: $vgpr14
                                        ; implicit-def: $vgpr16
                                        ; implicit-def: $vgpr12
	s_branch .LBB13_80
.LBB13_79:
	s_cbranch_execnz .LBB13_82
.LBB13_80:
	s_load_dwordx4 s[8:11], s[4:5], 0x4
	s_load_dwordx4 s[12:15], s[4:5], 0xc4
	s_cmp_lt_u32 s33, 2
	s_waitcnt lgkmcnt(0)
	v_mul_hi_u32 v3, s9, v1
	v_add_u32_e32 v3, v1, v3
	v_lshrrev_b32_e32 v3, s10, v3
	v_mul_lo_u32 v5, v3, s8
	v_sub_u32_e32 v1, v1, v5
	v_mul_lo_u32 v12, v1, s12
	v_mul_lo_u32 v14, v1, s14
	;; [unrolled: 1-line block ×3, first 2 shown]
	s_cbranch_scc1 .LBB13_82
; %bb.81:
	s_load_dwordx4 s[8:11], s[4:5], 0x10
	s_load_dwordx4 s[12:15], s[4:5], 0xd0
	s_waitcnt lgkmcnt(0)
	v_mul_hi_u32 v1, s9, v3
	v_add_u32_e32 v1, v3, v1
	v_lshrrev_b32_e32 v1, s10, v1
	v_mul_lo_u32 v1, v1, s8
	v_sub_u32_e32 v1, v3, v1
	v_mad_u64_u32 v[12:13], s[2:3], v1, s12, v[12:13]
	v_mad_u64_u32 v[16:17], s[2:3], v1, s13, v[16:17]
	;; [unrolled: 1-line block ×3, first 2 shown]
.LBB13_82:
	s_and_b64 vcc, exec, s[0:1]
	s_cbranch_vccnz .LBB13_88
; %bb.83:
	s_cmp_lg_u32 s33, 0
	v_mov_b32_e32 v22, 0
	v_mov_b32_e32 v20, 0
	;; [unrolled: 1-line block ×3, first 2 shown]
	s_cbranch_scc0 .LBB13_89
; %bb.84:
	s_min_u32 s2, s34, 15
	s_add_i32 s0, s2, 1
	s_and_b32 s3, s0, 30
	s_add_u32 s0, s4, 0xffffffec
	s_addc_u32 s1, s5, -1
	v_mov_b32_e32 v18, 0
	v_mov_b32_e32 v1, v24
	v_mov_b32_e32 v20, 0
	v_mov_b32_e32 v22, 0
.LBB13_85:                              ; =>This Inner Loop Header: Depth=1
	s_mov_b64 s[6:7], s[0:1]
	s_load_dwordx4 s[8:11], s[6:7], 0x18
	s_load_dwordx2 s[16:17], s[6:7], 0x28
	s_load_dwordx2 s[18:19], s[6:7], 0xe8
	s_load_dwordx4 s[12:15], s[6:7], 0xd8
	s_add_u32 s0, s6, 24
	s_waitcnt lgkmcnt(0)
	v_mul_hi_u32 v3, s9, v1
	v_add_u32_e32 v3, v1, v3
	v_lshrrev_b32_e32 v3, s10, v3
	v_mul_lo_u32 v5, v3, s8
	v_mul_hi_u32 v7, s16, v3
	v_sub_u32_e32 v1, v1, v5
	v_add_u32_e32 v5, v3, v7
	v_mul_lo_u32 v7, v1, s12
	v_mul_lo_u32 v9, v1, s13
	;; [unrolled: 1-line block ×3, first 2 shown]
	v_lshrrev_b32_e32 v1, s17, v5
	v_mul_lo_u32 v5, v1, s11
	v_sub_u32_e32 v3, v3, v5
	s_addc_u32 s1, s7, 0
	s_add_i32 s3, s3, -2
	v_mul_lo_u32 v5, v3, s15
	v_mul_lo_u32 v13, v3, s18
	;; [unrolled: 1-line block ×3, first 2 shown]
	s_cmp_lg_u32 s3, 0
	v_add3_u32 v18, v7, v18, v5
	v_add3_u32 v22, v11, v22, v3
	;; [unrolled: 1-line block ×3, first 2 shown]
	s_cbranch_scc1 .LBB13_85
; %bb.86:
	s_bitcmp1_b32 s2, 0
	s_cselect_b64 s[2:3], -1, 0
	s_and_b64 vcc, exec, s[2:3]
	s_cbranch_vccnz .LBB13_89
; %bb.87:
	s_load_dwordx2 s[2:3], s[0:1], 0x18
	s_load_dword s8, s[0:1], 0x20
	s_load_dword s9, s[0:1], 0xe0
	s_load_dwordx2 s[6:7], s[0:1], 0xd8
	s_waitcnt lgkmcnt(0)
	v_mul_hi_u32 v3, s3, v1
	v_add_u32_e32 v3, v1, v3
	v_lshrrev_b32_e32 v3, s8, v3
	v_mul_lo_u32 v3, v3, s2
	v_sub_u32_e32 v1, v1, v3
	v_mad_u64_u32 v[18:19], s[0:1], v1, s6, v[18:19]
	v_mad_u64_u32 v[20:21], s[0:1], v1, s7, v[20:21]
	;; [unrolled: 1-line block ×3, first 2 shown]
	s_cbranch_execz .LBB13_90
	s_branch .LBB13_92
.LBB13_88:
                                        ; implicit-def: $vgpr22
                                        ; implicit-def: $vgpr20
                                        ; implicit-def: $vgpr18
	s_branch .LBB13_90
.LBB13_89:
	s_cbranch_execnz .LBB13_92
.LBB13_90:
	s_load_dwordx4 s[0:3], s[4:5], 0x4
	s_load_dwordx4 s[8:11], s[4:5], 0xc4
	s_cmp_lt_u32 s33, 2
	s_waitcnt lgkmcnt(0)
	v_mul_hi_u32 v1, s1, v24
	v_add_u32_e32 v1, v24, v1
	v_lshrrev_b32_e32 v1, s2, v1
	v_mul_lo_u32 v3, v1, s0
	v_sub_u32_e32 v3, v24, v3
	v_mul_lo_u32 v18, v3, s8
	v_mul_lo_u32 v22, v3, s10
	;; [unrolled: 1-line block ×3, first 2 shown]
	s_cbranch_scc1 .LBB13_92
; %bb.91:
	s_load_dwordx4 s[0:3], s[4:5], 0x10
	s_load_dwordx4 s[8:11], s[4:5], 0xd0
	s_waitcnt lgkmcnt(0)
	v_mul_hi_u32 v3, s1, v1
	v_add_u32_e32 v3, v1, v3
	v_lshrrev_b32_e32 v3, s2, v3
	v_mul_lo_u32 v3, v3, s0
	v_sub_u32_e32 v1, v1, v3
	v_mad_u64_u32 v[18:19], s[0:1], v1, s8, v[18:19]
	v_mad_u64_u32 v[20:21], s[0:1], v1, s9, v[20:21]
	;; [unrolled: 1-line block ×3, first 2 shown]
.LBB13_92:
	s_load_dwordx4 s[0:3], s[4:5], 0x188
	s_load_dwordx2 s[6:7], s[4:5], 0x198
	s_waitcnt lgkmcnt(0)
	global_load_dword v1, v4, s[2:3]
	global_load_dword v3, v2, s[6:7]
	;; [unrolled: 1-line block ×8, first 2 shown]
	s_waitcnt vmcnt(7)
	v_cmp_lt_f32_e32 vcc, 0, v1
	s_waitcnt vmcnt(6)
	v_mul_f32_e32 v2, v1, v3
	v_cndmask_b32_e32 v1, v2, v1, vcc
	s_waitcnt vmcnt(4)
	v_mul_f32_e32 v3, v5, v7
	v_cmp_lt_f32_e32 vcc, 0, v5
	s_waitcnt vmcnt(2)
	v_mul_f32_e32 v4, v9, v11
	v_cndmask_b32_e32 v2, v3, v5, vcc
	v_cmp_lt_f32_e32 vcc, 0, v9
	s_waitcnt vmcnt(0)
	v_mul_f32_e32 v7, v13, v15
	v_cndmask_b32_e32 v3, v4, v9, vcc
	v_cmp_lt_f32_e32 vcc, 0, v13
	v_cndmask_b32_e32 v4, v7, v13, vcc
	global_store_dword v0, v1, s[0:1]
	global_store_dword v6, v2, s[0:1]
	;; [unrolled: 1-line block ×4, first 2 shown]
	s_endpgm
	.section	.rodata,"a",@progbits
	.p2align	6, 0x0
	.amdhsa_kernel _ZN2at6native32elementwise_kernel_manual_unrollILi128ELi4EZNS0_22gpu_kernel_impl_nocastIZZZNS0_12prelu_kernelERNS_14TensorIteratorEENKUlvE_clEvENKUlvE0_clEvEUlffE_EEvRNS_18TensorIteratorBaseERKT_EUlibE_EEviT1_
		.amdhsa_group_segment_fixed_size 0
		.amdhsa_private_segment_fixed_size 0
		.amdhsa_kernarg_size 432
		.amdhsa_user_sgpr_count 6
		.amdhsa_user_sgpr_private_segment_buffer 1
		.amdhsa_user_sgpr_dispatch_ptr 0
		.amdhsa_user_sgpr_queue_ptr 0
		.amdhsa_user_sgpr_kernarg_segment_ptr 1
		.amdhsa_user_sgpr_dispatch_id 0
		.amdhsa_user_sgpr_flat_scratch_init 0
		.amdhsa_user_sgpr_kernarg_preload_length 0
		.amdhsa_user_sgpr_kernarg_preload_offset 0
		.amdhsa_user_sgpr_private_segment_size 0
		.amdhsa_uses_dynamic_stack 0
		.amdhsa_system_sgpr_private_segment_wavefront_offset 0
		.amdhsa_system_sgpr_workgroup_id_x 1
		.amdhsa_system_sgpr_workgroup_id_y 0
		.amdhsa_system_sgpr_workgroup_id_z 0
		.amdhsa_system_sgpr_workgroup_info 0
		.amdhsa_system_vgpr_workitem_id 0
		.amdhsa_next_free_vgpr 25
		.amdhsa_next_free_sgpr 52
		.amdhsa_accum_offset 28
		.amdhsa_reserve_vcc 1
		.amdhsa_reserve_flat_scratch 0
		.amdhsa_float_round_mode_32 0
		.amdhsa_float_round_mode_16_64 0
		.amdhsa_float_denorm_mode_32 3
		.amdhsa_float_denorm_mode_16_64 3
		.amdhsa_dx10_clamp 1
		.amdhsa_ieee_mode 1
		.amdhsa_fp16_overflow 0
		.amdhsa_tg_split 0
		.amdhsa_exception_fp_ieee_invalid_op 0
		.amdhsa_exception_fp_denorm_src 0
		.amdhsa_exception_fp_ieee_div_zero 0
		.amdhsa_exception_fp_ieee_overflow 0
		.amdhsa_exception_fp_ieee_underflow 0
		.amdhsa_exception_fp_ieee_inexact 0
		.amdhsa_exception_int_div_zero 0
	.end_amdhsa_kernel
	.section	.text._ZN2at6native32elementwise_kernel_manual_unrollILi128ELi4EZNS0_22gpu_kernel_impl_nocastIZZZNS0_12prelu_kernelERNS_14TensorIteratorEENKUlvE_clEvENKUlvE0_clEvEUlffE_EEvRNS_18TensorIteratorBaseERKT_EUlibE_EEviT1_,"axG",@progbits,_ZN2at6native32elementwise_kernel_manual_unrollILi128ELi4EZNS0_22gpu_kernel_impl_nocastIZZZNS0_12prelu_kernelERNS_14TensorIteratorEENKUlvE_clEvENKUlvE0_clEvEUlffE_EEvRNS_18TensorIteratorBaseERKT_EUlibE_EEviT1_,comdat
.Lfunc_end13:
	.size	_ZN2at6native32elementwise_kernel_manual_unrollILi128ELi4EZNS0_22gpu_kernel_impl_nocastIZZZNS0_12prelu_kernelERNS_14TensorIteratorEENKUlvE_clEvENKUlvE0_clEvEUlffE_EEvRNS_18TensorIteratorBaseERKT_EUlibE_EEviT1_, .Lfunc_end13-_ZN2at6native32elementwise_kernel_manual_unrollILi128ELi4EZNS0_22gpu_kernel_impl_nocastIZZZNS0_12prelu_kernelERNS_14TensorIteratorEENKUlvE_clEvENKUlvE0_clEvEUlffE_EEvRNS_18TensorIteratorBaseERKT_EUlibE_EEviT1_
                                        ; -- End function
	.section	.AMDGPU.csdata,"",@progbits
; Kernel info:
; codeLenInByte = 4736
; NumSgprs: 56
; NumVgprs: 25
; NumAgprs: 0
; TotalNumVgprs: 25
; ScratchSize: 0
; MemoryBound: 0
; FloatMode: 240
; IeeeMode: 1
; LDSByteSize: 0 bytes/workgroup (compile time only)
; SGPRBlocks: 6
; VGPRBlocks: 3
; NumSGPRsForWavesPerEU: 56
; NumVGPRsForWavesPerEU: 25
; AccumOffset: 28
; Occupancy: 8
; WaveLimiterHint : 1
; COMPUTE_PGM_RSRC2:SCRATCH_EN: 0
; COMPUTE_PGM_RSRC2:USER_SGPR: 6
; COMPUTE_PGM_RSRC2:TRAP_HANDLER: 0
; COMPUTE_PGM_RSRC2:TGID_X_EN: 1
; COMPUTE_PGM_RSRC2:TGID_Y_EN: 0
; COMPUTE_PGM_RSRC2:TGID_Z_EN: 0
; COMPUTE_PGM_RSRC2:TIDIG_COMP_CNT: 0
; COMPUTE_PGM_RSRC3_GFX90A:ACCUM_OFFSET: 6
; COMPUTE_PGM_RSRC3_GFX90A:TG_SPLIT: 0
	.text
	.p2align	2                               ; -- Begin function _ZN2at6native25elementwise_kernel_helperILb1EZZZNS0_12prelu_kernelERNS_14TensorIteratorEENKUlvE_clEvENKUlvE0_clEvEUlffE_NS0_6memory8policies11unroll_baseILi512ESt5arrayIPcLm3EE23TrivialOffsetCalculatorILi2EjESD_ILi1EjENS7_12LoadWithCastILi2EEENS7_13StoreWithCastILi1EEELi32ELi1EEEEEvT0_T1_
	.type	_ZN2at6native25elementwise_kernel_helperILb1EZZZNS0_12prelu_kernelERNS_14TensorIteratorEENKUlvE_clEvENKUlvE0_clEvEUlffE_NS0_6memory8policies11unroll_baseILi512ESt5arrayIPcLm3EE23TrivialOffsetCalculatorILi2EjESD_ILi1EjENS7_12LoadWithCastILi2EEENS7_13StoreWithCastILi1EEELi32ELi1EEEEEvT0_T1_,@function
_ZN2at6native25elementwise_kernel_helperILb1EZZZNS0_12prelu_kernelERNS_14TensorIteratorEENKUlvE_clEvENKUlvE0_clEvEUlffE_NS0_6memory8policies11unroll_baseILi512ESt5arrayIPcLm3EE23TrivialOffsetCalculatorILi2EjESD_ILi1EjENS7_12LoadWithCastILi2EEENS7_13StoreWithCastILi1EEELi32ELi1EEEEEvT0_T1_: ; @_ZN2at6native25elementwise_kernel_helperILb1EZZZNS0_12prelu_kernelERNS_14TensorIteratorEENKUlvE_clEvENKUlvE0_clEvEUlffE_NS0_6memory8policies11unroll_baseILi512ESt5arrayIPcLm3EE23TrivialOffsetCalculatorILi2EjESD_ILi1EjENS7_12LoadWithCastILi2EEENS7_13StoreWithCastILi1EEELi32ELi1EEEEEvT0_T1_
; %bb.0:
	s_waitcnt vmcnt(0) expcnt(0) lgkmcnt(0)
	s_or_saveexec_b64 s[4:5], -1
	buffer_store_dword v40, off, s[0:3], s32 offset:256 ; 4-byte Folded Spill
	buffer_store_dword v41, off, s[0:3], s32 offset:260 ; 4-byte Folded Spill
	;; [unrolled: 1-line block ×5, first 2 shown]
	s_mov_b64 exec, s[4:5]
	v_writelane_b32 v40, s34, 0
	v_writelane_b32 v40, s35, 1
	;; [unrolled: 1-line block ×66, first 2 shown]
	s_load_dword s4, s[8:9], 0x10
	s_load_dword s6, s[8:9], 0x0
	s_mov_b32 s5, 0
                                        ; implicit-def: $vgpr44 : SGPR spill to VGPR lane
	v_and_b32_e32 v13, 0x3ff, v31
	v_writelane_b32 v44, s5, 0
	s_waitcnt lgkmcnt(0)
	s_lshr_b32 s4, s4, 16
	s_cmp_lg_u32 s4, 0
	s_cselect_b64 s[4:5], -1, 0
	s_not_b32 s7, s12
	s_cmp_lg_u64 s[4:5], 0
	s_addc_u32 s4, s6, s7
	s_lshl_b32 s4, s4, 14
	v_mov_b32_e32 v16, 0
	v_writelane_b32 v44, s4, 1
	s_mov_b64 s[4:5], 0
	v_lshrrev_b32_e64 v17, 6, s32
	v_mov_b32_e32 v18, 10
	v_mov_b32_e32 v19, 25
	;; [unrolled: 1-line block ×30, first 2 shown]
	buffer_store_dword v16, off, s[0:3], s32 offset:4
	buffer_store_dword v16, off, s[0:3], s32
	buffer_store_dword v16, off, s[0:3], s32 offset:12
	buffer_store_dword v16, off, s[0:3], s32 offset:8
	;; [unrolled: 1-line block ×62, first 2 shown]
                                        ; implicit-def: $sgpr6_sgpr7
                                        ; implicit-def: $sgpr8_sgpr9
                                        ; implicit-def: $sgpr10_sgpr11
                                        ; implicit-def: $sgpr12_sgpr13
	s_branch .LBB14_17
.LBB14_1:                               ;   in Loop: Header=BB14_17 Depth=1
	s_or_b64 exec, exec, vcc
	v_readlane_b32 vcc_lo, v44, 38
	v_readlane_b32 vcc_hi, v44, 39
	s_andn2_b64 vcc, vcc, exec
	s_and_b64 s[60:61], s[68:69], exec
	s_or_b64 vcc, vcc, s[60:61]
	v_writelane_b32 v44, vcc_lo, 38
	v_writelane_b32 v44, vcc_hi, 39
	v_readlane_b32 vcc_lo, v44, 44
	v_readlane_b32 vcc_hi, v44, 45
	s_andn2_b64 vcc, vcc, exec
	s_and_b64 s[60:61], s[66:67], exec
	s_or_b64 s[62:63], vcc, s[60:61]
	v_readlane_b32 vcc_lo, v44, 46
	v_readlane_b32 vcc_hi, v44, 47
	s_orn2_b64 vcc, vcc, exec
	v_writelane_b32 v44, vcc_lo, 36
	v_writelane_b32 v44, vcc_hi, 37
.LBB14_2:                               ;   in Loop: Header=BB14_17 Depth=1
	s_or_b64 exec, exec, s[96:97]
	v_readlane_b32 vcc_lo, v44, 28
	v_readlane_b32 s60, v44, 38
	v_readlane_b32 vcc_hi, v44, 29
	v_readlane_b32 s61, v44, 39
	s_andn2_b64 vcc, vcc, exec
	s_and_b64 s[60:61], s[60:61], exec
	s_or_b64 vcc, vcc, s[60:61]
	v_writelane_b32 v44, vcc_lo, 28
	v_writelane_b32 v44, vcc_hi, 29
	v_readlane_b32 vcc_lo, v44, 30
	v_readlane_b32 vcc_hi, v44, 31
	s_andn2_b64 vcc, vcc, exec
	s_and_b64 s[60:61], s[62:63], exec
	s_or_b64 vcc, vcc, s[60:61]
	v_writelane_b32 v44, vcc_lo, 30
	v_writelane_b32 v44, vcc_hi, 31
	v_readlane_b32 vcc_lo, v44, 36
	v_readlane_b32 vcc_hi, v44, 37
	s_orn2_b64 s[96:97], vcc, exec
.LBB14_3:                               ;   in Loop: Header=BB14_17 Depth=1
	s_or_b64 exec, exec, s[94:95]
	v_readlane_b32 vcc_lo, v44, 22
	v_readlane_b32 s60, v44, 28
	v_readlane_b32 vcc_hi, v44, 23
	v_readlane_b32 s61, v44, 29
	s_andn2_b64 vcc, vcc, exec
	s_and_b64 s[60:61], s[60:61], exec
	s_or_b64 vcc, vcc, s[60:61]
	v_writelane_b32 v44, vcc_lo, 22
	v_writelane_b32 v44, vcc_hi, 23
	v_readlane_b32 vcc_lo, v44, 26
	v_readlane_b32 s60, v44, 30
	v_readlane_b32 vcc_hi, v44, 27
	v_readlane_b32 s61, v44, 31
	s_andn2_b64 vcc, vcc, exec
	s_and_b64 s[60:61], s[60:61], exec
	s_or_b64 s[62:63], vcc, s[60:61]
	s_orn2_b64 s[90:91], s[96:97], exec
.LBB14_4:                               ;   in Loop: Header=BB14_17 Depth=1
	s_or_b64 exec, exec, s[88:89]
	v_readlane_b32 vcc_lo, v44, 18
	v_readlane_b32 s60, v44, 22
	v_readlane_b32 vcc_hi, v44, 19
	v_readlane_b32 s61, v44, 23
	s_andn2_b64 vcc, vcc, exec
	s_and_b64 s[60:61], s[60:61], exec
	s_or_b64 vcc, vcc, s[60:61]
	v_writelane_b32 v44, vcc_lo, 18
	v_writelane_b32 v44, vcc_hi, 19
	v_readlane_b32 vcc_lo, v44, 20
	v_readlane_b32 vcc_hi, v44, 21
	s_andn2_b64 vcc, vcc, exec
	s_and_b64 s[60:61], s[62:63], exec
	s_or_b64 s[62:63], vcc, s[60:61]
	s_orn2_b64 s[84:85], s[90:91], exec
.LBB14_5:                               ;   in Loop: Header=BB14_17 Depth=1
	s_or_b64 exec, exec, s[82:83]
	v_readlane_b32 vcc_lo, v44, 14
	v_readlane_b32 s60, v44, 18
	v_readlane_b32 vcc_hi, v44, 15
	v_readlane_b32 s61, v44, 19
	s_andn2_b64 vcc, vcc, exec
	s_and_b64 s[60:61], s[60:61], exec
	s_or_b64 vcc, vcc, s[60:61]
	v_writelane_b32 v44, vcc_lo, 14
	v_writelane_b32 v44, vcc_hi, 15
	v_readlane_b32 vcc_lo, v44, 16
	v_readlane_b32 vcc_hi, v44, 17
	s_andn2_b64 vcc, vcc, exec
	s_and_b64 s[60:61], s[62:63], exec
	s_or_b64 s[62:63], vcc, s[60:61]
	s_orn2_b64 s[78:79], s[84:85], exec
.LBB14_6:                               ;   in Loop: Header=BB14_17 Depth=1
	v_readlane_b32 vcc_lo, v44, 12
	v_readlane_b32 vcc_hi, v44, 13
	s_or_b64 exec, exec, vcc
	v_readlane_b32 vcc_lo, v44, 8
	v_readlane_b32 s60, v44, 14
	v_readlane_b32 vcc_hi, v44, 9
	v_readlane_b32 s61, v44, 15
	s_andn2_b64 vcc, vcc, exec
	s_and_b64 s[60:61], s[60:61], exec
	s_or_b64 vcc, vcc, s[60:61]
	v_writelane_b32 v44, vcc_lo, 8
	v_writelane_b32 v44, vcc_hi, 9
	v_readlane_b32 vcc_lo, v44, 10
	v_readlane_b32 vcc_hi, v44, 11
	s_andn2_b64 vcc, vcc, exec
	s_and_b64 s[60:61], s[62:63], exec
	s_or_b64 s[62:63], vcc, s[60:61]
	s_orn2_b64 s[72:73], s[78:79], exec
.LBB14_7:                               ;   in Loop: Header=BB14_17 Depth=1
	v_readlane_b32 vcc_lo, v44, 6
	v_readlane_b32 vcc_hi, v44, 7
	s_or_b64 exec, exec, vcc
	v_readlane_b32 vcc_lo, v44, 2
	v_readlane_b32 s60, v44, 8
	v_readlane_b32 vcc_hi, v44, 3
	v_readlane_b32 s61, v44, 9
	s_andn2_b64 vcc, vcc, exec
	s_and_b64 s[60:61], s[60:61], exec
	s_or_b64 vcc, vcc, s[60:61]
	v_writelane_b32 v44, vcc_lo, 2
	v_writelane_b32 v44, vcc_hi, 3
	v_readlane_b32 vcc_lo, v44, 4
	v_readlane_b32 vcc_hi, v44, 5
	s_andn2_b64 vcc, vcc, exec
	s_and_b64 s[60:61], s[62:63], exec
	s_or_b64 s[60:61], vcc, s[60:61]
	s_orn2_b64 s[66:67], s[72:73], exec
.LBB14_8:                               ;   in Loop: Header=BB14_17 Depth=1
	s_or_b64 exec, exec, s[64:65]
	s_andn2_b64 vcc, s[56:57], exec
	v_readlane_b32 s56, v44, 2
	v_readlane_b32 s57, v44, 3
	s_and_b64 s[56:57], s[56:57], exec
	s_or_b64 s[56:57], vcc, s[56:57]
	s_andn2_b64 vcc, s[54:55], exec
	s_and_b64 s[54:55], s[60:61], exec
	s_or_b64 s[54:55], vcc, s[54:55]
	s_orn2_b64 s[60:61], s[66:67], exec
.LBB14_9:                               ;   in Loop: Header=BB14_17 Depth=1
	s_or_b64 exec, exec, s[58:59]
	s_andn2_b64 vcc, s[50:51], exec
	s_and_b64 s[50:51], s[56:57], exec
	s_or_b64 s[50:51], vcc, s[50:51]
	s_andn2_b64 vcc, s[48:49], exec
	s_and_b64 s[48:49], s[54:55], exec
	s_or_b64 s[48:49], vcc, s[48:49]
	s_orn2_b64 s[54:55], s[60:61], exec
.LBB14_10:                              ;   in Loop: Header=BB14_17 Depth=1
	s_or_b64 exec, exec, s[52:53]
	s_andn2_b64 vcc, s[44:45], exec
	s_and_b64 s[44:45], s[50:51], exec
	s_or_b64 s[44:45], vcc, s[44:45]
	s_andn2_b64 vcc, s[42:43], exec
	s_and_b64 s[42:43], s[48:49], exec
	s_or_b64 s[42:43], vcc, s[42:43]
	s_orn2_b64 s[48:49], s[54:55], exec
.LBB14_11:                              ;   in Loop: Header=BB14_17 Depth=1
	s_or_b64 exec, exec, s[46:47]
	s_andn2_b64 vcc, s[38:39], exec
	s_and_b64 s[38:39], s[44:45], exec
	s_or_b64 s[38:39], vcc, s[38:39]
	s_andn2_b64 vcc, s[36:37], exec
	s_and_b64 s[36:37], s[42:43], exec
	s_or_b64 s[36:37], vcc, s[36:37]
	s_orn2_b64 s[42:43], s[48:49], exec
.LBB14_12:                              ;   in Loop: Header=BB14_17 Depth=1
	s_or_b64 exec, exec, s[40:41]
	s_andn2_b64 vcc, s[30:31], exec
	s_and_b64 s[30:31], s[38:39], exec
	s_or_b64 s[30:31], vcc, s[30:31]
	s_andn2_b64 s[28:29], s[28:29], exec
	s_and_b64 vcc, s[36:37], exec
	s_or_b64 s[28:29], s[28:29], vcc
	s_orn2_b64 s[36:37], s[42:43], exec
.LBB14_13:                              ;   in Loop: Header=BB14_17 Depth=1
	s_or_b64 exec, exec, s[34:35]
	s_andn2_b64 s[24:25], s[24:25], exec
	s_and_b64 vcc, s[30:31], exec
	s_andn2_b64 s[22:23], s[22:23], exec
	s_and_b64 s[28:29], s[28:29], exec
	s_or_b64 s[24:25], s[24:25], vcc
	s_or_b64 s[22:23], s[22:23], s[28:29]
	s_orn2_b64 s[28:29], s[36:37], exec
.LBB14_14:                              ;   in Loop: Header=BB14_17 Depth=1
	s_or_b64 exec, exec, s[26:27]
	s_andn2_b64 s[18:19], s[18:19], exec
	s_and_b64 s[24:25], s[24:25], exec
	s_andn2_b64 s[16:17], s[16:17], exec
	s_and_b64 s[22:23], s[22:23], exec
	s_or_b64 s[18:19], s[18:19], s[24:25]
	s_or_b64 s[16:17], s[16:17], s[22:23]
	s_orn2_b64 s[22:23], s[28:29], exec
.LBB14_15:                              ;   in Loop: Header=BB14_17 Depth=1
	s_or_b64 exec, exec, s[20:21]
	s_andn2_b64 s[12:13], s[12:13], exec
	s_and_b64 s[18:19], s[18:19], exec
	s_andn2_b64 s[10:11], s[10:11], exec
	s_and_b64 s[16:17], s[16:17], exec
	s_or_b64 s[12:13], s[12:13], s[18:19]
	s_or_b64 s[10:11], s[10:11], s[16:17]
	s_orn2_b64 s[16:17], s[22:23], exec
.LBB14_16:                              ;   in Loop: Header=BB14_17 Depth=1
	s_or_b64 exec, exec, s[14:15]
	s_and_b64 s[14:15], exec, s[16:17]
	s_or_b64 s[4:5], s[14:15], s[4:5]
	s_andn2_b64 s[8:9], s[8:9], exec
	s_and_b64 s[14:15], s[12:13], exec
	s_or_b64 s[8:9], s[8:9], s[14:15]
	s_andn2_b64 s[6:7], s[6:7], exec
	s_and_b64 s[14:15], s[10:11], exec
	s_or_b64 s[6:7], s[6:7], s[14:15]
	s_andn2_b64 exec, exec, s[4:5]
	s_cbranch_execz .LBB14_3650
.LBB14_17:                              ; =>This Inner Loop Header: Depth=1
	v_cmp_lt_i32_e32 vcc, v55, v6
	s_mov_b64 s[16:17], -1
	s_mov_b64 s[18:19], -1
                                        ; implicit-def: $sgpr20_sgpr21
                                        ; implicit-def: $sgpr22_sgpr23
	s_and_saveexec_b64 s[14:15], vcc
	s_cbranch_execz .LBB14_127
; %bb.18:                               ;   in Loop: Header=BB14_17 Depth=1
	v_readlane_b32 s18, v44, 1
	s_waitcnt vmcnt(0) lgkmcnt(0)
	v_add_u32_e32 v64, s18, v55
	v_mul_lo_u32 v14, v64, v9
	v_add_co_u32_e32 v14, vcc, v2, v14
	v_addc_co_u32_e32 v15, vcc, 0, v3, vcc
	v_cmp_gt_i16_sdwa s[22:23], v7, v18 src0_sel:BYTE_0 src1_sel:DWORD
	s_mov_b64 s[24:25], 0
                                        ; implicit-def: $sgpr18_sgpr19
                                        ; implicit-def: $sgpr20_sgpr21
                                        ; implicit-def: $vgpr66
	s_and_saveexec_b64 s[26:27], s[22:23]
	s_xor_b64 s[22:23], exec, s[26:27]
	s_cbranch_execnz .LBB14_21
; %bb.19:                               ;   in Loop: Header=BB14_17 Depth=1
	s_andn2_saveexec_b64 s[22:23], s[22:23]
	s_cbranch_execnz .LBB14_80
.LBB14_20:                              ;   in Loop: Header=BB14_17 Depth=1
	s_or_b64 exec, exec, s[22:23]
	s_mov_b64 s[26:27], 0
	s_and_saveexec_b64 s[22:23], s[24:25]
	s_cbranch_execnz .LBB14_121
	s_branch .LBB14_126
.LBB14_21:                              ;   in Loop: Header=BB14_17 Depth=1
	v_cmp_gt_i16_sdwa s[18:19], v7, v19 src0_sel:BYTE_0 src1_sel:DWORD
                                        ; implicit-def: $sgpr26_sgpr27
                                        ; implicit-def: $sgpr20_sgpr21
                                        ; implicit-def: $vgpr66
	s_and_saveexec_b64 s[28:29], s[18:19]
	s_xor_b64 s[18:19], exec, s[28:29]
	s_cbranch_execz .LBB14_53
; %bb.22:                               ;   in Loop: Header=BB14_17 Depth=1
	v_cmp_gt_i16_sdwa s[28:29], v7, v20 src0_sel:BYTE_0 src1_sel:DWORD
                                        ; implicit-def: $sgpr26_sgpr27
                                        ; implicit-def: $sgpr20_sgpr21
                                        ; implicit-def: $vgpr66
	s_and_saveexec_b64 vcc, s[28:29]
	s_xor_b64 s[28:29], exec, vcc
	s_cbranch_execz .LBB14_38
; %bb.23:                               ;   in Loop: Header=BB14_17 Depth=1
	v_cmp_gt_i16_sdwa s[20:21], v7, v21 src0_sel:BYTE_0 src1_sel:DWORD
	s_mov_b64 vcc, 0
                                        ; implicit-def: $sgpr24_sgpr25
                                        ; implicit-def: $sgpr26_sgpr27
                                        ; implicit-def: $vgpr66
	s_and_saveexec_b64 s[30:31], s[20:21]
	s_xor_b64 s[20:21], exec, s[30:31]
	s_cbranch_execz .LBB14_33
; %bb.24:                               ;   in Loop: Header=BB14_17 Depth=1
	v_cmp_gt_i16_sdwa s[26:27], v7, v22 src0_sel:BYTE_0 src1_sel:DWORD
	s_mov_b64 s[30:31], 0
                                        ; implicit-def: $sgpr24_sgpr25
                                        ; implicit-def: $sgpr34_sgpr35
                                        ; implicit-def: $vgpr66
	s_and_saveexec_b64 vcc, s[26:27]
	s_xor_b64 s[26:27], exec, vcc
	s_cbranch_execz .LBB14_28
; %bb.25:                               ;   in Loop: Header=BB14_17 Depth=1
	v_cmp_eq_u16_sdwa s[34:35], v7, v23 src0_sel:BYTE_0 src1_sel:DWORD
	s_mov_b64 s[24:25], 0
	s_mov_b64 vcc, 0
                                        ; implicit-def: $vgpr66
	s_and_saveexec_b64 s[30:31], s[34:35]
	s_cbranch_execz .LBB14_27
; %bb.26:                               ;   in Loop: Header=BB14_17 Depth=1
	flat_load_dword v14, v[14:15]
	s_mov_b64 vcc, exec
	s_waitcnt vmcnt(0) lgkmcnt(0)
	v_lshlrev_b32_e32 v66, 16, v14
.LBB14_27:                              ;   in Loop: Header=BB14_17 Depth=1
	s_or_b64 exec, exec, s[30:31]
	s_mov_b64 s[34:35], -1
	s_and_b64 s[30:31], vcc, exec
                                        ; implicit-def: $vgpr14_vgpr15
.LBB14_28:                              ;   in Loop: Header=BB14_17 Depth=1
	s_andn2_saveexec_b64 s[26:27], s[26:27]
	s_cbranch_execz .LBB14_32
; %bb.29:                               ;   in Loop: Header=BB14_17 Depth=1
	v_cmp_eq_u16_sdwa s[38:39], v7, v24 src0_sel:BYTE_0 src1_sel:DWORD
	s_mov_b64 vcc, s[30:31]
                                        ; implicit-def: $vgpr66
	s_and_saveexec_b64 s[36:37], s[38:39]
	s_cbranch_execz .LBB14_31
; %bb.30:                               ;   in Loop: Header=BB14_17 Depth=1
	flat_load_ubyte v14, v[14:15]
	s_movk_i32 vcc_lo, 0xff
	s_waitcnt vmcnt(0) lgkmcnt(0)
	v_lshlrev_b32_e32 v15, 23, v14
	v_cmp_ne_u32_e32 vcc, vcc_lo, v14
	v_cndmask_b32_e32 v15, v25, v15, vcc
	v_cmp_ne_u32_e32 vcc, 0, v14
	v_cndmask_b32_e32 v66, v26, v15, vcc
	s_or_b64 vcc, s[30:31], exec
.LBB14_31:                              ;   in Loop: Header=BB14_17 Depth=1
	s_or_b64 exec, exec, s[36:37]
	s_andn2_b64 s[30:31], s[30:31], exec
	s_and_b64 vcc, vcc, exec
	s_andn2_b64 s[24:25], s[24:25], exec
	s_or_b64 s[34:35], s[34:35], exec
	s_or_b64 s[30:31], s[30:31], vcc
.LBB14_32:                              ;   in Loop: Header=BB14_17 Depth=1
	s_or_b64 exec, exec, s[26:27]
	s_and_b64 s[26:27], s[24:25], exec
	s_and_b64 s[24:25], s[34:35], exec
	s_and_b64 vcc, s[30:31], exec
                                        ; implicit-def: $vgpr14_vgpr15
.LBB14_33:                              ;   in Loop: Header=BB14_17 Depth=1
	s_andn2_saveexec_b64 s[20:21], s[20:21]
	s_cbranch_execz .LBB14_37
; %bb.34:                               ;   in Loop: Header=BB14_17 Depth=1
	v_cmp_eq_u16_sdwa s[36:37], v7, v27 src0_sel:BYTE_0 src1_sel:DWORD
	s_mov_b64 s[34:35], vcc
                                        ; implicit-def: $vgpr66
	s_and_saveexec_b64 s[30:31], s[36:37]
	s_cbranch_execz .LBB14_36
; %bb.35:                               ;   in Loop: Header=BB14_17 Depth=1
	flat_load_dwordx2 v[14:15], v[14:15]
	s_or_b64 s[34:35], vcc, exec
	s_waitcnt vmcnt(0) lgkmcnt(0)
	v_ffbh_u32_e32 v65, v15
	v_min_u32_e32 v65, 32, v65
	v_lshlrev_b64 v[14:15], v65, v[14:15]
	v_min_u32_e32 v14, 1, v14
	v_or_b32_e32 v14, v15, v14
	v_cvt_f32_u32_e32 v14, v14
	v_sub_u32_e32 v15, 32, v65
	v_ldexp_f32 v66, v14, v15
.LBB14_36:                              ;   in Loop: Header=BB14_17 Depth=1
	s_or_b64 exec, exec, s[30:31]
	s_andn2_b64 vcc, vcc, exec
	s_and_b64 s[30:31], s[34:35], exec
	s_andn2_b64 s[26:27], s[26:27], exec
	s_or_b64 s[24:25], s[24:25], exec
	s_or_b64 vcc, vcc, s[30:31]
.LBB14_37:                              ;   in Loop: Header=BB14_17 Depth=1
	s_or_b64 exec, exec, s[20:21]
	s_and_b64 s[20:21], s[26:27], exec
	s_and_b64 s[26:27], s[24:25], exec
	s_and_b64 s[24:25], vcc, exec
                                        ; implicit-def: $vgpr14_vgpr15
.LBB14_38:                              ;   in Loop: Header=BB14_17 Depth=1
	s_andn2_saveexec_b64 s[28:29], s[28:29]
	s_cbranch_execz .LBB14_52
; %bb.39:                               ;   in Loop: Header=BB14_17 Depth=1
	v_cmp_gt_i16_sdwa vcc, v7, v28 src0_sel:BYTE_0 src1_sel:DWORD
                                        ; implicit-def: $vgpr66
	s_and_saveexec_b64 s[30:31], vcc
	s_xor_b64 vcc, exec, s[30:31]
	s_cbranch_execz .LBB14_45
; %bb.40:                               ;   in Loop: Header=BB14_17 Depth=1
	v_cmp_gt_i16_sdwa s[30:31], v7, v29 src0_sel:BYTE_0 src1_sel:DWORD
                                        ; implicit-def: $vgpr66
	s_and_saveexec_b64 s[34:35], s[30:31]
	s_xor_b64 s[30:31], exec, s[34:35]
	s_cbranch_execz .LBB14_42
; %bb.41:                               ;   in Loop: Header=BB14_17 Depth=1
	flat_load_dword v14, v[14:15]
	s_waitcnt vmcnt(0) lgkmcnt(0)
	v_cvt_f32_u32_e32 v66, v14
                                        ; implicit-def: $vgpr14_vgpr15
.LBB14_42:                              ;   in Loop: Header=BB14_17 Depth=1
	s_andn2_saveexec_b64 s[30:31], s[30:31]
	s_cbranch_execz .LBB14_44
; %bb.43:                               ;   in Loop: Header=BB14_17 Depth=1
	flat_load_ushort v14, v[14:15]
	s_waitcnt vmcnt(0) lgkmcnt(0)
	v_cvt_f32_u32_e32 v66, v14
.LBB14_44:                              ;   in Loop: Header=BB14_17 Depth=1
	s_or_b64 exec, exec, s[30:31]
                                        ; implicit-def: $vgpr14_vgpr15
.LBB14_45:                              ;   in Loop: Header=BB14_17 Depth=1
	s_andn2_saveexec_b64 s[30:31], vcc
	s_cbranch_execz .LBB14_51
; %bb.46:                               ;   in Loop: Header=BB14_17 Depth=1
	flat_load_ubyte v14, v[14:15]
	s_movk_i32 vcc_lo, 0x7f
	s_mov_b64 s[34:35], 0
                                        ; implicit-def: $sgpr40
	s_waitcnt vmcnt(0) lgkmcnt(0)
	v_cmp_lt_i16_e32 vcc, vcc_lo, v14
	s_and_saveexec_b64 s[36:37], vcc
	s_xor_b64 s[36:37], exec, s[36:37]
	s_cbranch_execnz .LBB14_765
; %bb.47:                               ;   in Loop: Header=BB14_17 Depth=1
	s_or_saveexec_b64 s[36:37], s[36:37]
	v_mov_b32_e32 v66, s40
	s_xor_b64 exec, exec, s[36:37]
	s_cbranch_execnz .LBB14_768
.LBB14_48:                              ;   in Loop: Header=BB14_17 Depth=1
	s_or_b64 exec, exec, s[36:37]
	s_and_saveexec_b64 s[36:37], s[34:35]
	s_cbranch_execz .LBB14_50
.LBB14_49:                              ;   in Loop: Header=BB14_17 Depth=1
	v_lshlrev_b32_e32 v15, 24, v14
	v_and_b32_e32 v14, 0xffff, v14
	v_and_b32_e32 v65, 7, v14
	v_ffbh_u32_e32 v67, v65
	v_min_u32_e32 v67, 32, v67
	v_subrev_u32_e32 v68, 28, v67
	v_bfe_u32 v66, v14, 3, 4
	v_lshlrev_b32_e32 v14, v68, v14
	v_sub_u32_e32 v67, 29, v67
	v_and_b32_e32 v14, 7, v14
	v_cmp_eq_u32_e32 vcc, 0, v66
	v_cndmask_b32_e32 v66, v66, v67, vcc
	v_cndmask_b32_e32 v14, v65, v14, vcc
	v_lshlrev_b32_e32 v14, 20, v14
	v_and_b32_e32 v15, 0x80000000, v15
	v_lshl_add_u32 v65, v66, 23, v30
	v_or3_b32 v66, v15, v65, v14
.LBB14_50:                              ;   in Loop: Header=BB14_17 Depth=1
	s_or_b64 exec, exec, s[36:37]
.LBB14_51:                              ;   in Loop: Header=BB14_17 Depth=1
	s_or_b64 exec, exec, s[30:31]
	s_andn2_b64 s[20:21], s[20:21], exec
	s_andn2_b64 s[26:27], s[26:27], exec
	s_or_b64 s[24:25], s[24:25], exec
.LBB14_52:                              ;   in Loop: Header=BB14_17 Depth=1
	s_or_b64 exec, exec, s[28:29]
	s_and_b64 s[20:21], s[20:21], exec
	s_and_b64 s[26:27], s[26:27], exec
	;; [unrolled: 1-line block ×3, first 2 shown]
                                        ; implicit-def: $vgpr14_vgpr15
.LBB14_53:                              ;   in Loop: Header=BB14_17 Depth=1
	s_andn2_saveexec_b64 s[18:19], s[18:19]
	s_cbranch_execz .LBB14_79
; %bb.54:                               ;   in Loop: Header=BB14_17 Depth=1
	v_cmp_gt_i16_sdwa s[28:29], v7, v31 src0_sel:BYTE_0 src1_sel:DWORD
	s_mov_b64 s[30:31], s[24:25]
                                        ; implicit-def: $vgpr66
	s_and_saveexec_b64 vcc, s[28:29]
	s_xor_b64 s[28:29], exec, vcc
	s_cbranch_execz .LBB14_68
; %bb.55:                               ;   in Loop: Header=BB14_17 Depth=1
	v_cmp_gt_i16_sdwa vcc, v7, v32 src0_sel:BYTE_0 src1_sel:DWORD
                                        ; implicit-def: $vgpr66
	s_and_saveexec_b64 s[30:31], vcc
	s_xor_b64 s[30:31], exec, s[30:31]
	s_cbranch_execz .LBB14_65
; %bb.56:                               ;   in Loop: Header=BB14_17 Depth=1
	v_cmp_gt_i16_sdwa vcc, v7, v33 src0_sel:BYTE_0 src1_sel:DWORD
                                        ; implicit-def: $vgpr66
	s_and_saveexec_b64 s[34:35], vcc
	s_xor_b64 s[34:35], exec, s[34:35]
	s_cbranch_execz .LBB14_62
; %bb.57:                               ;   in Loop: Header=BB14_17 Depth=1
	flat_load_ubyte v14, v[14:15]
	s_movk_i32 vcc_lo, 0x7f
	s_mov_b64 s[36:37], 0
                                        ; implicit-def: $sgpr42
	s_waitcnt vmcnt(0) lgkmcnt(0)
	v_cmp_lt_i16_e32 vcc, vcc_lo, v14
	s_and_saveexec_b64 s[38:39], vcc
	s_xor_b64 s[38:39], exec, s[38:39]
	s_cbranch_execnz .LBB14_980
; %bb.58:                               ;   in Loop: Header=BB14_17 Depth=1
	s_or_saveexec_b64 s[38:39], s[38:39]
	v_mov_b32_e32 v66, s42
	s_xor_b64 exec, exec, s[38:39]
	s_cbranch_execnz .LBB14_983
.LBB14_59:                              ;   in Loop: Header=BB14_17 Depth=1
	s_or_b64 exec, exec, s[38:39]
	s_and_saveexec_b64 s[38:39], s[36:37]
	s_cbranch_execz .LBB14_61
.LBB14_60:                              ;   in Loop: Header=BB14_17 Depth=1
	v_lshlrev_b32_e32 v15, 24, v14
	v_and_b32_e32 v14, 0xffff, v14
	v_and_b32_e32 v65, 3, v14
	v_ffbh_u32_e32 v67, v65
	v_min_u32_e32 v67, 32, v67
	v_subrev_u32_e32 v68, 29, v67
	v_bfe_u32 v66, v14, 2, 5
	v_lshlrev_b32_e32 v14, v68, v14
	v_sub_u32_e32 v67, 30, v67
	v_and_b32_e32 v14, 3, v14
	v_cmp_eq_u32_e32 vcc, 0, v66
	v_cndmask_b32_e32 v66, v66, v67, vcc
	v_cndmask_b32_e32 v14, v65, v14, vcc
	v_lshlrev_b32_e32 v14, 21, v14
	v_and_b32_e32 v15, 0x80000000, v15
	v_lshl_add_u32 v65, v66, 23, v34
	v_or3_b32 v66, v15, v65, v14
.LBB14_61:                              ;   in Loop: Header=BB14_17 Depth=1
	s_or_b64 exec, exec, s[38:39]
                                        ; implicit-def: $vgpr14_vgpr15
.LBB14_62:                              ;   in Loop: Header=BB14_17 Depth=1
	s_andn2_saveexec_b64 s[34:35], s[34:35]
	s_cbranch_execz .LBB14_64
; %bb.63:                               ;   in Loop: Header=BB14_17 Depth=1
	flat_load_ubyte v14, v[14:15]
	s_mov_b32 vcc_lo, 0x7f800000
	s_waitcnt vmcnt(0) lgkmcnt(0)
	v_lshlrev_b32_e32 v14, 24, v14
	v_and_b32_e32 v15, 0x7f000000, v14
	v_ffbh_u32_e32 v65, v15
	v_min_u32_e32 v65, 32, v65
	v_sub_u32_e64 v65, v65, 4 clamp
	v_lshlrev_b32_e32 v67, v65, v15
	v_lshlrev_b32_e32 v65, 23, v65
	v_lshrrev_b32_e32 v67, 4, v67
	v_add_u32_e32 v66, 0x1000000, v15
	v_sub_u32_e32 v65, v67, v65
	v_ashrrev_i32_e32 v66, 8, v66
	v_add_u32_e32 v65, 0x3c000000, v65
	v_and_or_b32 v65, v66, vcc_lo, v65
	v_cmp_ne_u32_e32 vcc, 0, v15
	v_cndmask_b32_e32 v15, 0, v65, vcc
	s_brev_b32 vcc_lo, 1
	v_and_or_b32 v66, v14, vcc_lo, v15
.LBB14_64:                              ;   in Loop: Header=BB14_17 Depth=1
	s_or_b64 exec, exec, s[34:35]
                                        ; implicit-def: $vgpr14_vgpr15
.LBB14_65:                              ;   in Loop: Header=BB14_17 Depth=1
	s_andn2_saveexec_b64 s[30:31], s[30:31]
	s_cbranch_execz .LBB14_67
; %bb.66:                               ;   in Loop: Header=BB14_17 Depth=1
	flat_load_ubyte v14, v[14:15]
	s_movk_i32 vcc_lo, 0x7f00
	s_waitcnt vmcnt(0) lgkmcnt(0)
	v_lshlrev_b16_e32 v15, 8, v14
	v_lshlrev_b32_e32 v14, 25, v14
	v_lshrrev_b32_e32 v65, 4, v14
	v_and_or_b32 v66, v15, vcc_lo, 0.5
	v_or_b32_e32 v65, 0x70000000, v65
	s_brev_b32 vcc_lo, 16
	v_add_f32_e32 v66, -0.5, v66
	v_mul_f32_e32 v65, 0x7800000, v65
	v_cmp_gt_u32_e32 vcc, vcc_lo, v14
	v_cndmask_b32_e32 v14, v65, v66, vcc
	v_bfe_i32 v15, v15, 0, 16
	s_brev_b32 vcc_lo, 1
	v_and_or_b32 v66, v15, vcc_lo, v14
.LBB14_67:                              ;   in Loop: Header=BB14_17 Depth=1
	s_or_b64 exec, exec, s[30:31]
	s_or_b64 s[30:31], s[24:25], exec
                                        ; implicit-def: $vgpr14_vgpr15
.LBB14_68:                              ;   in Loop: Header=BB14_17 Depth=1
	s_or_saveexec_b64 s[28:29], s[28:29]
                                        ; implicit-def: $vcc
                                        ; implicit-def: $sgpr38_sgpr39
	s_xor_b64 exec, exec, s[28:29]
	s_cbranch_execz .LBB14_78
; %bb.69:                               ;   in Loop: Header=BB14_17 Depth=1
	v_cmp_gt_i16_sdwa vcc, v7, v35 src0_sel:BYTE_0 src1_sel:DWORD
	s_mov_b64 s[36:37], s[30:31]
                                        ; implicit-def: $sgpr38_sgpr39
                                        ; implicit-def: $sgpr34_sgpr35
                                        ; implicit-def: $vgpr66
	s_and_saveexec_b64 s[40:41], vcc
	s_xor_b64 vcc, exec, s[40:41]
	s_cbranch_execz .LBB14_73
; %bb.70:                               ;   in Loop: Header=BB14_17 Depth=1
	v_cmp_eq_u16_sdwa s[38:39], v7, v36 src0_sel:BYTE_0 src1_sel:DWORD
	s_mov_b64 s[36:37], s[30:31]
                                        ; implicit-def: $vgpr66
	s_and_saveexec_b64 s[34:35], s[38:39]
	s_cbranch_execz .LBB14_72
; %bb.71:                               ;   in Loop: Header=BB14_17 Depth=1
	flat_load_ushort v14, v[14:15]
	s_or_b64 s[36:37], s[30:31], exec
	s_waitcnt vmcnt(0) lgkmcnt(0)
	v_lshlrev_b32_e32 v66, 16, v14
.LBB14_72:                              ;   in Loop: Header=BB14_17 Depth=1
	s_or_b64 exec, exec, s[34:35]
	s_andn2_b64 s[40:41], s[30:31], exec
	s_and_b64 s[36:37], s[36:37], exec
	s_mov_b64 s[34:35], -1
	s_mov_b64 s[38:39], 0
	s_or_b64 s[36:37], s[40:41], s[36:37]
                                        ; implicit-def: $vgpr14_vgpr15
.LBB14_73:                              ;   in Loop: Header=BB14_17 Depth=1
	s_andn2_saveexec_b64 s[40:41], vcc
	s_cbranch_execz .LBB14_77
; %bb.74:                               ;   in Loop: Header=BB14_17 Depth=1
	v_cmp_eq_u16_sdwa s[44:45], v7, v37 src0_sel:BYTE_0 src1_sel:DWORD
	s_mov_b64 vcc, s[36:37]
                                        ; implicit-def: $vgpr66
	s_and_saveexec_b64 s[42:43], s[44:45]
	s_cbranch_execz .LBB14_76
; %bb.75:                               ;   in Loop: Header=BB14_17 Depth=1
	flat_load_ubyte v14, v[14:15]
	s_waitcnt vmcnt(0) lgkmcnt(0)
	v_cmp_ne_u16_e32 vcc, 0, v14
	v_cndmask_b32_e64 v66, 0, 1.0, vcc
	s_or_b64 vcc, s[36:37], exec
.LBB14_76:                              ;   in Loop: Header=BB14_17 Depth=1
	s_or_b64 exec, exec, s[42:43]
	s_andn2_b64 s[36:37], s[36:37], exec
	s_and_b64 vcc, vcc, exec
	s_andn2_b64 s[38:39], s[38:39], exec
	s_or_b64 s[34:35], s[34:35], exec
	s_or_b64 s[36:37], s[36:37], vcc
.LBB14_77:                              ;   in Loop: Header=BB14_17 Depth=1
	s_or_b64 exec, exec, s[40:41]
	s_and_b64 vcc, s[34:35], exec
	s_andn2_b64 s[30:31], s[30:31], exec
	s_and_b64 s[34:35], s[36:37], exec
	s_and_b64 s[38:39], s[38:39], exec
	s_or_b64 s[30:31], s[30:31], s[34:35]
.LBB14_78:                              ;   in Loop: Header=BB14_17 Depth=1
	s_or_b64 exec, exec, s[28:29]
	s_andn2_b64 s[20:21], s[20:21], exec
	s_and_b64 s[28:29], s[38:39], exec
	s_or_b64 s[20:21], s[20:21], s[28:29]
	s_andn2_b64 s[26:27], s[26:27], exec
	s_and_b64 s[28:29], vcc, exec
	s_or_b64 s[26:27], s[26:27], s[28:29]
	s_andn2_b64 s[24:25], s[24:25], exec
	s_and_b64 s[28:29], s[30:31], exec
	s_or_b64 s[24:25], s[24:25], s[28:29]
.LBB14_79:                              ;   in Loop: Header=BB14_17 Depth=1
	s_or_b64 exec, exec, s[18:19]
	s_and_b64 s[20:21], s[20:21], exec
	s_and_b64 s[18:19], s[26:27], exec
	;; [unrolled: 1-line block ×3, first 2 shown]
                                        ; implicit-def: $vgpr14_vgpr15
	s_andn2_saveexec_b64 s[22:23], s[22:23]
	s_cbranch_execz .LBB14_20
.LBB14_80:                              ;   in Loop: Header=BB14_17 Depth=1
	v_cmp_gt_i16_sdwa s[26:27], v7, v38 src0_sel:BYTE_0 src1_sel:DWORD
                                        ; implicit-def: $vgpr66
	s_and_saveexec_b64 s[28:29], s[26:27]
	s_xor_b64 s[26:27], exec, s[28:29]
	s_cbranch_execz .LBB14_102
; %bb.81:                               ;   in Loop: Header=BB14_17 Depth=1
	v_cmp_gt_i16_sdwa s[28:29], v7, v39 src0_sel:BYTE_0 src1_sel:DWORD
                                        ; implicit-def: $vgpr66
	s_and_saveexec_b64 vcc, s[28:29]
	s_xor_b64 s[28:29], exec, vcc
	s_cbranch_execz .LBB14_91
; %bb.82:                               ;   in Loop: Header=BB14_17 Depth=1
	v_cmp_gt_i16_sdwa vcc, v7, v48 src0_sel:BYTE_0 src1_sel:DWORD
                                        ; implicit-def: $vgpr66
	s_and_saveexec_b64 s[30:31], vcc
	s_xor_b64 vcc, exec, s[30:31]
	s_cbranch_execz .LBB14_88
; %bb.83:                               ;   in Loop: Header=BB14_17 Depth=1
	v_cmp_gt_i16_sdwa s[30:31], v7, v49 src0_sel:BYTE_0 src1_sel:DWORD
                                        ; implicit-def: $vgpr66
	s_and_saveexec_b64 s[34:35], s[30:31]
	s_xor_b64 s[30:31], exec, s[34:35]
	s_cbranch_execz .LBB14_85
; %bb.84:                               ;   in Loop: Header=BB14_17 Depth=1
	flat_load_dwordx2 v[14:15], v[14:15]
	s_waitcnt vmcnt(0) lgkmcnt(0)
	v_cvt_f32_f64_e32 v66, v[14:15]
                                        ; implicit-def: $vgpr14_vgpr15
.LBB14_85:                              ;   in Loop: Header=BB14_17 Depth=1
	s_andn2_saveexec_b64 s[30:31], s[30:31]
	s_cbranch_execz .LBB14_87
; %bb.86:                               ;   in Loop: Header=BB14_17 Depth=1
	flat_load_dword v66, v[14:15]
.LBB14_87:                              ;   in Loop: Header=BB14_17 Depth=1
	s_or_b64 exec, exec, s[30:31]
                                        ; implicit-def: $vgpr14_vgpr15
.LBB14_88:                              ;   in Loop: Header=BB14_17 Depth=1
	s_andn2_saveexec_b64 vcc, vcc
	s_cbranch_execz .LBB14_90
; %bb.89:                               ;   in Loop: Header=BB14_17 Depth=1
	flat_load_dword v14, v[14:15]
	s_waitcnt vmcnt(0) lgkmcnt(0)
	v_cvt_f32_f16_e32 v66, v14
.LBB14_90:                              ;   in Loop: Header=BB14_17 Depth=1
	s_or_b64 exec, exec, vcc
                                        ; implicit-def: $vgpr14_vgpr15
.LBB14_91:                              ;   in Loop: Header=BB14_17 Depth=1
	s_andn2_saveexec_b64 s[28:29], s[28:29]
	s_cbranch_execz .LBB14_101
; %bb.92:                               ;   in Loop: Header=BB14_17 Depth=1
	v_cmp_gt_i16_sdwa vcc, v7, v50 src0_sel:BYTE_0 src1_sel:DWORD
                                        ; implicit-def: $vgpr66
	s_and_saveexec_b64 s[30:31], vcc
	s_xor_b64 vcc, exec, s[30:31]
	s_cbranch_execz .LBB14_98
; %bb.93:                               ;   in Loop: Header=BB14_17 Depth=1
	v_cmp_gt_i16_sdwa s[30:31], v7, v51 src0_sel:BYTE_0 src1_sel:DWORD
                                        ; implicit-def: $vgpr66
	s_and_saveexec_b64 s[34:35], s[30:31]
	s_xor_b64 s[30:31], exec, s[34:35]
	s_cbranch_execz .LBB14_95
; %bb.94:                               ;   in Loop: Header=BB14_17 Depth=1
	flat_load_dwordx2 v[14:15], v[14:15]
	s_waitcnt vmcnt(0) lgkmcnt(0)
	v_cvt_f32_f64_e32 v66, v[14:15]
                                        ; implicit-def: $vgpr14_vgpr15
.LBB14_95:                              ;   in Loop: Header=BB14_17 Depth=1
	s_andn2_saveexec_b64 s[30:31], s[30:31]
	s_cbranch_execz .LBB14_97
; %bb.96:                               ;   in Loop: Header=BB14_17 Depth=1
	s_waitcnt vmcnt(0) lgkmcnt(0)
	flat_load_dword v66, v[14:15]
.LBB14_97:                              ;   in Loop: Header=BB14_17 Depth=1
	s_or_b64 exec, exec, s[30:31]
                                        ; implicit-def: $vgpr14_vgpr15
.LBB14_98:                              ;   in Loop: Header=BB14_17 Depth=1
	s_andn2_saveexec_b64 vcc, vcc
	s_cbranch_execz .LBB14_100
; %bb.99:                               ;   in Loop: Header=BB14_17 Depth=1
	flat_load_ushort v14, v[14:15]
	s_waitcnt vmcnt(0) lgkmcnt(0)
	v_cvt_f32_f16_e32 v66, v14
.LBB14_100:                             ;   in Loop: Header=BB14_17 Depth=1
	s_or_b64 exec, exec, vcc
.LBB14_101:                             ;   in Loop: Header=BB14_17 Depth=1
	s_or_b64 exec, exec, s[28:29]
                                        ; implicit-def: $vgpr14_vgpr15
.LBB14_102:                             ;   in Loop: Header=BB14_17 Depth=1
	s_andn2_saveexec_b64 s[26:27], s[26:27]
	s_cbranch_execz .LBB14_120
; %bb.103:                              ;   in Loop: Header=BB14_17 Depth=1
	v_cmp_gt_i16_sdwa s[28:29], v7, v52 src0_sel:BYTE_0 src1_sel:DWORD
                                        ; implicit-def: $vgpr66
	s_and_saveexec_b64 vcc, s[28:29]
	s_xor_b64 s[28:29], exec, vcc
	s_cbranch_execz .LBB14_113
; %bb.104:                              ;   in Loop: Header=BB14_17 Depth=1
	v_cmp_gt_i16_sdwa vcc, v7, v53 src0_sel:BYTE_0 src1_sel:DWORD
                                        ; implicit-def: $vgpr66
	s_and_saveexec_b64 s[30:31], vcc
	s_xor_b64 vcc, exec, s[30:31]
	s_cbranch_execz .LBB14_110
; %bb.105:                              ;   in Loop: Header=BB14_17 Depth=1
	v_cmp_gt_i16_sdwa s[30:31], v7, v54 src0_sel:BYTE_0 src1_sel:DWORD
                                        ; implicit-def: $vgpr66
	s_and_saveexec_b64 s[34:35], s[30:31]
	s_xor_b64 s[30:31], exec, s[34:35]
	s_cbranch_execz .LBB14_107
; %bb.106:                              ;   in Loop: Header=BB14_17 Depth=1
	flat_load_dwordx2 v[14:15], v[14:15]
	s_waitcnt vmcnt(0) lgkmcnt(0)
	v_xor_b32_e32 v66, v14, v15
	v_ffbh_i32_e32 v65, v15
	v_ashrrev_i32_e32 v66, 31, v66
	v_add_u32_e32 v65, -1, v65
	v_add_u32_e32 v66, 32, v66
	v_min_u32_e32 v65, v65, v66
	v_lshlrev_b64 v[14:15], v65, v[14:15]
	v_min_u32_e32 v14, 1, v14
	v_or_b32_e32 v14, v15, v14
	v_cvt_f32_i32_e32 v14, v14
	v_sub_u32_e32 v15, 32, v65
	v_ldexp_f32 v66, v14, v15
                                        ; implicit-def: $vgpr14_vgpr15
.LBB14_107:                             ;   in Loop: Header=BB14_17 Depth=1
	s_andn2_saveexec_b64 s[30:31], s[30:31]
	s_cbranch_execz .LBB14_109
; %bb.108:                              ;   in Loop: Header=BB14_17 Depth=1
	flat_load_dword v14, v[14:15]
	s_waitcnt vmcnt(0) lgkmcnt(0)
	v_cvt_f32_i32_e32 v66, v14
.LBB14_109:                             ;   in Loop: Header=BB14_17 Depth=1
	s_or_b64 exec, exec, s[30:31]
                                        ; implicit-def: $vgpr14_vgpr15
.LBB14_110:                             ;   in Loop: Header=BB14_17 Depth=1
	s_andn2_saveexec_b64 vcc, vcc
	s_cbranch_execz .LBB14_112
; %bb.111:                              ;   in Loop: Header=BB14_17 Depth=1
	flat_load_sshort v14, v[14:15]
	s_waitcnt vmcnt(0) lgkmcnt(0)
	v_cvt_f32_i32_e32 v66, v14
.LBB14_112:                             ;   in Loop: Header=BB14_17 Depth=1
	s_or_b64 exec, exec, vcc
                                        ; implicit-def: $vgpr14_vgpr15
.LBB14_113:                             ;   in Loop: Header=BB14_17 Depth=1
	s_andn2_saveexec_b64 s[28:29], s[28:29]
	s_cbranch_execz .LBB14_119
; %bb.114:                              ;   in Loop: Header=BB14_17 Depth=1
	v_cmp_gt_i16_sdwa vcc, v7, v16 src0_sel:BYTE_0 src1_sel:DWORD
                                        ; implicit-def: $vgpr66
	s_and_saveexec_b64 s[30:31], vcc
	s_xor_b64 vcc, exec, s[30:31]
	s_cbranch_execz .LBB14_116
; %bb.115:                              ;   in Loop: Header=BB14_17 Depth=1
	flat_load_sbyte v14, v[14:15]
	s_waitcnt vmcnt(0) lgkmcnt(0)
	v_cvt_f32_i32_e32 v66, v14
                                        ; implicit-def: $vgpr14_vgpr15
.LBB14_116:                             ;   in Loop: Header=BB14_17 Depth=1
	s_andn2_saveexec_b64 vcc, vcc
	s_cbranch_execz .LBB14_118
; %bb.117:                              ;   in Loop: Header=BB14_17 Depth=1
	flat_load_ubyte v14, v[14:15]
	s_waitcnt vmcnt(0) lgkmcnt(0)
	v_cvt_f32_ubyte0_e32 v66, v14
.LBB14_118:                             ;   in Loop: Header=BB14_17 Depth=1
	s_or_b64 exec, exec, vcc
.LBB14_119:                             ;   in Loop: Header=BB14_17 Depth=1
	s_or_b64 exec, exec, s[28:29]
.LBB14_120:                             ;   in Loop: Header=BB14_17 Depth=1
	s_or_b64 exec, exec, s[26:27]
	s_andn2_b64 s[20:21], s[20:21], exec
	s_andn2_b64 s[18:19], s[18:19], exec
	s_or_b64 s[24:25], s[24:25], exec
	s_or_b64 exec, exec, s[22:23]
	s_mov_b64 s[26:27], 0
	s_and_saveexec_b64 s[22:23], s[24:25]
	s_cbranch_execz .LBB14_126
.LBB14_121:                             ;   in Loop: Header=BB14_17 Depth=1
	v_mul_lo_u32 v14, v64, v10
	v_add_co_u32_e32 v14, vcc, v4, v14
	v_readlane_b32 s24, v44, 0
	v_addc_co_u32_e32 v15, vcc, 0, v5, vcc
	v_add_u32_e32 v65, s24, v17
	v_cmp_gt_i16_sdwa s[24:25], v8, v18 src0_sel:BYTE_0 src1_sel:DWORD
	s_mov_b64 vcc, 0
	s_waitcnt vmcnt(0) lgkmcnt(0)
	buffer_store_dword v66, v65, s[0:3], 0 offen offset:4
                                        ; implicit-def: $sgpr26_sgpr27
                                        ; implicit-def: $sgpr28_sgpr29
                                        ; implicit-def: $vgpr64
	s_and_saveexec_b64 s[30:31], s[24:25]
	s_xor_b64 s[24:25], exec, s[30:31]
	s_cbranch_execnz .LBB14_132
; %bb.122:                              ;   in Loop: Header=BB14_17 Depth=1
	s_andn2_saveexec_b64 s[24:25], s[24:25]
	s_cbranch_execnz .LBB14_191
.LBB14_123:                             ;   in Loop: Header=BB14_17 Depth=1
	s_or_b64 exec, exec, s[24:25]
	s_mov_b64 s[24:25], 0
	s_and_saveexec_b64 s[30:31], vcc
	s_cbranch_execz .LBB14_125
.LBB14_124:                             ;   in Loop: Header=BB14_17 Depth=1
	s_mov_b64 s[24:25], exec
	v_add_u32_e32 v55, 0x200, v55
	s_andn2_b64 s[28:29], s[28:29], exec
	s_andn2_b64 s[26:27], s[26:27], exec
	s_waitcnt vmcnt(0) lgkmcnt(0)
	buffer_store_dword v64, v65, s[0:3], 0 offen
.LBB14_125:                             ;   in Loop: Header=BB14_17 Depth=1
	s_or_b64 exec, exec, s[30:31]
	s_andn2_b64 s[20:21], s[20:21], exec
	s_and_b64 s[28:29], s[28:29], exec
	s_andn2_b64 s[18:19], s[18:19], exec
	s_and_b64 s[26:27], s[26:27], exec
	s_or_b64 s[20:21], s[20:21], s[28:29]
	s_or_b64 s[18:19], s[18:19], s[26:27]
	s_and_b64 s[26:27], s[24:25], exec
.LBB14_126:                             ;   in Loop: Header=BB14_17 Depth=1
	s_or_b64 exec, exec, s[22:23]
	s_and_b64 s[22:23], s[20:21], exec
	s_and_b64 s[20:21], s[18:19], exec
	s_orn2_b64 s[18:19], s[26:27], exec
.LBB14_127:                             ;   in Loop: Header=BB14_17 Depth=1
	s_or_b64 exec, exec, s[14:15]
	s_andn2_b64 s[12:13], s[12:13], exec
	s_and_b64 s[14:15], s[22:23], exec
	s_or_b64 s[12:13], s[12:13], s[14:15]
	s_andn2_b64 s[10:11], s[10:11], exec
	s_and_b64 s[14:15], s[20:21], exec
	s_or_b64 s[10:11], s[10:11], s[14:15]
	s_and_saveexec_b64 s[14:15], s[18:19]
	s_cbranch_execz .LBB14_16
; %bb.128:                              ;   in Loop: Header=BB14_17 Depth=1
	v_cmp_lt_i32_e32 vcc, v55, v6
	s_mov_b64 s[22:23], -1
	s_mov_b64 s[24:25], -1
                                        ; implicit-def: $sgpr16_sgpr17
                                        ; implicit-def: $sgpr18_sgpr19
	s_and_saveexec_b64 s[20:21], vcc
	s_cbranch_execz .LBB14_338
; %bb.129:                              ;   in Loop: Header=BB14_17 Depth=1
	v_readlane_b32 s16, v44, 1
	s_waitcnt vmcnt(0) lgkmcnt(0)
	v_add_u32_e32 v64, s16, v55
	v_mul_lo_u32 v14, v64, v9
	v_add_co_u32_e32 v14, vcc, v2, v14
	v_addc_co_u32_e32 v15, vcc, 0, v3, vcc
	v_cmp_gt_i16_sdwa s[24:25], v7, v18 src0_sel:BYTE_0 src1_sel:DWORD
	s_mov_b64 s[26:27], 0
                                        ; implicit-def: $sgpr16_sgpr17
                                        ; implicit-def: $sgpr18_sgpr19
                                        ; implicit-def: $vgpr66
	s_and_saveexec_b64 s[28:29], s[24:25]
	s_xor_b64 s[24:25], exec, s[28:29]
	s_cbranch_execnz .LBB14_232
; %bb.130:                              ;   in Loop: Header=BB14_17 Depth=1
	s_andn2_saveexec_b64 s[24:25], s[24:25]
	s_cbranch_execnz .LBB14_291
.LBB14_131:                             ;   in Loop: Header=BB14_17 Depth=1
	s_or_b64 exec, exec, s[24:25]
	s_mov_b64 s[28:29], 0
	s_and_saveexec_b64 s[24:25], s[26:27]
	s_cbranch_execnz .LBB14_332
	s_branch .LBB14_337
.LBB14_132:                             ;   in Loop: Header=BB14_17 Depth=1
	v_cmp_gt_i16_sdwa s[26:27], v8, v19 src0_sel:BYTE_0 src1_sel:DWORD
	s_mov_b64 s[30:31], 0
                                        ; implicit-def: $sgpr34_sgpr35
                                        ; implicit-def: $sgpr28_sgpr29
                                        ; implicit-def: $vgpr64
	s_and_saveexec_b64 vcc, s[26:27]
	s_xor_b64 s[26:27], exec, vcc
	s_cbranch_execz .LBB14_164
; %bb.133:                              ;   in Loop: Header=BB14_17 Depth=1
	v_cmp_gt_i16_sdwa vcc, v8, v20 src0_sel:BYTE_0 src1_sel:DWORD
                                        ; implicit-def: $sgpr34_sgpr35
                                        ; implicit-def: $sgpr28_sgpr29
                                        ; implicit-def: $vgpr64
	s_and_saveexec_b64 s[36:37], vcc
	s_xor_b64 s[36:37], exec, s[36:37]
	s_cbranch_execz .LBB14_149
; %bb.134:                              ;   in Loop: Header=BB14_17 Depth=1
	v_cmp_gt_i16_sdwa s[28:29], v8, v21 src0_sel:BYTE_0 src1_sel:DWORD
                                        ; implicit-def: $vcc
                                        ; implicit-def: $sgpr34_sgpr35
                                        ; implicit-def: $vgpr64
	s_and_saveexec_b64 s[38:39], s[28:29]
	s_xor_b64 s[28:29], exec, s[38:39]
	s_cbranch_execz .LBB14_144
; %bb.135:                              ;   in Loop: Header=BB14_17 Depth=1
	v_cmp_gt_i16_sdwa vcc, v8, v22 src0_sel:BYTE_0 src1_sel:DWORD
	s_mov_b64 s[38:39], 0
                                        ; implicit-def: $sgpr34_sgpr35
                                        ; implicit-def: $sgpr30_sgpr31
                                        ; implicit-def: $vgpr64
	s_and_saveexec_b64 s[40:41], vcc
	s_xor_b64 vcc, exec, s[40:41]
	s_cbranch_execz .LBB14_139
; %bb.136:                              ;   in Loop: Header=BB14_17 Depth=1
	v_cmp_eq_u16_sdwa s[40:41], v8, v23 src0_sel:BYTE_0 src1_sel:DWORD
	s_mov_b64 s[30:31], 0
                                        ; implicit-def: $vgpr64
	s_and_saveexec_b64 s[34:35], s[40:41]
	s_cbranch_execz .LBB14_138
; %bb.137:                              ;   in Loop: Header=BB14_17 Depth=1
	flat_load_dword v14, v[14:15]
	s_mov_b64 s[38:39], exec
	s_waitcnt vmcnt(0) lgkmcnt(0)
	v_lshlrev_b32_e32 v64, 16, v14
.LBB14_138:                             ;   in Loop: Header=BB14_17 Depth=1
	s_or_b64 exec, exec, s[34:35]
	s_mov_b64 s[34:35], -1
	s_and_b64 s[38:39], s[38:39], exec
                                        ; implicit-def: $vgpr14_vgpr15
.LBB14_139:                             ;   in Loop: Header=BB14_17 Depth=1
	s_andn2_saveexec_b64 s[40:41], vcc
	s_cbranch_execz .LBB14_143
; %bb.140:                              ;   in Loop: Header=BB14_17 Depth=1
	v_cmp_eq_u16_sdwa s[44:45], v8, v24 src0_sel:BYTE_0 src1_sel:DWORD
	s_mov_b64 vcc, s[38:39]
                                        ; implicit-def: $vgpr64
	s_and_saveexec_b64 s[42:43], s[44:45]
	s_cbranch_execz .LBB14_142
; %bb.141:                              ;   in Loop: Header=BB14_17 Depth=1
	flat_load_ubyte v14, v[14:15]
	s_movk_i32 vcc_lo, 0xff
	s_waitcnt vmcnt(0) lgkmcnt(0)
	v_lshlrev_b32_e32 v15, 23, v14
	v_cmp_ne_u32_e32 vcc, vcc_lo, v14
	v_cndmask_b32_e32 v15, v25, v15, vcc
	v_cmp_ne_u32_e32 vcc, 0, v14
	v_cndmask_b32_e32 v64, v26, v15, vcc
	s_or_b64 vcc, s[38:39], exec
.LBB14_142:                             ;   in Loop: Header=BB14_17 Depth=1
	s_or_b64 exec, exec, s[42:43]
	s_andn2_b64 s[38:39], s[38:39], exec
	s_and_b64 vcc, vcc, exec
	s_or_b64 s[34:35], s[34:35], exec
	s_andn2_b64 s[30:31], s[30:31], exec
	s_or_b64 s[38:39], s[38:39], vcc
.LBB14_143:                             ;   in Loop: Header=BB14_17 Depth=1
	s_or_b64 exec, exec, s[40:41]
	s_and_b64 s[34:35], s[34:35], exec
	s_and_b64 vcc, s[30:31], exec
	s_and_b64 s[30:31], s[38:39], exec
                                        ; implicit-def: $vgpr14_vgpr15
.LBB14_144:                             ;   in Loop: Header=BB14_17 Depth=1
	s_andn2_saveexec_b64 s[28:29], s[28:29]
	s_cbranch_execz .LBB14_148
; %bb.145:                              ;   in Loop: Header=BB14_17 Depth=1
	v_cmp_eq_u16_sdwa s[42:43], v8, v27 src0_sel:BYTE_0 src1_sel:DWORD
	s_mov_b64 s[40:41], s[30:31]
                                        ; implicit-def: $vgpr64
	s_and_saveexec_b64 s[38:39], s[42:43]
	s_cbranch_execz .LBB14_147
; %bb.146:                              ;   in Loop: Header=BB14_17 Depth=1
	flat_load_dwordx2 v[14:15], v[14:15]
	s_or_b64 s[40:41], s[30:31], exec
	s_waitcnt vmcnt(0) lgkmcnt(0)
	v_ffbh_u32_e32 v64, v15
	v_min_u32_e32 v64, 32, v64
	v_lshlrev_b64 v[14:15], v64, v[14:15]
	v_min_u32_e32 v14, 1, v14
	v_or_b32_e32 v14, v15, v14
	v_cvt_f32_u32_e32 v14, v14
	v_sub_u32_e32 v15, 32, v64
	v_ldexp_f32 v64, v14, v15
.LBB14_147:                             ;   in Loop: Header=BB14_17 Depth=1
	s_or_b64 exec, exec, s[38:39]
	s_andn2_b64 s[30:31], s[30:31], exec
	s_and_b64 s[38:39], s[40:41], exec
	s_or_b64 s[34:35], s[34:35], exec
	s_andn2_b64 vcc, vcc, exec
	s_or_b64 s[30:31], s[30:31], s[38:39]
.LBB14_148:                             ;   in Loop: Header=BB14_17 Depth=1
	s_or_b64 exec, exec, s[28:29]
	s_and_b64 s[28:29], s[34:35], exec
	s_and_b64 s[34:35], vcc, exec
	s_and_b64 s[30:31], s[30:31], exec
                                        ; implicit-def: $vgpr14_vgpr15
.LBB14_149:                             ;   in Loop: Header=BB14_17 Depth=1
	s_andn2_saveexec_b64 s[36:37], s[36:37]
	s_cbranch_execz .LBB14_163
; %bb.150:                              ;   in Loop: Header=BB14_17 Depth=1
	v_cmp_gt_i16_sdwa vcc, v8, v28 src0_sel:BYTE_0 src1_sel:DWORD
                                        ; implicit-def: $vgpr64
	s_and_saveexec_b64 s[38:39], vcc
	s_xor_b64 vcc, exec, s[38:39]
	s_cbranch_execz .LBB14_156
; %bb.151:                              ;   in Loop: Header=BB14_17 Depth=1
	v_cmp_gt_i16_sdwa s[38:39], v8, v29 src0_sel:BYTE_0 src1_sel:DWORD
                                        ; implicit-def: $vgpr64
	s_and_saveexec_b64 s[40:41], s[38:39]
	s_xor_b64 s[38:39], exec, s[40:41]
	s_cbranch_execz .LBB14_153
; %bb.152:                              ;   in Loop: Header=BB14_17 Depth=1
	flat_load_dword v14, v[14:15]
	s_waitcnt vmcnt(0) lgkmcnt(0)
	v_cvt_f32_u32_e32 v64, v14
                                        ; implicit-def: $vgpr14_vgpr15
.LBB14_153:                             ;   in Loop: Header=BB14_17 Depth=1
	s_andn2_saveexec_b64 s[38:39], s[38:39]
	s_cbranch_execz .LBB14_155
; %bb.154:                              ;   in Loop: Header=BB14_17 Depth=1
	flat_load_ushort v14, v[14:15]
	s_waitcnt vmcnt(0) lgkmcnt(0)
	v_cvt_f32_u32_e32 v64, v14
.LBB14_155:                             ;   in Loop: Header=BB14_17 Depth=1
	s_or_b64 exec, exec, s[38:39]
                                        ; implicit-def: $vgpr14_vgpr15
.LBB14_156:                             ;   in Loop: Header=BB14_17 Depth=1
	s_andn2_saveexec_b64 s[38:39], vcc
	s_cbranch_execz .LBB14_162
; %bb.157:                              ;   in Loop: Header=BB14_17 Depth=1
	flat_load_ubyte v14, v[14:15]
	s_movk_i32 vcc_lo, 0x7f
	s_mov_b64 s[40:41], 0
                                        ; implicit-def: $sgpr46
	s_waitcnt vmcnt(0) lgkmcnt(0)
	v_cmp_lt_i16_e32 vcc, vcc_lo, v14
	s_and_saveexec_b64 s[42:43], vcc
	s_xor_b64 s[42:43], exec, s[42:43]
	s_cbranch_execnz .LBB14_984
; %bb.158:                              ;   in Loop: Header=BB14_17 Depth=1
	s_or_saveexec_b64 s[42:43], s[42:43]
	v_mov_b32_e32 v64, s46
	s_xor_b64 exec, exec, s[42:43]
	s_cbranch_execnz .LBB14_987
.LBB14_159:                             ;   in Loop: Header=BB14_17 Depth=1
	s_or_b64 exec, exec, s[42:43]
	s_and_saveexec_b64 s[42:43], s[40:41]
	s_cbranch_execz .LBB14_161
.LBB14_160:                             ;   in Loop: Header=BB14_17 Depth=1
	v_lshlrev_b32_e32 v15, 24, v14
	v_and_b32_e32 v14, 0xffff, v14
	v_and_b32_e32 v64, 7, v14
	v_ffbh_u32_e32 v67, v64
	v_min_u32_e32 v67, 32, v67
	v_subrev_u32_e32 v68, 28, v67
	v_bfe_u32 v66, v14, 3, 4
	v_lshlrev_b32_e32 v14, v68, v14
	v_sub_u32_e32 v67, 29, v67
	v_and_b32_e32 v14, 7, v14
	v_cmp_eq_u32_e32 vcc, 0, v66
	v_cndmask_b32_e32 v66, v66, v67, vcc
	v_cndmask_b32_e32 v14, v64, v14, vcc
	v_lshlrev_b32_e32 v14, 20, v14
	v_and_b32_e32 v15, 0x80000000, v15
	v_lshl_add_u32 v64, v66, 23, v30
	v_or3_b32 v64, v15, v64, v14
.LBB14_161:                             ;   in Loop: Header=BB14_17 Depth=1
	s_or_b64 exec, exec, s[42:43]
.LBB14_162:                             ;   in Loop: Header=BB14_17 Depth=1
	s_or_b64 exec, exec, s[38:39]
	s_andn2_b64 s[28:29], s[28:29], exec
	s_andn2_b64 s[34:35], s[34:35], exec
	s_or_b64 s[30:31], s[30:31], exec
.LBB14_163:                             ;   in Loop: Header=BB14_17 Depth=1
	s_or_b64 exec, exec, s[36:37]
	s_and_b64 s[28:29], s[28:29], exec
	s_and_b64 s[34:35], s[34:35], exec
	s_and_b64 s[30:31], s[30:31], exec
                                        ; implicit-def: $vgpr14_vgpr15
.LBB14_164:                             ;   in Loop: Header=BB14_17 Depth=1
	s_andn2_saveexec_b64 s[26:27], s[26:27]
	s_cbranch_execz .LBB14_190
; %bb.165:                              ;   in Loop: Header=BB14_17 Depth=1
	v_cmp_gt_i16_sdwa vcc, v8, v31 src0_sel:BYTE_0 src1_sel:DWORD
	s_mov_b64 s[38:39], s[30:31]
                                        ; implicit-def: $vgpr64
	s_and_saveexec_b64 s[36:37], vcc
	s_xor_b64 s[36:37], exec, s[36:37]
	s_cbranch_execz .LBB14_179
; %bb.166:                              ;   in Loop: Header=BB14_17 Depth=1
	v_cmp_gt_i16_sdwa vcc, v8, v32 src0_sel:BYTE_0 src1_sel:DWORD
                                        ; implicit-def: $vgpr64
	s_and_saveexec_b64 s[38:39], vcc
	s_xor_b64 s[38:39], exec, s[38:39]
	s_cbranch_execz .LBB14_176
; %bb.167:                              ;   in Loop: Header=BB14_17 Depth=1
	v_cmp_gt_i16_sdwa vcc, v8, v33 src0_sel:BYTE_0 src1_sel:DWORD
                                        ; implicit-def: $vgpr64
	s_and_saveexec_b64 s[40:41], vcc
	s_xor_b64 s[40:41], exec, s[40:41]
	s_cbranch_execz .LBB14_173
; %bb.168:                              ;   in Loop: Header=BB14_17 Depth=1
	flat_load_ubyte v14, v[14:15]
	s_movk_i32 vcc_lo, 0x7f
	s_mov_b64 s[42:43], 0
                                        ; implicit-def: $sgpr48
	s_waitcnt vmcnt(0) lgkmcnt(0)
	v_cmp_lt_i16_e32 vcc, vcc_lo, v14
	s_and_saveexec_b64 s[44:45], vcc
	s_xor_b64 s[44:45], exec, s[44:45]
	s_cbranch_execnz .LBB14_1203
; %bb.169:                              ;   in Loop: Header=BB14_17 Depth=1
	s_or_saveexec_b64 s[44:45], s[44:45]
	v_mov_b32_e32 v64, s48
	s_xor_b64 exec, exec, s[44:45]
	s_cbranch_execnz .LBB14_1206
.LBB14_170:                             ;   in Loop: Header=BB14_17 Depth=1
	s_or_b64 exec, exec, s[44:45]
	s_and_saveexec_b64 s[44:45], s[42:43]
	s_cbranch_execz .LBB14_172
.LBB14_171:                             ;   in Loop: Header=BB14_17 Depth=1
	v_lshlrev_b32_e32 v15, 24, v14
	v_and_b32_e32 v14, 0xffff, v14
	v_and_b32_e32 v64, 3, v14
	v_ffbh_u32_e32 v67, v64
	v_min_u32_e32 v67, 32, v67
	v_subrev_u32_e32 v68, 29, v67
	v_bfe_u32 v66, v14, 2, 5
	v_lshlrev_b32_e32 v14, v68, v14
	v_sub_u32_e32 v67, 30, v67
	v_and_b32_e32 v14, 3, v14
	v_cmp_eq_u32_e32 vcc, 0, v66
	v_cndmask_b32_e32 v66, v66, v67, vcc
	v_cndmask_b32_e32 v14, v64, v14, vcc
	v_lshlrev_b32_e32 v14, 21, v14
	v_and_b32_e32 v15, 0x80000000, v15
	v_lshl_add_u32 v64, v66, 23, v34
	v_or3_b32 v64, v15, v64, v14
.LBB14_172:                             ;   in Loop: Header=BB14_17 Depth=1
	s_or_b64 exec, exec, s[44:45]
                                        ; implicit-def: $vgpr14_vgpr15
.LBB14_173:                             ;   in Loop: Header=BB14_17 Depth=1
	s_andn2_saveexec_b64 s[40:41], s[40:41]
	s_cbranch_execz .LBB14_175
; %bb.174:                              ;   in Loop: Header=BB14_17 Depth=1
	flat_load_ubyte v14, v[14:15]
	s_mov_b32 vcc_lo, 0x7f800000
	s_waitcnt vmcnt(0) lgkmcnt(0)
	v_lshlrev_b32_e32 v14, 24, v14
	v_and_b32_e32 v15, 0x7f000000, v14
	v_ffbh_u32_e32 v64, v15
	v_min_u32_e32 v64, 32, v64
	v_sub_u32_e64 v64, v64, 4 clamp
	v_lshlrev_b32_e32 v67, v64, v15
	v_lshlrev_b32_e32 v64, 23, v64
	v_lshrrev_b32_e32 v67, 4, v67
	v_add_u32_e32 v66, 0x1000000, v15
	v_sub_u32_e32 v64, v67, v64
	v_ashrrev_i32_e32 v66, 8, v66
	v_add_u32_e32 v64, 0x3c000000, v64
	v_and_or_b32 v64, v66, vcc_lo, v64
	v_cmp_ne_u32_e32 vcc, 0, v15
	v_cndmask_b32_e32 v15, 0, v64, vcc
	s_brev_b32 vcc_lo, 1
	v_and_or_b32 v64, v14, vcc_lo, v15
.LBB14_175:                             ;   in Loop: Header=BB14_17 Depth=1
	s_or_b64 exec, exec, s[40:41]
                                        ; implicit-def: $vgpr14_vgpr15
.LBB14_176:                             ;   in Loop: Header=BB14_17 Depth=1
	s_andn2_saveexec_b64 s[38:39], s[38:39]
	s_cbranch_execz .LBB14_178
; %bb.177:                              ;   in Loop: Header=BB14_17 Depth=1
	flat_load_ubyte v14, v[14:15]
	s_movk_i32 vcc_lo, 0x7f00
	s_waitcnt vmcnt(0) lgkmcnt(0)
	v_lshlrev_b16_e32 v15, 8, v14
	v_lshlrev_b32_e32 v14, 25, v14
	v_lshrrev_b32_e32 v64, 4, v14
	v_and_or_b32 v66, v15, vcc_lo, 0.5
	v_or_b32_e32 v64, 0x70000000, v64
	s_brev_b32 vcc_lo, 16
	v_add_f32_e32 v66, -0.5, v66
	v_mul_f32_e32 v64, 0x7800000, v64
	v_cmp_gt_u32_e32 vcc, vcc_lo, v14
	v_cndmask_b32_e32 v14, v64, v66, vcc
	v_bfe_i32 v15, v15, 0, 16
	s_brev_b32 vcc_lo, 1
	v_and_or_b32 v64, v15, vcc_lo, v14
.LBB14_178:                             ;   in Loop: Header=BB14_17 Depth=1
	s_or_b64 exec, exec, s[38:39]
	s_or_b64 s[38:39], s[30:31], exec
                                        ; implicit-def: $vgpr14_vgpr15
.LBB14_179:                             ;   in Loop: Header=BB14_17 Depth=1
	s_or_saveexec_b64 s[36:37], s[36:37]
                                        ; implicit-def: $vcc
                                        ; implicit-def: $sgpr44_sgpr45
	s_xor_b64 exec, exec, s[36:37]
	s_cbranch_execz .LBB14_189
; %bb.180:                              ;   in Loop: Header=BB14_17 Depth=1
	v_cmp_gt_i16_sdwa vcc, v8, v35 src0_sel:BYTE_0 src1_sel:DWORD
	s_mov_b64 s[42:43], s[38:39]
                                        ; implicit-def: $sgpr44_sgpr45
                                        ; implicit-def: $sgpr40_sgpr41
                                        ; implicit-def: $vgpr64
	s_and_saveexec_b64 s[46:47], vcc
	s_xor_b64 vcc, exec, s[46:47]
	s_cbranch_execz .LBB14_184
; %bb.181:                              ;   in Loop: Header=BB14_17 Depth=1
	v_cmp_eq_u16_sdwa s[44:45], v8, v36 src0_sel:BYTE_0 src1_sel:DWORD
	s_mov_b64 s[42:43], s[38:39]
                                        ; implicit-def: $vgpr64
	s_and_saveexec_b64 s[40:41], s[44:45]
	s_cbranch_execz .LBB14_183
; %bb.182:                              ;   in Loop: Header=BB14_17 Depth=1
	flat_load_ushort v14, v[14:15]
	s_or_b64 s[42:43], s[38:39], exec
	s_waitcnt vmcnt(0) lgkmcnt(0)
	v_lshlrev_b32_e32 v64, 16, v14
.LBB14_183:                             ;   in Loop: Header=BB14_17 Depth=1
	s_or_b64 exec, exec, s[40:41]
	s_andn2_b64 s[46:47], s[38:39], exec
	s_and_b64 s[42:43], s[42:43], exec
	s_mov_b64 s[40:41], 0
	s_mov_b64 s[44:45], -1
	s_or_b64 s[42:43], s[46:47], s[42:43]
                                        ; implicit-def: $vgpr14_vgpr15
.LBB14_184:                             ;   in Loop: Header=BB14_17 Depth=1
	s_andn2_saveexec_b64 s[46:47], vcc
	s_cbranch_execz .LBB14_188
; %bb.185:                              ;   in Loop: Header=BB14_17 Depth=1
	v_cmp_eq_u16_sdwa s[50:51], v8, v37 src0_sel:BYTE_0 src1_sel:DWORD
	s_mov_b64 vcc, s[42:43]
                                        ; implicit-def: $vgpr64
	s_and_saveexec_b64 s[48:49], s[50:51]
	s_cbranch_execz .LBB14_187
; %bb.186:                              ;   in Loop: Header=BB14_17 Depth=1
	flat_load_ubyte v14, v[14:15]
	s_waitcnt vmcnt(0) lgkmcnt(0)
	v_cmp_ne_u16_e32 vcc, 0, v14
	v_cndmask_b32_e64 v64, 0, 1.0, vcc
	s_or_b64 vcc, s[42:43], exec
.LBB14_187:                             ;   in Loop: Header=BB14_17 Depth=1
	s_or_b64 exec, exec, s[48:49]
	s_andn2_b64 s[42:43], s[42:43], exec
	s_and_b64 vcc, vcc, exec
	s_or_b64 s[44:45], s[44:45], exec
	s_andn2_b64 s[40:41], s[40:41], exec
	s_or_b64 s[42:43], s[42:43], vcc
.LBB14_188:                             ;   in Loop: Header=BB14_17 Depth=1
	s_or_b64 exec, exec, s[46:47]
	s_and_b64 vcc, s[40:41], exec
	s_andn2_b64 s[38:39], s[38:39], exec
	s_and_b64 s[40:41], s[42:43], exec
	s_and_b64 s[44:45], s[44:45], exec
	s_or_b64 s[38:39], s[38:39], s[40:41]
.LBB14_189:                             ;   in Loop: Header=BB14_17 Depth=1
	s_or_b64 exec, exec, s[36:37]
	s_andn2_b64 s[34:35], s[34:35], exec
	s_and_b64 vcc, vcc, exec
	s_andn2_b64 s[28:29], s[28:29], exec
	s_and_b64 s[36:37], s[44:45], exec
	s_or_b64 s[34:35], s[34:35], vcc
	s_andn2_b64 vcc, s[30:31], exec
	s_and_b64 s[30:31], s[38:39], exec
	s_or_b64 s[28:29], s[28:29], s[36:37]
	s_or_b64 s[30:31], vcc, s[30:31]
.LBB14_190:                             ;   in Loop: Header=BB14_17 Depth=1
	s_or_b64 exec, exec, s[26:27]
	s_and_b64 s[28:29], s[28:29], exec
	s_and_b64 s[26:27], s[34:35], exec
	s_and_b64 vcc, s[30:31], exec
                                        ; implicit-def: $vgpr14_vgpr15
	s_andn2_saveexec_b64 s[24:25], s[24:25]
	s_cbranch_execz .LBB14_123
.LBB14_191:                             ;   in Loop: Header=BB14_17 Depth=1
	v_cmp_gt_i16_sdwa s[30:31], v8, v38 src0_sel:BYTE_0 src1_sel:DWORD
                                        ; implicit-def: $vgpr64
	s_and_saveexec_b64 s[34:35], s[30:31]
	s_xor_b64 s[30:31], exec, s[34:35]
	s_cbranch_execz .LBB14_213
; %bb.192:                              ;   in Loop: Header=BB14_17 Depth=1
	v_cmp_gt_i16_sdwa s[34:35], v8, v39 src0_sel:BYTE_0 src1_sel:DWORD
                                        ; implicit-def: $vgpr64
	s_and_saveexec_b64 s[36:37], s[34:35]
	s_xor_b64 s[34:35], exec, s[36:37]
	s_cbranch_execz .LBB14_202
; %bb.193:                              ;   in Loop: Header=BB14_17 Depth=1
	v_cmp_gt_i16_sdwa s[36:37], v8, v48 src0_sel:BYTE_0 src1_sel:DWORD
                                        ; implicit-def: $vgpr64
	s_and_saveexec_b64 s[38:39], s[36:37]
	s_xor_b64 s[36:37], exec, s[38:39]
	s_cbranch_execz .LBB14_199
; %bb.194:                              ;   in Loop: Header=BB14_17 Depth=1
	v_cmp_gt_i16_sdwa s[38:39], v8, v49 src0_sel:BYTE_0 src1_sel:DWORD
                                        ; implicit-def: $vgpr64
	s_and_saveexec_b64 s[40:41], s[38:39]
	s_xor_b64 s[38:39], exec, s[40:41]
	s_cbranch_execz .LBB14_196
; %bb.195:                              ;   in Loop: Header=BB14_17 Depth=1
	flat_load_dwordx2 v[14:15], v[14:15]
	s_waitcnt vmcnt(0) lgkmcnt(0)
	v_cvt_f32_f64_e32 v64, v[14:15]
                                        ; implicit-def: $vgpr14_vgpr15
.LBB14_196:                             ;   in Loop: Header=BB14_17 Depth=1
	s_andn2_saveexec_b64 s[38:39], s[38:39]
	s_cbranch_execz .LBB14_198
; %bb.197:                              ;   in Loop: Header=BB14_17 Depth=1
	flat_load_dword v64, v[14:15]
.LBB14_198:                             ;   in Loop: Header=BB14_17 Depth=1
	s_or_b64 exec, exec, s[38:39]
                                        ; implicit-def: $vgpr14_vgpr15
.LBB14_199:                             ;   in Loop: Header=BB14_17 Depth=1
	s_andn2_saveexec_b64 s[36:37], s[36:37]
	s_cbranch_execz .LBB14_201
; %bb.200:                              ;   in Loop: Header=BB14_17 Depth=1
	flat_load_dword v14, v[14:15]
	s_waitcnt vmcnt(0) lgkmcnt(0)
	v_cvt_f32_f16_e32 v64, v14
.LBB14_201:                             ;   in Loop: Header=BB14_17 Depth=1
	s_or_b64 exec, exec, s[36:37]
                                        ; implicit-def: $vgpr14_vgpr15
.LBB14_202:                             ;   in Loop: Header=BB14_17 Depth=1
	s_andn2_saveexec_b64 s[34:35], s[34:35]
	s_cbranch_execz .LBB14_212
; %bb.203:                              ;   in Loop: Header=BB14_17 Depth=1
	v_cmp_gt_i16_sdwa s[36:37], v8, v50 src0_sel:BYTE_0 src1_sel:DWORD
                                        ; implicit-def: $vgpr64
	s_and_saveexec_b64 s[38:39], s[36:37]
	s_xor_b64 s[36:37], exec, s[38:39]
	s_cbranch_execz .LBB14_209
; %bb.204:                              ;   in Loop: Header=BB14_17 Depth=1
	v_cmp_gt_i16_sdwa s[38:39], v8, v51 src0_sel:BYTE_0 src1_sel:DWORD
                                        ; implicit-def: $vgpr64
	s_and_saveexec_b64 s[40:41], s[38:39]
	s_xor_b64 s[38:39], exec, s[40:41]
	s_cbranch_execz .LBB14_206
; %bb.205:                              ;   in Loop: Header=BB14_17 Depth=1
	flat_load_dwordx2 v[14:15], v[14:15]
	s_waitcnt vmcnt(0) lgkmcnt(0)
	v_cvt_f32_f64_e32 v64, v[14:15]
                                        ; implicit-def: $vgpr14_vgpr15
.LBB14_206:                             ;   in Loop: Header=BB14_17 Depth=1
	s_andn2_saveexec_b64 s[38:39], s[38:39]
	s_cbranch_execz .LBB14_208
; %bb.207:                              ;   in Loop: Header=BB14_17 Depth=1
	s_waitcnt vmcnt(0) lgkmcnt(0)
	flat_load_dword v64, v[14:15]
.LBB14_208:                             ;   in Loop: Header=BB14_17 Depth=1
	s_or_b64 exec, exec, s[38:39]
                                        ; implicit-def: $vgpr14_vgpr15
.LBB14_209:                             ;   in Loop: Header=BB14_17 Depth=1
	s_andn2_saveexec_b64 s[36:37], s[36:37]
	s_cbranch_execz .LBB14_211
; %bb.210:                              ;   in Loop: Header=BB14_17 Depth=1
	flat_load_ushort v14, v[14:15]
	s_waitcnt vmcnt(0) lgkmcnt(0)
	v_cvt_f32_f16_e32 v64, v14
.LBB14_211:                             ;   in Loop: Header=BB14_17 Depth=1
	s_or_b64 exec, exec, s[36:37]
.LBB14_212:                             ;   in Loop: Header=BB14_17 Depth=1
	s_or_b64 exec, exec, s[34:35]
                                        ; implicit-def: $vgpr14_vgpr15
.LBB14_213:                             ;   in Loop: Header=BB14_17 Depth=1
	s_andn2_saveexec_b64 s[30:31], s[30:31]
	s_cbranch_execz .LBB14_231
; %bb.214:                              ;   in Loop: Header=BB14_17 Depth=1
	v_cmp_gt_i16_sdwa s[34:35], v8, v52 src0_sel:BYTE_0 src1_sel:DWORD
                                        ; implicit-def: $vgpr64
	s_and_saveexec_b64 s[36:37], s[34:35]
	s_xor_b64 s[34:35], exec, s[36:37]
	s_cbranch_execz .LBB14_224
; %bb.215:                              ;   in Loop: Header=BB14_17 Depth=1
	v_cmp_gt_i16_sdwa s[36:37], v8, v53 src0_sel:BYTE_0 src1_sel:DWORD
                                        ; implicit-def: $vgpr64
	s_and_saveexec_b64 s[38:39], s[36:37]
	s_xor_b64 s[36:37], exec, s[38:39]
	;; [unrolled: 6-line block ×3, first 2 shown]
	s_cbranch_execz .LBB14_218
; %bb.217:                              ;   in Loop: Header=BB14_17 Depth=1
	flat_load_dwordx2 v[14:15], v[14:15]
	s_waitcnt vmcnt(0) lgkmcnt(0)
	v_xor_b32_e32 v66, v14, v15
	v_ffbh_i32_e32 v64, v15
	v_ashrrev_i32_e32 v66, 31, v66
	v_add_u32_e32 v64, -1, v64
	v_add_u32_e32 v66, 32, v66
	v_min_u32_e32 v64, v64, v66
	v_lshlrev_b64 v[14:15], v64, v[14:15]
	v_min_u32_e32 v14, 1, v14
	v_or_b32_e32 v14, v15, v14
	v_cvt_f32_i32_e32 v14, v14
	v_sub_u32_e32 v15, 32, v64
	v_ldexp_f32 v64, v14, v15
                                        ; implicit-def: $vgpr14_vgpr15
.LBB14_218:                             ;   in Loop: Header=BB14_17 Depth=1
	s_andn2_saveexec_b64 s[38:39], s[38:39]
	s_cbranch_execz .LBB14_220
; %bb.219:                              ;   in Loop: Header=BB14_17 Depth=1
	flat_load_dword v14, v[14:15]
	s_waitcnt vmcnt(0) lgkmcnt(0)
	v_cvt_f32_i32_e32 v64, v14
.LBB14_220:                             ;   in Loop: Header=BB14_17 Depth=1
	s_or_b64 exec, exec, s[38:39]
                                        ; implicit-def: $vgpr14_vgpr15
.LBB14_221:                             ;   in Loop: Header=BB14_17 Depth=1
	s_andn2_saveexec_b64 s[36:37], s[36:37]
	s_cbranch_execz .LBB14_223
; %bb.222:                              ;   in Loop: Header=BB14_17 Depth=1
	flat_load_sshort v14, v[14:15]
	s_waitcnt vmcnt(0) lgkmcnt(0)
	v_cvt_f32_i32_e32 v64, v14
.LBB14_223:                             ;   in Loop: Header=BB14_17 Depth=1
	s_or_b64 exec, exec, s[36:37]
                                        ; implicit-def: $vgpr14_vgpr15
.LBB14_224:                             ;   in Loop: Header=BB14_17 Depth=1
	s_andn2_saveexec_b64 s[34:35], s[34:35]
	s_cbranch_execz .LBB14_230
; %bb.225:                              ;   in Loop: Header=BB14_17 Depth=1
	v_cmp_gt_i16_sdwa s[36:37], v8, v16 src0_sel:BYTE_0 src1_sel:DWORD
                                        ; implicit-def: $vgpr64
	s_and_saveexec_b64 s[38:39], s[36:37]
	s_xor_b64 s[36:37], exec, s[38:39]
	s_cbranch_execz .LBB14_227
; %bb.226:                              ;   in Loop: Header=BB14_17 Depth=1
	flat_load_sbyte v14, v[14:15]
	s_waitcnt vmcnt(0) lgkmcnt(0)
	v_cvt_f32_i32_e32 v64, v14
                                        ; implicit-def: $vgpr14_vgpr15
.LBB14_227:                             ;   in Loop: Header=BB14_17 Depth=1
	s_andn2_saveexec_b64 s[36:37], s[36:37]
	s_cbranch_execz .LBB14_229
; %bb.228:                              ;   in Loop: Header=BB14_17 Depth=1
	flat_load_ubyte v14, v[14:15]
	s_waitcnt vmcnt(0) lgkmcnt(0)
	v_cvt_f32_ubyte0_e32 v64, v14
.LBB14_229:                             ;   in Loop: Header=BB14_17 Depth=1
	s_or_b64 exec, exec, s[36:37]
.LBB14_230:                             ;   in Loop: Header=BB14_17 Depth=1
	s_or_b64 exec, exec, s[34:35]
.LBB14_231:                             ;   in Loop: Header=BB14_17 Depth=1
	s_or_b64 exec, exec, s[30:31]
	s_andn2_b64 s[28:29], s[28:29], exec
	s_andn2_b64 s[26:27], s[26:27], exec
	s_or_b64 vcc, vcc, exec
	s_or_b64 exec, exec, s[24:25]
	s_mov_b64 s[24:25], 0
	s_and_saveexec_b64 s[30:31], vcc
	s_cbranch_execnz .LBB14_124
	s_branch .LBB14_125
.LBB14_232:                             ;   in Loop: Header=BB14_17 Depth=1
	v_cmp_gt_i16_sdwa s[16:17], v7, v19 src0_sel:BYTE_0 src1_sel:DWORD
                                        ; implicit-def: $sgpr28_sgpr29
                                        ; implicit-def: $sgpr18_sgpr19
                                        ; implicit-def: $vgpr66
	s_and_saveexec_b64 vcc, s[16:17]
	s_xor_b64 s[16:17], exec, vcc
	s_cbranch_execz .LBB14_264
; %bb.233:                              ;   in Loop: Header=BB14_17 Depth=1
	v_cmp_gt_i16_sdwa s[18:19], v7, v20 src0_sel:BYTE_0 src1_sel:DWORD
                                        ; implicit-def: $sgpr28_sgpr29
                                        ; implicit-def: $sgpr30_sgpr31
                                        ; implicit-def: $vgpr66
	s_and_saveexec_b64 vcc, s[18:19]
	s_xor_b64 s[18:19], exec, vcc
	s_cbranch_execz .LBB14_249
; %bb.234:                              ;   in Loop: Header=BB14_17 Depth=1
	v_cmp_gt_i16_sdwa s[26:27], v7, v21 src0_sel:BYTE_0 src1_sel:DWORD
	s_mov_b64 vcc, 0
                                        ; implicit-def: $sgpr28_sgpr29
                                        ; implicit-def: $sgpr30_sgpr31
                                        ; implicit-def: $vgpr66
	s_and_saveexec_b64 s[34:35], s[26:27]
	s_xor_b64 s[26:27], exec, s[34:35]
	s_cbranch_execz .LBB14_244
; %bb.235:                              ;   in Loop: Header=BB14_17 Depth=1
	v_cmp_gt_i16_sdwa vcc, v7, v22 src0_sel:BYTE_0 src1_sel:DWORD
	s_mov_b64 s[34:35], 0
                                        ; implicit-def: $sgpr28_sgpr29
                                        ; implicit-def: $sgpr36_sgpr37
                                        ; implicit-def: $vgpr66
	s_and_saveexec_b64 s[30:31], vcc
	s_xor_b64 vcc, exec, s[30:31]
	s_cbranch_execz .LBB14_239
; %bb.236:                              ;   in Loop: Header=BB14_17 Depth=1
	v_cmp_eq_u16_sdwa s[36:37], v7, v23 src0_sel:BYTE_0 src1_sel:DWORD
	s_mov_b64 s[28:29], 0
	s_mov_b64 s[30:31], 0
                                        ; implicit-def: $vgpr66
	s_and_saveexec_b64 s[34:35], s[36:37]
	s_cbranch_execz .LBB14_238
; %bb.237:                              ;   in Loop: Header=BB14_17 Depth=1
	flat_load_dword v14, v[14:15]
	s_mov_b64 s[30:31], exec
	s_waitcnt vmcnt(0) lgkmcnt(0)
	v_lshlrev_b32_e32 v66, 16, v14
.LBB14_238:                             ;   in Loop: Header=BB14_17 Depth=1
	s_or_b64 exec, exec, s[34:35]
	s_mov_b64 s[36:37], -1
	s_and_b64 s[34:35], s[30:31], exec
                                        ; implicit-def: $vgpr14_vgpr15
.LBB14_239:                             ;   in Loop: Header=BB14_17 Depth=1
	s_andn2_saveexec_b64 s[30:31], vcc
	s_cbranch_execz .LBB14_243
; %bb.240:                              ;   in Loop: Header=BB14_17 Depth=1
	v_cmp_eq_u16_sdwa s[40:41], v7, v24 src0_sel:BYTE_0 src1_sel:DWORD
	s_mov_b64 vcc, s[34:35]
                                        ; implicit-def: $vgpr66
	s_and_saveexec_b64 s[38:39], s[40:41]
	s_cbranch_execz .LBB14_242
; %bb.241:                              ;   in Loop: Header=BB14_17 Depth=1
	flat_load_ubyte v14, v[14:15]
	s_movk_i32 vcc_lo, 0xff
	s_waitcnt vmcnt(0) lgkmcnt(0)
	v_lshlrev_b32_e32 v15, 23, v14
	v_cmp_ne_u32_e32 vcc, vcc_lo, v14
	v_cndmask_b32_e32 v15, v25, v15, vcc
	v_cmp_ne_u32_e32 vcc, 0, v14
	v_cndmask_b32_e32 v66, v26, v15, vcc
	s_or_b64 vcc, s[34:35], exec
.LBB14_242:                             ;   in Loop: Header=BB14_17 Depth=1
	s_or_b64 exec, exec, s[38:39]
	s_andn2_b64 s[34:35], s[34:35], exec
	s_and_b64 vcc, vcc, exec
	s_andn2_b64 s[28:29], s[28:29], exec
	s_or_b64 s[36:37], s[36:37], exec
	s_or_b64 s[34:35], s[34:35], vcc
.LBB14_243:                             ;   in Loop: Header=BB14_17 Depth=1
	s_or_b64 exec, exec, s[30:31]
	s_and_b64 s[30:31], s[28:29], exec
	s_and_b64 s[28:29], s[36:37], exec
	s_and_b64 vcc, s[34:35], exec
                                        ; implicit-def: $vgpr14_vgpr15
.LBB14_244:                             ;   in Loop: Header=BB14_17 Depth=1
	s_andn2_saveexec_b64 s[26:27], s[26:27]
	s_cbranch_execz .LBB14_248
; %bb.245:                              ;   in Loop: Header=BB14_17 Depth=1
	v_cmp_eq_u16_sdwa s[38:39], v7, v27 src0_sel:BYTE_0 src1_sel:DWORD
	s_mov_b64 s[36:37], vcc
                                        ; implicit-def: $vgpr66
	s_and_saveexec_b64 s[34:35], s[38:39]
	s_cbranch_execz .LBB14_247
; %bb.246:                              ;   in Loop: Header=BB14_17 Depth=1
	flat_load_dwordx2 v[14:15], v[14:15]
	s_or_b64 s[36:37], vcc, exec
	s_waitcnt vmcnt(0) lgkmcnt(0)
	v_ffbh_u32_e32 v65, v15
	v_min_u32_e32 v65, 32, v65
	v_lshlrev_b64 v[14:15], v65, v[14:15]
	v_min_u32_e32 v14, 1, v14
	v_or_b32_e32 v14, v15, v14
	v_cvt_f32_u32_e32 v14, v14
	v_sub_u32_e32 v15, 32, v65
	v_ldexp_f32 v66, v14, v15
.LBB14_247:                             ;   in Loop: Header=BB14_17 Depth=1
	s_or_b64 exec, exec, s[34:35]
	s_andn2_b64 vcc, vcc, exec
	s_and_b64 s[34:35], s[36:37], exec
	s_andn2_b64 s[30:31], s[30:31], exec
	s_or_b64 s[28:29], s[28:29], exec
	s_or_b64 vcc, vcc, s[34:35]
.LBB14_248:                             ;   in Loop: Header=BB14_17 Depth=1
	s_or_b64 exec, exec, s[26:27]
	s_and_b64 s[30:31], s[30:31], exec
	s_and_b64 s[28:29], s[28:29], exec
	s_and_b64 s[26:27], vcc, exec
                                        ; implicit-def: $vgpr14_vgpr15
.LBB14_249:                             ;   in Loop: Header=BB14_17 Depth=1
	s_andn2_saveexec_b64 s[18:19], s[18:19]
	s_cbranch_execz .LBB14_263
; %bb.250:                              ;   in Loop: Header=BB14_17 Depth=1
	v_cmp_gt_i16_sdwa vcc, v7, v28 src0_sel:BYTE_0 src1_sel:DWORD
                                        ; implicit-def: $vgpr66
	s_and_saveexec_b64 s[34:35], vcc
	s_xor_b64 vcc, exec, s[34:35]
	s_cbranch_execz .LBB14_256
; %bb.251:                              ;   in Loop: Header=BB14_17 Depth=1
	v_cmp_gt_i16_sdwa s[34:35], v7, v29 src0_sel:BYTE_0 src1_sel:DWORD
                                        ; implicit-def: $vgpr66
	s_and_saveexec_b64 s[36:37], s[34:35]
	s_xor_b64 s[34:35], exec, s[36:37]
	s_cbranch_execz .LBB14_253
; %bb.252:                              ;   in Loop: Header=BB14_17 Depth=1
	flat_load_dword v14, v[14:15]
	s_waitcnt vmcnt(0) lgkmcnt(0)
	v_cvt_f32_u32_e32 v66, v14
                                        ; implicit-def: $vgpr14_vgpr15
.LBB14_253:                             ;   in Loop: Header=BB14_17 Depth=1
	s_andn2_saveexec_b64 s[34:35], s[34:35]
	s_cbranch_execz .LBB14_255
; %bb.254:                              ;   in Loop: Header=BB14_17 Depth=1
	flat_load_ushort v14, v[14:15]
	s_waitcnt vmcnt(0) lgkmcnt(0)
	v_cvt_f32_u32_e32 v66, v14
.LBB14_255:                             ;   in Loop: Header=BB14_17 Depth=1
	s_or_b64 exec, exec, s[34:35]
                                        ; implicit-def: $vgpr14_vgpr15
.LBB14_256:                             ;   in Loop: Header=BB14_17 Depth=1
	s_andn2_saveexec_b64 s[34:35], vcc
	s_cbranch_execz .LBB14_262
; %bb.257:                              ;   in Loop: Header=BB14_17 Depth=1
	flat_load_ubyte v14, v[14:15]
	s_movk_i32 vcc_lo, 0x7f
	s_mov_b64 s[36:37], 0
                                        ; implicit-def: $sgpr42
	s_waitcnt vmcnt(0) lgkmcnt(0)
	v_cmp_lt_i16_e32 vcc, vcc_lo, v14
	s_and_saveexec_b64 s[38:39], vcc
	s_xor_b64 s[38:39], exec, s[38:39]
	s_cbranch_execnz .LBB14_988
; %bb.258:                              ;   in Loop: Header=BB14_17 Depth=1
	s_or_saveexec_b64 s[38:39], s[38:39]
	v_mov_b32_e32 v66, s42
	s_xor_b64 exec, exec, s[38:39]
	s_cbranch_execnz .LBB14_991
.LBB14_259:                             ;   in Loop: Header=BB14_17 Depth=1
	s_or_b64 exec, exec, s[38:39]
	s_and_saveexec_b64 s[38:39], s[36:37]
	s_cbranch_execz .LBB14_261
.LBB14_260:                             ;   in Loop: Header=BB14_17 Depth=1
	v_lshlrev_b32_e32 v15, 24, v14
	v_and_b32_e32 v14, 0xffff, v14
	v_and_b32_e32 v65, 7, v14
	v_ffbh_u32_e32 v67, v65
	v_min_u32_e32 v67, 32, v67
	v_subrev_u32_e32 v68, 28, v67
	v_bfe_u32 v66, v14, 3, 4
	v_lshlrev_b32_e32 v14, v68, v14
	v_sub_u32_e32 v67, 29, v67
	v_and_b32_e32 v14, 7, v14
	v_cmp_eq_u32_e32 vcc, 0, v66
	v_cndmask_b32_e32 v66, v66, v67, vcc
	v_cndmask_b32_e32 v14, v65, v14, vcc
	v_lshlrev_b32_e32 v14, 20, v14
	v_and_b32_e32 v15, 0x80000000, v15
	v_lshl_add_u32 v65, v66, 23, v30
	v_or3_b32 v66, v15, v65, v14
.LBB14_261:                             ;   in Loop: Header=BB14_17 Depth=1
	s_or_b64 exec, exec, s[38:39]
.LBB14_262:                             ;   in Loop: Header=BB14_17 Depth=1
	s_or_b64 exec, exec, s[34:35]
	s_andn2_b64 s[30:31], s[30:31], exec
	s_andn2_b64 s[28:29], s[28:29], exec
	s_or_b64 s[26:27], s[26:27], exec
.LBB14_263:                             ;   in Loop: Header=BB14_17 Depth=1
	s_or_b64 exec, exec, s[18:19]
	s_and_b64 s[18:19], s[30:31], exec
	s_and_b64 s[28:29], s[28:29], exec
	;; [unrolled: 1-line block ×3, first 2 shown]
                                        ; implicit-def: $vgpr14_vgpr15
.LBB14_264:                             ;   in Loop: Header=BB14_17 Depth=1
	s_andn2_saveexec_b64 s[16:17], s[16:17]
	s_cbranch_execz .LBB14_290
; %bb.265:                              ;   in Loop: Header=BB14_17 Depth=1
	v_cmp_gt_i16_sdwa vcc, v7, v31 src0_sel:BYTE_0 src1_sel:DWORD
	s_mov_b64 s[34:35], s[26:27]
                                        ; implicit-def: $vgpr66
	s_and_saveexec_b64 s[30:31], vcc
	s_xor_b64 s[30:31], exec, s[30:31]
	s_cbranch_execz .LBB14_279
; %bb.266:                              ;   in Loop: Header=BB14_17 Depth=1
	v_cmp_gt_i16_sdwa vcc, v7, v32 src0_sel:BYTE_0 src1_sel:DWORD
                                        ; implicit-def: $vgpr66
	s_and_saveexec_b64 s[34:35], vcc
	s_xor_b64 s[34:35], exec, s[34:35]
	s_cbranch_execz .LBB14_276
; %bb.267:                              ;   in Loop: Header=BB14_17 Depth=1
	v_cmp_gt_i16_sdwa vcc, v7, v33 src0_sel:BYTE_0 src1_sel:DWORD
                                        ; implicit-def: $vgpr66
	s_and_saveexec_b64 s[36:37], vcc
	s_xor_b64 s[36:37], exec, s[36:37]
	s_cbranch_execz .LBB14_273
; %bb.268:                              ;   in Loop: Header=BB14_17 Depth=1
	flat_load_ubyte v14, v[14:15]
	s_movk_i32 vcc_lo, 0x7f
	s_mov_b64 s[38:39], 0
                                        ; implicit-def: $sgpr44
	s_waitcnt vmcnt(0) lgkmcnt(0)
	v_cmp_lt_i16_e32 vcc, vcc_lo, v14
	s_and_saveexec_b64 s[40:41], vcc
	s_xor_b64 s[40:41], exec, s[40:41]
	s_cbranch_execnz .LBB14_1207
; %bb.269:                              ;   in Loop: Header=BB14_17 Depth=1
	s_or_saveexec_b64 s[40:41], s[40:41]
	v_mov_b32_e32 v66, s44
	s_xor_b64 exec, exec, s[40:41]
	s_cbranch_execnz .LBB14_1210
.LBB14_270:                             ;   in Loop: Header=BB14_17 Depth=1
	s_or_b64 exec, exec, s[40:41]
	s_and_saveexec_b64 s[40:41], s[38:39]
	s_cbranch_execz .LBB14_272
.LBB14_271:                             ;   in Loop: Header=BB14_17 Depth=1
	v_lshlrev_b32_e32 v15, 24, v14
	v_and_b32_e32 v14, 0xffff, v14
	v_and_b32_e32 v65, 3, v14
	v_ffbh_u32_e32 v67, v65
	v_min_u32_e32 v67, 32, v67
	v_subrev_u32_e32 v68, 29, v67
	v_bfe_u32 v66, v14, 2, 5
	v_lshlrev_b32_e32 v14, v68, v14
	v_sub_u32_e32 v67, 30, v67
	v_and_b32_e32 v14, 3, v14
	v_cmp_eq_u32_e32 vcc, 0, v66
	v_cndmask_b32_e32 v66, v66, v67, vcc
	v_cndmask_b32_e32 v14, v65, v14, vcc
	v_lshlrev_b32_e32 v14, 21, v14
	v_and_b32_e32 v15, 0x80000000, v15
	v_lshl_add_u32 v65, v66, 23, v34
	v_or3_b32 v66, v15, v65, v14
.LBB14_272:                             ;   in Loop: Header=BB14_17 Depth=1
	s_or_b64 exec, exec, s[40:41]
                                        ; implicit-def: $vgpr14_vgpr15
.LBB14_273:                             ;   in Loop: Header=BB14_17 Depth=1
	s_andn2_saveexec_b64 s[36:37], s[36:37]
	s_cbranch_execz .LBB14_275
; %bb.274:                              ;   in Loop: Header=BB14_17 Depth=1
	flat_load_ubyte v14, v[14:15]
	s_mov_b32 vcc_lo, 0x7f800000
	s_waitcnt vmcnt(0) lgkmcnt(0)
	v_lshlrev_b32_e32 v14, 24, v14
	v_and_b32_e32 v15, 0x7f000000, v14
	v_ffbh_u32_e32 v65, v15
	v_min_u32_e32 v65, 32, v65
	v_sub_u32_e64 v65, v65, 4 clamp
	v_lshlrev_b32_e32 v67, v65, v15
	v_lshlrev_b32_e32 v65, 23, v65
	v_lshrrev_b32_e32 v67, 4, v67
	v_add_u32_e32 v66, 0x1000000, v15
	v_sub_u32_e32 v65, v67, v65
	v_ashrrev_i32_e32 v66, 8, v66
	v_add_u32_e32 v65, 0x3c000000, v65
	v_and_or_b32 v65, v66, vcc_lo, v65
	v_cmp_ne_u32_e32 vcc, 0, v15
	v_cndmask_b32_e32 v15, 0, v65, vcc
	s_brev_b32 vcc_lo, 1
	v_and_or_b32 v66, v14, vcc_lo, v15
.LBB14_275:                             ;   in Loop: Header=BB14_17 Depth=1
	s_or_b64 exec, exec, s[36:37]
                                        ; implicit-def: $vgpr14_vgpr15
.LBB14_276:                             ;   in Loop: Header=BB14_17 Depth=1
	s_andn2_saveexec_b64 s[34:35], s[34:35]
	s_cbranch_execz .LBB14_278
; %bb.277:                              ;   in Loop: Header=BB14_17 Depth=1
	flat_load_ubyte v14, v[14:15]
	s_movk_i32 vcc_lo, 0x7f00
	s_waitcnt vmcnt(0) lgkmcnt(0)
	v_lshlrev_b16_e32 v15, 8, v14
	v_lshlrev_b32_e32 v14, 25, v14
	v_lshrrev_b32_e32 v65, 4, v14
	v_and_or_b32 v66, v15, vcc_lo, 0.5
	v_or_b32_e32 v65, 0x70000000, v65
	s_brev_b32 vcc_lo, 16
	v_add_f32_e32 v66, -0.5, v66
	v_mul_f32_e32 v65, 0x7800000, v65
	v_cmp_gt_u32_e32 vcc, vcc_lo, v14
	v_cndmask_b32_e32 v14, v65, v66, vcc
	v_bfe_i32 v15, v15, 0, 16
	s_brev_b32 vcc_lo, 1
	v_and_or_b32 v66, v15, vcc_lo, v14
.LBB14_278:                             ;   in Loop: Header=BB14_17 Depth=1
	s_or_b64 exec, exec, s[34:35]
	s_or_b64 s[34:35], s[26:27], exec
                                        ; implicit-def: $vgpr14_vgpr15
.LBB14_279:                             ;   in Loop: Header=BB14_17 Depth=1
	s_or_saveexec_b64 s[30:31], s[30:31]
                                        ; implicit-def: $vcc
                                        ; implicit-def: $sgpr40_sgpr41
	s_xor_b64 exec, exec, s[30:31]
	s_cbranch_execz .LBB14_289
; %bb.280:                              ;   in Loop: Header=BB14_17 Depth=1
	v_cmp_gt_i16_sdwa vcc, v7, v35 src0_sel:BYTE_0 src1_sel:DWORD
	s_mov_b64 s[38:39], s[34:35]
                                        ; implicit-def: $sgpr40_sgpr41
                                        ; implicit-def: $sgpr36_sgpr37
                                        ; implicit-def: $vgpr66
	s_and_saveexec_b64 s[42:43], vcc
	s_xor_b64 vcc, exec, s[42:43]
	s_cbranch_execz .LBB14_284
; %bb.281:                              ;   in Loop: Header=BB14_17 Depth=1
	v_cmp_eq_u16_sdwa s[40:41], v7, v36 src0_sel:BYTE_0 src1_sel:DWORD
	s_mov_b64 s[38:39], s[34:35]
                                        ; implicit-def: $vgpr66
	s_and_saveexec_b64 s[36:37], s[40:41]
	s_cbranch_execz .LBB14_283
; %bb.282:                              ;   in Loop: Header=BB14_17 Depth=1
	flat_load_ushort v14, v[14:15]
	s_or_b64 s[38:39], s[34:35], exec
	s_waitcnt vmcnt(0) lgkmcnt(0)
	v_lshlrev_b32_e32 v66, 16, v14
.LBB14_283:                             ;   in Loop: Header=BB14_17 Depth=1
	s_or_b64 exec, exec, s[36:37]
	s_andn2_b64 s[42:43], s[34:35], exec
	s_and_b64 s[38:39], s[38:39], exec
	s_mov_b64 s[36:37], -1
	s_mov_b64 s[40:41], 0
	s_or_b64 s[38:39], s[42:43], s[38:39]
                                        ; implicit-def: $vgpr14_vgpr15
.LBB14_284:                             ;   in Loop: Header=BB14_17 Depth=1
	s_andn2_saveexec_b64 s[42:43], vcc
	s_cbranch_execz .LBB14_288
; %bb.285:                              ;   in Loop: Header=BB14_17 Depth=1
	v_cmp_eq_u16_sdwa s[46:47], v7, v37 src0_sel:BYTE_0 src1_sel:DWORD
	s_mov_b64 vcc, s[38:39]
                                        ; implicit-def: $vgpr66
	s_and_saveexec_b64 s[44:45], s[46:47]
	s_cbranch_execz .LBB14_287
; %bb.286:                              ;   in Loop: Header=BB14_17 Depth=1
	flat_load_ubyte v14, v[14:15]
	s_waitcnt vmcnt(0) lgkmcnt(0)
	v_cmp_ne_u16_e32 vcc, 0, v14
	v_cndmask_b32_e64 v66, 0, 1.0, vcc
	s_or_b64 vcc, s[38:39], exec
.LBB14_287:                             ;   in Loop: Header=BB14_17 Depth=1
	s_or_b64 exec, exec, s[44:45]
	s_andn2_b64 s[38:39], s[38:39], exec
	s_and_b64 vcc, vcc, exec
	s_andn2_b64 s[40:41], s[40:41], exec
	s_or_b64 s[36:37], s[36:37], exec
	s_or_b64 s[38:39], s[38:39], vcc
.LBB14_288:                             ;   in Loop: Header=BB14_17 Depth=1
	s_or_b64 exec, exec, s[42:43]
	s_and_b64 vcc, s[36:37], exec
	s_andn2_b64 s[34:35], s[34:35], exec
	s_and_b64 s[36:37], s[38:39], exec
	s_and_b64 s[40:41], s[40:41], exec
	s_or_b64 s[34:35], s[34:35], s[36:37]
.LBB14_289:                             ;   in Loop: Header=BB14_17 Depth=1
	s_or_b64 exec, exec, s[30:31]
	s_andn2_b64 s[28:29], s[28:29], exec
	s_and_b64 vcc, vcc, exec
	s_andn2_b64 s[18:19], s[18:19], exec
	s_and_b64 s[30:31], s[40:41], exec
	s_or_b64 s[28:29], s[28:29], vcc
	s_andn2_b64 s[26:27], s[26:27], exec
	s_and_b64 vcc, s[34:35], exec
	s_or_b64 s[18:19], s[18:19], s[30:31]
	s_or_b64 s[26:27], s[26:27], vcc
.LBB14_290:                             ;   in Loop: Header=BB14_17 Depth=1
	s_or_b64 exec, exec, s[16:17]
	s_and_b64 s[18:19], s[18:19], exec
	s_and_b64 s[16:17], s[28:29], exec
	;; [unrolled: 1-line block ×3, first 2 shown]
                                        ; implicit-def: $vgpr14_vgpr15
	s_andn2_saveexec_b64 s[24:25], s[24:25]
	s_cbranch_execz .LBB14_131
.LBB14_291:                             ;   in Loop: Header=BB14_17 Depth=1
	v_cmp_gt_i16_sdwa s[28:29], v7, v38 src0_sel:BYTE_0 src1_sel:DWORD
                                        ; implicit-def: $vgpr66
	s_and_saveexec_b64 vcc, s[28:29]
	s_xor_b64 s[28:29], exec, vcc
	s_cbranch_execz .LBB14_313
; %bb.292:                              ;   in Loop: Header=BB14_17 Depth=1
	v_cmp_gt_i16_sdwa vcc, v7, v39 src0_sel:BYTE_0 src1_sel:DWORD
                                        ; implicit-def: $vgpr66
	s_and_saveexec_b64 s[30:31], vcc
	s_xor_b64 vcc, exec, s[30:31]
	s_cbranch_execz .LBB14_302
; %bb.293:                              ;   in Loop: Header=BB14_17 Depth=1
	v_cmp_gt_i16_sdwa s[30:31], v7, v48 src0_sel:BYTE_0 src1_sel:DWORD
                                        ; implicit-def: $vgpr66
	s_and_saveexec_b64 s[34:35], s[30:31]
	s_xor_b64 s[30:31], exec, s[34:35]
	s_cbranch_execz .LBB14_299
; %bb.294:                              ;   in Loop: Header=BB14_17 Depth=1
	v_cmp_gt_i16_sdwa s[34:35], v7, v49 src0_sel:BYTE_0 src1_sel:DWORD
                                        ; implicit-def: $vgpr66
	s_and_saveexec_b64 s[36:37], s[34:35]
	s_xor_b64 s[34:35], exec, s[36:37]
	s_cbranch_execz .LBB14_296
; %bb.295:                              ;   in Loop: Header=BB14_17 Depth=1
	flat_load_dwordx2 v[14:15], v[14:15]
	s_waitcnt vmcnt(0) lgkmcnt(0)
	v_cvt_f32_f64_e32 v66, v[14:15]
                                        ; implicit-def: $vgpr14_vgpr15
.LBB14_296:                             ;   in Loop: Header=BB14_17 Depth=1
	s_andn2_saveexec_b64 s[34:35], s[34:35]
	s_cbranch_execz .LBB14_298
; %bb.297:                              ;   in Loop: Header=BB14_17 Depth=1
	flat_load_dword v66, v[14:15]
.LBB14_298:                             ;   in Loop: Header=BB14_17 Depth=1
	s_or_b64 exec, exec, s[34:35]
                                        ; implicit-def: $vgpr14_vgpr15
.LBB14_299:                             ;   in Loop: Header=BB14_17 Depth=1
	s_andn2_saveexec_b64 s[30:31], s[30:31]
	s_cbranch_execz .LBB14_301
; %bb.300:                              ;   in Loop: Header=BB14_17 Depth=1
	flat_load_dword v14, v[14:15]
	s_waitcnt vmcnt(0) lgkmcnt(0)
	v_cvt_f32_f16_e32 v66, v14
.LBB14_301:                             ;   in Loop: Header=BB14_17 Depth=1
	s_or_b64 exec, exec, s[30:31]
                                        ; implicit-def: $vgpr14_vgpr15
.LBB14_302:                             ;   in Loop: Header=BB14_17 Depth=1
	s_andn2_saveexec_b64 vcc, vcc
	s_cbranch_execz .LBB14_312
; %bb.303:                              ;   in Loop: Header=BB14_17 Depth=1
	v_cmp_gt_i16_sdwa s[30:31], v7, v50 src0_sel:BYTE_0 src1_sel:DWORD
                                        ; implicit-def: $vgpr66
	s_and_saveexec_b64 s[34:35], s[30:31]
	s_xor_b64 s[30:31], exec, s[34:35]
	s_cbranch_execz .LBB14_309
; %bb.304:                              ;   in Loop: Header=BB14_17 Depth=1
	v_cmp_gt_i16_sdwa s[34:35], v7, v51 src0_sel:BYTE_0 src1_sel:DWORD
                                        ; implicit-def: $vgpr66
	s_and_saveexec_b64 s[36:37], s[34:35]
	s_xor_b64 s[34:35], exec, s[36:37]
	s_cbranch_execz .LBB14_306
; %bb.305:                              ;   in Loop: Header=BB14_17 Depth=1
	flat_load_dwordx2 v[14:15], v[14:15]
	s_waitcnt vmcnt(0) lgkmcnt(0)
	v_cvt_f32_f64_e32 v66, v[14:15]
                                        ; implicit-def: $vgpr14_vgpr15
.LBB14_306:                             ;   in Loop: Header=BB14_17 Depth=1
	s_andn2_saveexec_b64 s[34:35], s[34:35]
	s_cbranch_execz .LBB14_308
; %bb.307:                              ;   in Loop: Header=BB14_17 Depth=1
	s_waitcnt vmcnt(0) lgkmcnt(0)
	flat_load_dword v66, v[14:15]
.LBB14_308:                             ;   in Loop: Header=BB14_17 Depth=1
	s_or_b64 exec, exec, s[34:35]
                                        ; implicit-def: $vgpr14_vgpr15
.LBB14_309:                             ;   in Loop: Header=BB14_17 Depth=1
	s_andn2_saveexec_b64 s[30:31], s[30:31]
	s_cbranch_execz .LBB14_311
; %bb.310:                              ;   in Loop: Header=BB14_17 Depth=1
	flat_load_ushort v14, v[14:15]
	s_waitcnt vmcnt(0) lgkmcnt(0)
	v_cvt_f32_f16_e32 v66, v14
.LBB14_311:                             ;   in Loop: Header=BB14_17 Depth=1
	s_or_b64 exec, exec, s[30:31]
.LBB14_312:                             ;   in Loop: Header=BB14_17 Depth=1
	s_or_b64 exec, exec, vcc
                                        ; implicit-def: $vgpr14_vgpr15
.LBB14_313:                             ;   in Loop: Header=BB14_17 Depth=1
	s_andn2_saveexec_b64 s[28:29], s[28:29]
	s_cbranch_execz .LBB14_331
; %bb.314:                              ;   in Loop: Header=BB14_17 Depth=1
	v_cmp_gt_i16_sdwa vcc, v7, v52 src0_sel:BYTE_0 src1_sel:DWORD
                                        ; implicit-def: $vgpr66
	s_and_saveexec_b64 s[30:31], vcc
	s_xor_b64 vcc, exec, s[30:31]
	s_cbranch_execz .LBB14_324
; %bb.315:                              ;   in Loop: Header=BB14_17 Depth=1
	v_cmp_gt_i16_sdwa s[30:31], v7, v53 src0_sel:BYTE_0 src1_sel:DWORD
                                        ; implicit-def: $vgpr66
	s_and_saveexec_b64 s[34:35], s[30:31]
	s_xor_b64 s[30:31], exec, s[34:35]
	s_cbranch_execz .LBB14_321
; %bb.316:                              ;   in Loop: Header=BB14_17 Depth=1
	v_cmp_gt_i16_sdwa s[34:35], v7, v54 src0_sel:BYTE_0 src1_sel:DWORD
                                        ; implicit-def: $vgpr66
	s_and_saveexec_b64 s[36:37], s[34:35]
	s_xor_b64 s[34:35], exec, s[36:37]
	s_cbranch_execz .LBB14_318
; %bb.317:                              ;   in Loop: Header=BB14_17 Depth=1
	flat_load_dwordx2 v[14:15], v[14:15]
	s_waitcnt vmcnt(0) lgkmcnt(0)
	v_xor_b32_e32 v66, v14, v15
	v_ffbh_i32_e32 v65, v15
	v_ashrrev_i32_e32 v66, 31, v66
	v_add_u32_e32 v65, -1, v65
	v_add_u32_e32 v66, 32, v66
	v_min_u32_e32 v65, v65, v66
	v_lshlrev_b64 v[14:15], v65, v[14:15]
	v_min_u32_e32 v14, 1, v14
	v_or_b32_e32 v14, v15, v14
	v_cvt_f32_i32_e32 v14, v14
	v_sub_u32_e32 v15, 32, v65
	v_ldexp_f32 v66, v14, v15
                                        ; implicit-def: $vgpr14_vgpr15
.LBB14_318:                             ;   in Loop: Header=BB14_17 Depth=1
	s_andn2_saveexec_b64 s[34:35], s[34:35]
	s_cbranch_execz .LBB14_320
; %bb.319:                              ;   in Loop: Header=BB14_17 Depth=1
	flat_load_dword v14, v[14:15]
	s_waitcnt vmcnt(0) lgkmcnt(0)
	v_cvt_f32_i32_e32 v66, v14
.LBB14_320:                             ;   in Loop: Header=BB14_17 Depth=1
	s_or_b64 exec, exec, s[34:35]
                                        ; implicit-def: $vgpr14_vgpr15
.LBB14_321:                             ;   in Loop: Header=BB14_17 Depth=1
	s_andn2_saveexec_b64 s[30:31], s[30:31]
	s_cbranch_execz .LBB14_323
; %bb.322:                              ;   in Loop: Header=BB14_17 Depth=1
	flat_load_sshort v14, v[14:15]
	s_waitcnt vmcnt(0) lgkmcnt(0)
	v_cvt_f32_i32_e32 v66, v14
.LBB14_323:                             ;   in Loop: Header=BB14_17 Depth=1
	s_or_b64 exec, exec, s[30:31]
                                        ; implicit-def: $vgpr14_vgpr15
.LBB14_324:                             ;   in Loop: Header=BB14_17 Depth=1
	s_andn2_saveexec_b64 vcc, vcc
	s_cbranch_execz .LBB14_330
; %bb.325:                              ;   in Loop: Header=BB14_17 Depth=1
	v_cmp_gt_i16_sdwa s[30:31], v7, v16 src0_sel:BYTE_0 src1_sel:DWORD
                                        ; implicit-def: $vgpr66
	s_and_saveexec_b64 s[34:35], s[30:31]
	s_xor_b64 s[30:31], exec, s[34:35]
	s_cbranch_execz .LBB14_327
; %bb.326:                              ;   in Loop: Header=BB14_17 Depth=1
	flat_load_sbyte v14, v[14:15]
	s_waitcnt vmcnt(0) lgkmcnt(0)
	v_cvt_f32_i32_e32 v66, v14
                                        ; implicit-def: $vgpr14_vgpr15
.LBB14_327:                             ;   in Loop: Header=BB14_17 Depth=1
	s_andn2_saveexec_b64 s[30:31], s[30:31]
	s_cbranch_execz .LBB14_329
; %bb.328:                              ;   in Loop: Header=BB14_17 Depth=1
	flat_load_ubyte v14, v[14:15]
	s_waitcnt vmcnt(0) lgkmcnt(0)
	v_cvt_f32_ubyte0_e32 v66, v14
.LBB14_329:                             ;   in Loop: Header=BB14_17 Depth=1
	s_or_b64 exec, exec, s[30:31]
.LBB14_330:                             ;   in Loop: Header=BB14_17 Depth=1
	s_or_b64 exec, exec, vcc
.LBB14_331:                             ;   in Loop: Header=BB14_17 Depth=1
	s_or_b64 exec, exec, s[28:29]
	s_andn2_b64 s[18:19], s[18:19], exec
	s_andn2_b64 s[16:17], s[16:17], exec
	s_or_b64 s[26:27], s[26:27], exec
	s_or_b64 exec, exec, s[24:25]
	s_mov_b64 s[28:29], 0
	s_and_saveexec_b64 s[24:25], s[26:27]
	s_cbranch_execz .LBB14_337
.LBB14_332:                             ;   in Loop: Header=BB14_17 Depth=1
	v_mul_lo_u32 v14, v64, v10
	v_readlane_b32 s26, v44, 0
	v_add_co_u32_e32 v14, vcc, v4, v14
	v_add_u32_e32 v65, s26, v17
	v_addc_co_u32_e32 v15, vcc, 0, v5, vcc
	v_cmp_gt_i16_sdwa s[26:27], v8, v18 src0_sel:BYTE_0 src1_sel:DWORD
	s_mov_b64 s[30:31], 0
	s_waitcnt vmcnt(0) lgkmcnt(0)
	buffer_store_dword v66, v65, s[0:3], 0 offen offset:12
                                        ; implicit-def: $sgpr28_sgpr29
                                        ; implicit-def: $vcc
                                        ; implicit-def: $vgpr64
	s_and_saveexec_b64 s[34:35], s[26:27]
	s_xor_b64 s[26:27], exec, s[34:35]
	s_cbranch_execnz .LBB14_343
; %bb.333:                              ;   in Loop: Header=BB14_17 Depth=1
	s_andn2_saveexec_b64 s[26:27], s[26:27]
	s_cbranch_execnz .LBB14_402
.LBB14_334:                             ;   in Loop: Header=BB14_17 Depth=1
	s_or_b64 exec, exec, s[26:27]
	s_mov_b64 s[26:27], 0
	s_and_saveexec_b64 s[34:35], s[30:31]
	s_cbranch_execz .LBB14_336
.LBB14_335:                             ;   in Loop: Header=BB14_17 Depth=1
	s_mov_b64 s[26:27], exec
	v_add_u32_e32 v55, 0x200, v55
	s_andn2_b64 vcc, vcc, exec
	s_andn2_b64 s[28:29], s[28:29], exec
	s_waitcnt vmcnt(0) lgkmcnt(0)
	buffer_store_dword v64, v65, s[0:3], 0 offen offset:8
.LBB14_336:                             ;   in Loop: Header=BB14_17 Depth=1
	s_or_b64 exec, exec, s[34:35]
	s_andn2_b64 s[18:19], s[18:19], exec
	s_and_b64 vcc, vcc, exec
	s_andn2_b64 s[16:17], s[16:17], exec
	s_and_b64 s[28:29], s[28:29], exec
	s_or_b64 s[18:19], s[18:19], vcc
	s_or_b64 s[16:17], s[16:17], s[28:29]
	s_and_b64 s[28:29], s[26:27], exec
.LBB14_337:                             ;   in Loop: Header=BB14_17 Depth=1
	s_or_b64 exec, exec, s[24:25]
	s_and_b64 s[18:19], s[18:19], exec
	s_and_b64 s[16:17], s[16:17], exec
	s_orn2_b64 s[24:25], s[28:29], exec
.LBB14_338:                             ;   in Loop: Header=BB14_17 Depth=1
	s_or_b64 exec, exec, s[20:21]
	s_and_saveexec_b64 s[20:21], s[24:25]
	s_cbranch_execz .LBB14_15
; %bb.339:                              ;   in Loop: Header=BB14_17 Depth=1
	v_cmp_lt_i32_e32 vcc, v55, v6
	s_mov_b64 s[28:29], -1
	s_mov_b64 s[30:31], -1
                                        ; implicit-def: $sgpr22_sgpr23
                                        ; implicit-def: $sgpr24_sgpr25
	s_and_saveexec_b64 s[26:27], vcc
	s_cbranch_execz .LBB14_549
; %bb.340:                              ;   in Loop: Header=BB14_17 Depth=1
	v_readlane_b32 s22, v44, 1
	s_waitcnt vmcnt(0) lgkmcnt(0)
	v_add_u32_e32 v64, s22, v55
	v_mul_lo_u32 v14, v64, v9
	v_add_co_u32_e32 v14, vcc, v2, v14
	v_addc_co_u32_e32 v15, vcc, 0, v3, vcc
	v_cmp_gt_i16_sdwa s[30:31], v7, v18 src0_sel:BYTE_0 src1_sel:DWORD
	s_mov_b64 vcc, 0
                                        ; implicit-def: $sgpr22_sgpr23
                                        ; implicit-def: $sgpr24_sgpr25
                                        ; implicit-def: $vgpr66
	s_and_saveexec_b64 s[34:35], s[30:31]
	s_xor_b64 s[30:31], exec, s[34:35]
	s_cbranch_execnz .LBB14_443
; %bb.341:                              ;   in Loop: Header=BB14_17 Depth=1
	s_andn2_saveexec_b64 s[30:31], s[30:31]
	s_cbranch_execnz .LBB14_502
.LBB14_342:                             ;   in Loop: Header=BB14_17 Depth=1
	s_or_b64 exec, exec, s[30:31]
	s_mov_b64 s[34:35], 0
	s_and_saveexec_b64 s[30:31], vcc
	s_cbranch_execnz .LBB14_543
	s_branch .LBB14_548
.LBB14_343:                             ;   in Loop: Header=BB14_17 Depth=1
	v_cmp_gt_i16_sdwa s[28:29], v8, v19 src0_sel:BYTE_0 src1_sel:DWORD
                                        ; implicit-def: $sgpr34_sgpr35
                                        ; implicit-def: $sgpr36_sgpr37
                                        ; implicit-def: $vgpr64
	s_and_saveexec_b64 vcc, s[28:29]
	s_xor_b64 s[28:29], exec, vcc
	s_cbranch_execz .LBB14_375
; %bb.344:                              ;   in Loop: Header=BB14_17 Depth=1
	v_cmp_gt_i16_sdwa vcc, v8, v20 src0_sel:BYTE_0 src1_sel:DWORD
                                        ; implicit-def: $sgpr34_sgpr35
                                        ; implicit-def: $sgpr38_sgpr39
                                        ; implicit-def: $vgpr64
	s_and_saveexec_b64 s[36:37], vcc
	s_xor_b64 s[36:37], exec, s[36:37]
	s_cbranch_execz .LBB14_360
; %bb.345:                              ;   in Loop: Header=BB14_17 Depth=1
	v_cmp_gt_i16_sdwa s[30:31], v8, v21 src0_sel:BYTE_0 src1_sel:DWORD
	s_mov_b64 s[40:41], 0
                                        ; implicit-def: $vcc
                                        ; implicit-def: $sgpr38_sgpr39
                                        ; implicit-def: $vgpr64
	s_and_saveexec_b64 s[34:35], s[30:31]
	s_xor_b64 s[30:31], exec, s[34:35]
	s_cbranch_execz .LBB14_355
; %bb.346:                              ;   in Loop: Header=BB14_17 Depth=1
	v_cmp_gt_i16_sdwa vcc, v8, v22 src0_sel:BYTE_0 src1_sel:DWORD
                                        ; implicit-def: $sgpr38_sgpr39
                                        ; implicit-def: $sgpr34_sgpr35
                                        ; implicit-def: $vgpr64
	s_and_saveexec_b64 s[42:43], vcc
	s_xor_b64 vcc, exec, s[42:43]
	s_cbranch_execz .LBB14_350
; %bb.347:                              ;   in Loop: Header=BB14_17 Depth=1
	v_cmp_eq_u16_sdwa s[42:43], v8, v23 src0_sel:BYTE_0 src1_sel:DWORD
	s_mov_b64 s[34:35], 0
                                        ; implicit-def: $vgpr64
	s_and_saveexec_b64 s[38:39], s[42:43]
	s_cbranch_execz .LBB14_349
; %bb.348:                              ;   in Loop: Header=BB14_17 Depth=1
	flat_load_dword v14, v[14:15]
	s_mov_b64 s[40:41], exec
	s_waitcnt vmcnt(0) lgkmcnt(0)
	v_lshlrev_b32_e32 v64, 16, v14
.LBB14_349:                             ;   in Loop: Header=BB14_17 Depth=1
	s_or_b64 exec, exec, s[38:39]
	s_mov_b64 s[38:39], -1
	s_and_b64 s[40:41], s[40:41], exec
                                        ; implicit-def: $vgpr14_vgpr15
.LBB14_350:                             ;   in Loop: Header=BB14_17 Depth=1
	s_andn2_saveexec_b64 s[42:43], vcc
	s_cbranch_execz .LBB14_354
; %bb.351:                              ;   in Loop: Header=BB14_17 Depth=1
	v_cmp_eq_u16_sdwa s[46:47], v8, v24 src0_sel:BYTE_0 src1_sel:DWORD
	s_mov_b64 vcc, s[40:41]
                                        ; implicit-def: $vgpr64
	s_and_saveexec_b64 s[44:45], s[46:47]
	s_cbranch_execz .LBB14_353
; %bb.352:                              ;   in Loop: Header=BB14_17 Depth=1
	flat_load_ubyte v14, v[14:15]
	s_movk_i32 vcc_lo, 0xff
	s_waitcnt vmcnt(0) lgkmcnt(0)
	v_lshlrev_b32_e32 v15, 23, v14
	v_cmp_ne_u32_e32 vcc, vcc_lo, v14
	v_cndmask_b32_e32 v15, v25, v15, vcc
	v_cmp_ne_u32_e32 vcc, 0, v14
	v_cndmask_b32_e32 v64, v26, v15, vcc
	s_or_b64 vcc, s[40:41], exec
.LBB14_353:                             ;   in Loop: Header=BB14_17 Depth=1
	s_or_b64 exec, exec, s[44:45]
	s_andn2_b64 s[40:41], s[40:41], exec
	s_and_b64 vcc, vcc, exec
	s_or_b64 s[38:39], s[38:39], exec
	s_andn2_b64 s[34:35], s[34:35], exec
	s_or_b64 s[40:41], s[40:41], vcc
.LBB14_354:                             ;   in Loop: Header=BB14_17 Depth=1
	s_or_b64 exec, exec, s[42:43]
	s_and_b64 s[38:39], s[38:39], exec
	s_and_b64 vcc, s[34:35], exec
	s_and_b64 s[40:41], s[40:41], exec
                                        ; implicit-def: $vgpr14_vgpr15
.LBB14_355:                             ;   in Loop: Header=BB14_17 Depth=1
	s_andn2_saveexec_b64 s[30:31], s[30:31]
	s_cbranch_execz .LBB14_359
; %bb.356:                              ;   in Loop: Header=BB14_17 Depth=1
	v_cmp_eq_u16_sdwa s[44:45], v8, v27 src0_sel:BYTE_0 src1_sel:DWORD
	s_mov_b64 s[42:43], s[40:41]
                                        ; implicit-def: $vgpr64
	s_and_saveexec_b64 s[34:35], s[44:45]
	s_cbranch_execz .LBB14_358
; %bb.357:                              ;   in Loop: Header=BB14_17 Depth=1
	flat_load_dwordx2 v[14:15], v[14:15]
	s_or_b64 s[42:43], s[40:41], exec
	s_waitcnt vmcnt(0) lgkmcnt(0)
	v_ffbh_u32_e32 v64, v15
	v_min_u32_e32 v64, 32, v64
	v_lshlrev_b64 v[14:15], v64, v[14:15]
	v_min_u32_e32 v14, 1, v14
	v_or_b32_e32 v14, v15, v14
	v_cvt_f32_u32_e32 v14, v14
	v_sub_u32_e32 v15, 32, v64
	v_ldexp_f32 v64, v14, v15
.LBB14_358:                             ;   in Loop: Header=BB14_17 Depth=1
	s_or_b64 exec, exec, s[34:35]
	s_andn2_b64 s[34:35], s[40:41], exec
	s_and_b64 s[40:41], s[42:43], exec
	s_or_b64 s[38:39], s[38:39], exec
	s_andn2_b64 vcc, vcc, exec
	s_or_b64 s[40:41], s[34:35], s[40:41]
.LBB14_359:                             ;   in Loop: Header=BB14_17 Depth=1
	s_or_b64 exec, exec, s[30:31]
	s_and_b64 s[38:39], s[38:39], exec
	s_and_b64 s[34:35], vcc, exec
	s_and_b64 s[30:31], s[40:41], exec
                                        ; implicit-def: $vgpr14_vgpr15
.LBB14_360:                             ;   in Loop: Header=BB14_17 Depth=1
	s_andn2_saveexec_b64 s[36:37], s[36:37]
	s_cbranch_execz .LBB14_374
; %bb.361:                              ;   in Loop: Header=BB14_17 Depth=1
	v_cmp_gt_i16_sdwa vcc, v8, v28 src0_sel:BYTE_0 src1_sel:DWORD
                                        ; implicit-def: $vgpr64
	s_and_saveexec_b64 s[40:41], vcc
	s_xor_b64 vcc, exec, s[40:41]
	s_cbranch_execz .LBB14_367
; %bb.362:                              ;   in Loop: Header=BB14_17 Depth=1
	v_cmp_gt_i16_sdwa s[40:41], v8, v29 src0_sel:BYTE_0 src1_sel:DWORD
                                        ; implicit-def: $vgpr64
	s_and_saveexec_b64 s[42:43], s[40:41]
	s_xor_b64 s[40:41], exec, s[42:43]
	s_cbranch_execz .LBB14_364
; %bb.363:                              ;   in Loop: Header=BB14_17 Depth=1
	flat_load_dword v14, v[14:15]
	s_waitcnt vmcnt(0) lgkmcnt(0)
	v_cvt_f32_u32_e32 v64, v14
                                        ; implicit-def: $vgpr14_vgpr15
.LBB14_364:                             ;   in Loop: Header=BB14_17 Depth=1
	s_andn2_saveexec_b64 s[40:41], s[40:41]
	s_cbranch_execz .LBB14_366
; %bb.365:                              ;   in Loop: Header=BB14_17 Depth=1
	flat_load_ushort v14, v[14:15]
	s_waitcnt vmcnt(0) lgkmcnt(0)
	v_cvt_f32_u32_e32 v64, v14
.LBB14_366:                             ;   in Loop: Header=BB14_17 Depth=1
	s_or_b64 exec, exec, s[40:41]
                                        ; implicit-def: $vgpr14_vgpr15
.LBB14_367:                             ;   in Loop: Header=BB14_17 Depth=1
	s_andn2_saveexec_b64 s[40:41], vcc
	s_cbranch_execz .LBB14_373
; %bb.368:                              ;   in Loop: Header=BB14_17 Depth=1
	flat_load_ubyte v14, v[14:15]
	s_movk_i32 vcc_lo, 0x7f
	s_mov_b64 s[42:43], 0
                                        ; implicit-def: $sgpr48
	s_waitcnt vmcnt(0) lgkmcnt(0)
	v_cmp_lt_i16_e32 vcc, vcc_lo, v14
	s_and_saveexec_b64 s[44:45], vcc
	s_xor_b64 s[44:45], exec, s[44:45]
	s_cbranch_execnz .LBB14_1211
; %bb.369:                              ;   in Loop: Header=BB14_17 Depth=1
	s_or_saveexec_b64 s[44:45], s[44:45]
	v_mov_b32_e32 v64, s48
	s_xor_b64 exec, exec, s[44:45]
	s_cbranch_execnz .LBB14_1214
.LBB14_370:                             ;   in Loop: Header=BB14_17 Depth=1
	s_or_b64 exec, exec, s[44:45]
	s_and_saveexec_b64 s[44:45], s[42:43]
	s_cbranch_execz .LBB14_372
.LBB14_371:                             ;   in Loop: Header=BB14_17 Depth=1
	v_lshlrev_b32_e32 v15, 24, v14
	v_and_b32_e32 v14, 0xffff, v14
	v_and_b32_e32 v64, 7, v14
	v_ffbh_u32_e32 v67, v64
	v_min_u32_e32 v67, 32, v67
	v_subrev_u32_e32 v68, 28, v67
	v_bfe_u32 v66, v14, 3, 4
	v_lshlrev_b32_e32 v14, v68, v14
	v_sub_u32_e32 v67, 29, v67
	v_and_b32_e32 v14, 7, v14
	v_cmp_eq_u32_e32 vcc, 0, v66
	v_cndmask_b32_e32 v66, v66, v67, vcc
	v_cndmask_b32_e32 v14, v64, v14, vcc
	v_lshlrev_b32_e32 v14, 20, v14
	v_and_b32_e32 v15, 0x80000000, v15
	v_lshl_add_u32 v64, v66, 23, v30
	v_or3_b32 v64, v15, v64, v14
.LBB14_372:                             ;   in Loop: Header=BB14_17 Depth=1
	s_or_b64 exec, exec, s[44:45]
.LBB14_373:                             ;   in Loop: Header=BB14_17 Depth=1
	s_or_b64 exec, exec, s[40:41]
	s_andn2_b64 s[38:39], s[38:39], exec
	s_andn2_b64 s[34:35], s[34:35], exec
	s_or_b64 s[30:31], s[30:31], exec
.LBB14_374:                             ;   in Loop: Header=BB14_17 Depth=1
	s_or_b64 exec, exec, s[36:37]
	s_and_b64 s[36:37], s[38:39], exec
	s_and_b64 s[34:35], s[34:35], exec
	;; [unrolled: 1-line block ×3, first 2 shown]
                                        ; implicit-def: $vgpr14_vgpr15
.LBB14_375:                             ;   in Loop: Header=BB14_17 Depth=1
	s_andn2_saveexec_b64 s[28:29], s[28:29]
	s_cbranch_execz .LBB14_401
; %bb.376:                              ;   in Loop: Header=BB14_17 Depth=1
	v_cmp_gt_i16_sdwa vcc, v8, v31 src0_sel:BYTE_0 src1_sel:DWORD
	s_mov_b64 s[40:41], s[30:31]
                                        ; implicit-def: $vgpr64
	s_and_saveexec_b64 s[38:39], vcc
	s_xor_b64 s[38:39], exec, s[38:39]
	s_cbranch_execz .LBB14_390
; %bb.377:                              ;   in Loop: Header=BB14_17 Depth=1
	v_cmp_gt_i16_sdwa vcc, v8, v32 src0_sel:BYTE_0 src1_sel:DWORD
                                        ; implicit-def: $vgpr64
	s_and_saveexec_b64 s[40:41], vcc
	s_xor_b64 s[40:41], exec, s[40:41]
	s_cbranch_execz .LBB14_387
; %bb.378:                              ;   in Loop: Header=BB14_17 Depth=1
	v_cmp_gt_i16_sdwa vcc, v8, v33 src0_sel:BYTE_0 src1_sel:DWORD
                                        ; implicit-def: $vgpr64
	s_and_saveexec_b64 s[42:43], vcc
	s_xor_b64 s[42:43], exec, s[42:43]
	s_cbranch_execz .LBB14_384
; %bb.379:                              ;   in Loop: Header=BB14_17 Depth=1
	flat_load_ubyte v14, v[14:15]
	s_movk_i32 vcc_lo, 0x7f
	s_mov_b64 s[44:45], 0
                                        ; implicit-def: $sgpr50
	s_waitcnt vmcnt(0) lgkmcnt(0)
	v_cmp_lt_i16_e32 vcc, vcc_lo, v14
	s_and_saveexec_b64 s[46:47], vcc
	s_xor_b64 s[46:47], exec, s[46:47]
	s_cbranch_execnz .LBB14_1430
; %bb.380:                              ;   in Loop: Header=BB14_17 Depth=1
	s_or_saveexec_b64 s[46:47], s[46:47]
	v_mov_b32_e32 v64, s50
	s_xor_b64 exec, exec, s[46:47]
	s_cbranch_execnz .LBB14_1433
.LBB14_381:                             ;   in Loop: Header=BB14_17 Depth=1
	s_or_b64 exec, exec, s[46:47]
	s_and_saveexec_b64 s[46:47], s[44:45]
	s_cbranch_execz .LBB14_383
.LBB14_382:                             ;   in Loop: Header=BB14_17 Depth=1
	v_lshlrev_b32_e32 v15, 24, v14
	v_and_b32_e32 v14, 0xffff, v14
	v_and_b32_e32 v64, 3, v14
	v_ffbh_u32_e32 v67, v64
	v_min_u32_e32 v67, 32, v67
	v_subrev_u32_e32 v68, 29, v67
	v_bfe_u32 v66, v14, 2, 5
	v_lshlrev_b32_e32 v14, v68, v14
	v_sub_u32_e32 v67, 30, v67
	v_and_b32_e32 v14, 3, v14
	v_cmp_eq_u32_e32 vcc, 0, v66
	v_cndmask_b32_e32 v66, v66, v67, vcc
	v_cndmask_b32_e32 v14, v64, v14, vcc
	v_lshlrev_b32_e32 v14, 21, v14
	v_and_b32_e32 v15, 0x80000000, v15
	v_lshl_add_u32 v64, v66, 23, v34
	v_or3_b32 v64, v15, v64, v14
.LBB14_383:                             ;   in Loop: Header=BB14_17 Depth=1
	s_or_b64 exec, exec, s[46:47]
                                        ; implicit-def: $vgpr14_vgpr15
.LBB14_384:                             ;   in Loop: Header=BB14_17 Depth=1
	s_andn2_saveexec_b64 s[42:43], s[42:43]
	s_cbranch_execz .LBB14_386
; %bb.385:                              ;   in Loop: Header=BB14_17 Depth=1
	flat_load_ubyte v14, v[14:15]
	s_mov_b32 vcc_lo, 0x7f800000
	s_waitcnt vmcnt(0) lgkmcnt(0)
	v_lshlrev_b32_e32 v14, 24, v14
	v_and_b32_e32 v15, 0x7f000000, v14
	v_ffbh_u32_e32 v64, v15
	v_min_u32_e32 v64, 32, v64
	v_sub_u32_e64 v64, v64, 4 clamp
	v_lshlrev_b32_e32 v67, v64, v15
	v_lshlrev_b32_e32 v64, 23, v64
	v_lshrrev_b32_e32 v67, 4, v67
	v_add_u32_e32 v66, 0x1000000, v15
	v_sub_u32_e32 v64, v67, v64
	v_ashrrev_i32_e32 v66, 8, v66
	v_add_u32_e32 v64, 0x3c000000, v64
	v_and_or_b32 v64, v66, vcc_lo, v64
	v_cmp_ne_u32_e32 vcc, 0, v15
	v_cndmask_b32_e32 v15, 0, v64, vcc
	s_brev_b32 vcc_lo, 1
	v_and_or_b32 v64, v14, vcc_lo, v15
.LBB14_386:                             ;   in Loop: Header=BB14_17 Depth=1
	s_or_b64 exec, exec, s[42:43]
                                        ; implicit-def: $vgpr14_vgpr15
.LBB14_387:                             ;   in Loop: Header=BB14_17 Depth=1
	s_andn2_saveexec_b64 s[40:41], s[40:41]
	s_cbranch_execz .LBB14_389
; %bb.388:                              ;   in Loop: Header=BB14_17 Depth=1
	flat_load_ubyte v14, v[14:15]
	s_movk_i32 vcc_lo, 0x7f00
	s_waitcnt vmcnt(0) lgkmcnt(0)
	v_lshlrev_b16_e32 v15, 8, v14
	v_lshlrev_b32_e32 v14, 25, v14
	v_lshrrev_b32_e32 v64, 4, v14
	v_and_or_b32 v66, v15, vcc_lo, 0.5
	v_or_b32_e32 v64, 0x70000000, v64
	s_brev_b32 vcc_lo, 16
	v_add_f32_e32 v66, -0.5, v66
	v_mul_f32_e32 v64, 0x7800000, v64
	v_cmp_gt_u32_e32 vcc, vcc_lo, v14
	v_cndmask_b32_e32 v14, v64, v66, vcc
	v_bfe_i32 v15, v15, 0, 16
	s_brev_b32 vcc_lo, 1
	v_and_or_b32 v64, v15, vcc_lo, v14
.LBB14_389:                             ;   in Loop: Header=BB14_17 Depth=1
	s_or_b64 exec, exec, s[40:41]
	s_or_b64 s[40:41], s[30:31], exec
                                        ; implicit-def: $vgpr14_vgpr15
.LBB14_390:                             ;   in Loop: Header=BB14_17 Depth=1
	s_or_saveexec_b64 s[38:39], s[38:39]
                                        ; implicit-def: $vcc
                                        ; implicit-def: $sgpr46_sgpr47
	s_xor_b64 exec, exec, s[38:39]
	s_cbranch_execz .LBB14_400
; %bb.391:                              ;   in Loop: Header=BB14_17 Depth=1
	v_cmp_gt_i16_sdwa vcc, v8, v35 src0_sel:BYTE_0 src1_sel:DWORD
	s_mov_b64 s[44:45], s[40:41]
                                        ; implicit-def: $sgpr46_sgpr47
                                        ; implicit-def: $sgpr42_sgpr43
                                        ; implicit-def: $vgpr64
	s_and_saveexec_b64 s[48:49], vcc
	s_xor_b64 vcc, exec, s[48:49]
	s_cbranch_execz .LBB14_395
; %bb.392:                              ;   in Loop: Header=BB14_17 Depth=1
	v_cmp_eq_u16_sdwa s[46:47], v8, v36 src0_sel:BYTE_0 src1_sel:DWORD
	s_mov_b64 s[44:45], s[40:41]
                                        ; implicit-def: $vgpr64
	s_and_saveexec_b64 s[42:43], s[46:47]
	s_cbranch_execz .LBB14_394
; %bb.393:                              ;   in Loop: Header=BB14_17 Depth=1
	flat_load_ushort v14, v[14:15]
	s_or_b64 s[44:45], s[40:41], exec
	s_waitcnt vmcnt(0) lgkmcnt(0)
	v_lshlrev_b32_e32 v64, 16, v14
.LBB14_394:                             ;   in Loop: Header=BB14_17 Depth=1
	s_or_b64 exec, exec, s[42:43]
	s_andn2_b64 s[48:49], s[40:41], exec
	s_and_b64 s[44:45], s[44:45], exec
	s_mov_b64 s[42:43], 0
	s_mov_b64 s[46:47], -1
	s_or_b64 s[44:45], s[48:49], s[44:45]
                                        ; implicit-def: $vgpr14_vgpr15
.LBB14_395:                             ;   in Loop: Header=BB14_17 Depth=1
	s_andn2_saveexec_b64 s[48:49], vcc
	s_cbranch_execz .LBB14_399
; %bb.396:                              ;   in Loop: Header=BB14_17 Depth=1
	v_cmp_eq_u16_sdwa s[52:53], v8, v37 src0_sel:BYTE_0 src1_sel:DWORD
	s_mov_b64 vcc, s[44:45]
                                        ; implicit-def: $vgpr64
	s_and_saveexec_b64 s[50:51], s[52:53]
	s_cbranch_execz .LBB14_398
; %bb.397:                              ;   in Loop: Header=BB14_17 Depth=1
	flat_load_ubyte v14, v[14:15]
	s_waitcnt vmcnt(0) lgkmcnt(0)
	v_cmp_ne_u16_e32 vcc, 0, v14
	v_cndmask_b32_e64 v64, 0, 1.0, vcc
	s_or_b64 vcc, s[44:45], exec
.LBB14_398:                             ;   in Loop: Header=BB14_17 Depth=1
	s_or_b64 exec, exec, s[50:51]
	s_andn2_b64 s[44:45], s[44:45], exec
	s_and_b64 vcc, vcc, exec
	s_or_b64 s[46:47], s[46:47], exec
	s_andn2_b64 s[42:43], s[42:43], exec
	s_or_b64 s[44:45], s[44:45], vcc
.LBB14_399:                             ;   in Loop: Header=BB14_17 Depth=1
	s_or_b64 exec, exec, s[48:49]
	s_and_b64 vcc, s[42:43], exec
	s_andn2_b64 s[40:41], s[40:41], exec
	s_and_b64 s[42:43], s[44:45], exec
	s_and_b64 s[46:47], s[46:47], exec
	s_or_b64 s[40:41], s[40:41], s[42:43]
.LBB14_400:                             ;   in Loop: Header=BB14_17 Depth=1
	s_or_b64 exec, exec, s[38:39]
	s_andn2_b64 s[34:35], s[34:35], exec
	s_and_b64 vcc, vcc, exec
	s_andn2_b64 s[36:37], s[36:37], exec
	s_and_b64 s[38:39], s[46:47], exec
	s_or_b64 s[34:35], s[34:35], vcc
	s_andn2_b64 vcc, s[30:31], exec
	s_and_b64 s[30:31], s[40:41], exec
	s_or_b64 s[36:37], s[36:37], s[38:39]
	s_or_b64 s[30:31], vcc, s[30:31]
.LBB14_401:                             ;   in Loop: Header=BB14_17 Depth=1
	s_or_b64 exec, exec, s[28:29]
	s_and_b64 vcc, s[36:37], exec
	s_and_b64 s[28:29], s[34:35], exec
	s_and_b64 s[30:31], s[30:31], exec
                                        ; implicit-def: $vgpr14_vgpr15
	s_andn2_saveexec_b64 s[26:27], s[26:27]
	s_cbranch_execz .LBB14_334
.LBB14_402:                             ;   in Loop: Header=BB14_17 Depth=1
	v_cmp_gt_i16_sdwa s[34:35], v8, v38 src0_sel:BYTE_0 src1_sel:DWORD
                                        ; implicit-def: $vgpr64
	s_and_saveexec_b64 s[36:37], s[34:35]
	s_xor_b64 s[34:35], exec, s[36:37]
	s_cbranch_execz .LBB14_424
; %bb.403:                              ;   in Loop: Header=BB14_17 Depth=1
	v_cmp_gt_i16_sdwa s[36:37], v8, v39 src0_sel:BYTE_0 src1_sel:DWORD
                                        ; implicit-def: $vgpr64
	s_and_saveexec_b64 s[38:39], s[36:37]
	s_xor_b64 s[36:37], exec, s[38:39]
	s_cbranch_execz .LBB14_413
; %bb.404:                              ;   in Loop: Header=BB14_17 Depth=1
	;; [unrolled: 6-line block ×4, first 2 shown]
	flat_load_dwordx2 v[14:15], v[14:15]
	s_waitcnt vmcnt(0) lgkmcnt(0)
	v_cvt_f32_f64_e32 v64, v[14:15]
                                        ; implicit-def: $vgpr14_vgpr15
.LBB14_407:                             ;   in Loop: Header=BB14_17 Depth=1
	s_andn2_saveexec_b64 s[40:41], s[40:41]
	s_cbranch_execz .LBB14_409
; %bb.408:                              ;   in Loop: Header=BB14_17 Depth=1
	flat_load_dword v64, v[14:15]
.LBB14_409:                             ;   in Loop: Header=BB14_17 Depth=1
	s_or_b64 exec, exec, s[40:41]
                                        ; implicit-def: $vgpr14_vgpr15
.LBB14_410:                             ;   in Loop: Header=BB14_17 Depth=1
	s_andn2_saveexec_b64 s[38:39], s[38:39]
	s_cbranch_execz .LBB14_412
; %bb.411:                              ;   in Loop: Header=BB14_17 Depth=1
	flat_load_dword v14, v[14:15]
	s_waitcnt vmcnt(0) lgkmcnt(0)
	v_cvt_f32_f16_e32 v64, v14
.LBB14_412:                             ;   in Loop: Header=BB14_17 Depth=1
	s_or_b64 exec, exec, s[38:39]
                                        ; implicit-def: $vgpr14_vgpr15
.LBB14_413:                             ;   in Loop: Header=BB14_17 Depth=1
	s_andn2_saveexec_b64 s[36:37], s[36:37]
	s_cbranch_execz .LBB14_423
; %bb.414:                              ;   in Loop: Header=BB14_17 Depth=1
	v_cmp_gt_i16_sdwa s[38:39], v8, v50 src0_sel:BYTE_0 src1_sel:DWORD
                                        ; implicit-def: $vgpr64
	s_and_saveexec_b64 s[40:41], s[38:39]
	s_xor_b64 s[38:39], exec, s[40:41]
	s_cbranch_execz .LBB14_420
; %bb.415:                              ;   in Loop: Header=BB14_17 Depth=1
	v_cmp_gt_i16_sdwa s[40:41], v8, v51 src0_sel:BYTE_0 src1_sel:DWORD
                                        ; implicit-def: $vgpr64
	s_and_saveexec_b64 s[42:43], s[40:41]
	s_xor_b64 s[40:41], exec, s[42:43]
	s_cbranch_execz .LBB14_417
; %bb.416:                              ;   in Loop: Header=BB14_17 Depth=1
	flat_load_dwordx2 v[14:15], v[14:15]
	s_waitcnt vmcnt(0) lgkmcnt(0)
	v_cvt_f32_f64_e32 v64, v[14:15]
                                        ; implicit-def: $vgpr14_vgpr15
.LBB14_417:                             ;   in Loop: Header=BB14_17 Depth=1
	s_andn2_saveexec_b64 s[40:41], s[40:41]
	s_cbranch_execz .LBB14_419
; %bb.418:                              ;   in Loop: Header=BB14_17 Depth=1
	s_waitcnt vmcnt(0) lgkmcnt(0)
	flat_load_dword v64, v[14:15]
.LBB14_419:                             ;   in Loop: Header=BB14_17 Depth=1
	s_or_b64 exec, exec, s[40:41]
                                        ; implicit-def: $vgpr14_vgpr15
.LBB14_420:                             ;   in Loop: Header=BB14_17 Depth=1
	s_andn2_saveexec_b64 s[38:39], s[38:39]
	s_cbranch_execz .LBB14_422
; %bb.421:                              ;   in Loop: Header=BB14_17 Depth=1
	flat_load_ushort v14, v[14:15]
	s_waitcnt vmcnt(0) lgkmcnt(0)
	v_cvt_f32_f16_e32 v64, v14
.LBB14_422:                             ;   in Loop: Header=BB14_17 Depth=1
	s_or_b64 exec, exec, s[38:39]
.LBB14_423:                             ;   in Loop: Header=BB14_17 Depth=1
	s_or_b64 exec, exec, s[36:37]
                                        ; implicit-def: $vgpr14_vgpr15
.LBB14_424:                             ;   in Loop: Header=BB14_17 Depth=1
	s_andn2_saveexec_b64 s[34:35], s[34:35]
	s_cbranch_execz .LBB14_442
; %bb.425:                              ;   in Loop: Header=BB14_17 Depth=1
	v_cmp_gt_i16_sdwa s[36:37], v8, v52 src0_sel:BYTE_0 src1_sel:DWORD
                                        ; implicit-def: $vgpr64
	s_and_saveexec_b64 s[38:39], s[36:37]
	s_xor_b64 s[36:37], exec, s[38:39]
	s_cbranch_execz .LBB14_435
; %bb.426:                              ;   in Loop: Header=BB14_17 Depth=1
	v_cmp_gt_i16_sdwa s[38:39], v8, v53 src0_sel:BYTE_0 src1_sel:DWORD
                                        ; implicit-def: $vgpr64
	s_and_saveexec_b64 s[40:41], s[38:39]
	s_xor_b64 s[38:39], exec, s[40:41]
	;; [unrolled: 6-line block ×3, first 2 shown]
	s_cbranch_execz .LBB14_429
; %bb.428:                              ;   in Loop: Header=BB14_17 Depth=1
	flat_load_dwordx2 v[14:15], v[14:15]
	s_waitcnt vmcnt(0) lgkmcnt(0)
	v_xor_b32_e32 v66, v14, v15
	v_ffbh_i32_e32 v64, v15
	v_ashrrev_i32_e32 v66, 31, v66
	v_add_u32_e32 v64, -1, v64
	v_add_u32_e32 v66, 32, v66
	v_min_u32_e32 v64, v64, v66
	v_lshlrev_b64 v[14:15], v64, v[14:15]
	v_min_u32_e32 v14, 1, v14
	v_or_b32_e32 v14, v15, v14
	v_cvt_f32_i32_e32 v14, v14
	v_sub_u32_e32 v15, 32, v64
	v_ldexp_f32 v64, v14, v15
                                        ; implicit-def: $vgpr14_vgpr15
.LBB14_429:                             ;   in Loop: Header=BB14_17 Depth=1
	s_andn2_saveexec_b64 s[40:41], s[40:41]
	s_cbranch_execz .LBB14_431
; %bb.430:                              ;   in Loop: Header=BB14_17 Depth=1
	flat_load_dword v14, v[14:15]
	s_waitcnt vmcnt(0) lgkmcnt(0)
	v_cvt_f32_i32_e32 v64, v14
.LBB14_431:                             ;   in Loop: Header=BB14_17 Depth=1
	s_or_b64 exec, exec, s[40:41]
                                        ; implicit-def: $vgpr14_vgpr15
.LBB14_432:                             ;   in Loop: Header=BB14_17 Depth=1
	s_andn2_saveexec_b64 s[38:39], s[38:39]
	s_cbranch_execz .LBB14_434
; %bb.433:                              ;   in Loop: Header=BB14_17 Depth=1
	flat_load_sshort v14, v[14:15]
	s_waitcnt vmcnt(0) lgkmcnt(0)
	v_cvt_f32_i32_e32 v64, v14
.LBB14_434:                             ;   in Loop: Header=BB14_17 Depth=1
	s_or_b64 exec, exec, s[38:39]
                                        ; implicit-def: $vgpr14_vgpr15
.LBB14_435:                             ;   in Loop: Header=BB14_17 Depth=1
	s_andn2_saveexec_b64 s[36:37], s[36:37]
	s_cbranch_execz .LBB14_441
; %bb.436:                              ;   in Loop: Header=BB14_17 Depth=1
	v_cmp_gt_i16_sdwa s[38:39], v8, v16 src0_sel:BYTE_0 src1_sel:DWORD
                                        ; implicit-def: $vgpr64
	s_and_saveexec_b64 s[40:41], s[38:39]
	s_xor_b64 s[38:39], exec, s[40:41]
	s_cbranch_execz .LBB14_438
; %bb.437:                              ;   in Loop: Header=BB14_17 Depth=1
	flat_load_sbyte v14, v[14:15]
	s_waitcnt vmcnt(0) lgkmcnt(0)
	v_cvt_f32_i32_e32 v64, v14
                                        ; implicit-def: $vgpr14_vgpr15
.LBB14_438:                             ;   in Loop: Header=BB14_17 Depth=1
	s_andn2_saveexec_b64 s[38:39], s[38:39]
	s_cbranch_execz .LBB14_440
; %bb.439:                              ;   in Loop: Header=BB14_17 Depth=1
	flat_load_ubyte v14, v[14:15]
	s_waitcnt vmcnt(0) lgkmcnt(0)
	v_cvt_f32_ubyte0_e32 v64, v14
.LBB14_440:                             ;   in Loop: Header=BB14_17 Depth=1
	s_or_b64 exec, exec, s[38:39]
.LBB14_441:                             ;   in Loop: Header=BB14_17 Depth=1
	s_or_b64 exec, exec, s[36:37]
.LBB14_442:                             ;   in Loop: Header=BB14_17 Depth=1
	s_or_b64 exec, exec, s[34:35]
	s_andn2_b64 vcc, vcc, exec
	s_andn2_b64 s[28:29], s[28:29], exec
	s_or_b64 s[30:31], s[30:31], exec
	s_or_b64 exec, exec, s[26:27]
	s_mov_b64 s[26:27], 0
	s_and_saveexec_b64 s[34:35], s[30:31]
	s_cbranch_execnz .LBB14_335
	s_branch .LBB14_336
.LBB14_443:                             ;   in Loop: Header=BB14_17 Depth=1
	v_cmp_gt_i16_sdwa s[22:23], v7, v19 src0_sel:BYTE_0 src1_sel:DWORD
	s_mov_b64 s[34:35], 0
                                        ; implicit-def: $sgpr36_sgpr37
                                        ; implicit-def: $sgpr24_sgpr25
                                        ; implicit-def: $vgpr66
	s_and_saveexec_b64 vcc, s[22:23]
	s_xor_b64 s[22:23], exec, vcc
	s_cbranch_execz .LBB14_475
; %bb.444:                              ;   in Loop: Header=BB14_17 Depth=1
	v_cmp_gt_i16_sdwa s[24:25], v7, v20 src0_sel:BYTE_0 src1_sel:DWORD
                                        ; implicit-def: $sgpr36_sgpr37
                                        ; implicit-def: $sgpr38_sgpr39
                                        ; implicit-def: $vgpr66
	s_and_saveexec_b64 vcc, s[24:25]
	s_xor_b64 s[24:25], exec, vcc
	s_cbranch_execz .LBB14_460
; %bb.445:                              ;   in Loop: Header=BB14_17 Depth=1
	v_cmp_gt_i16_sdwa s[34:35], v7, v21 src0_sel:BYTE_0 src1_sel:DWORD
	s_mov_b64 s[40:41], 0
                                        ; implicit-def: $vcc
                                        ; implicit-def: $sgpr36_sgpr37
                                        ; implicit-def: $vgpr66
	s_and_saveexec_b64 s[38:39], s[34:35]
	s_xor_b64 s[34:35], exec, s[38:39]
	s_cbranch_execz .LBB14_455
; %bb.446:                              ;   in Loop: Header=BB14_17 Depth=1
	v_cmp_gt_i16_sdwa vcc, v7, v22 src0_sel:BYTE_0 src1_sel:DWORD
	s_mov_b64 s[38:39], 0
                                        ; implicit-def: $sgpr36_sgpr37
                                        ; implicit-def: $sgpr40_sgpr41
                                        ; implicit-def: $vgpr66
	s_and_saveexec_b64 s[42:43], vcc
	s_xor_b64 vcc, exec, s[42:43]
	s_cbranch_execz .LBB14_450
; %bb.447:                              ;   in Loop: Header=BB14_17 Depth=1
	v_cmp_eq_u16_sdwa s[42:43], v7, v23 src0_sel:BYTE_0 src1_sel:DWORD
	s_mov_b64 s[36:37], 0
                                        ; implicit-def: $vgpr66
	s_and_saveexec_b64 s[40:41], s[42:43]
	s_cbranch_execz .LBB14_449
; %bb.448:                              ;   in Loop: Header=BB14_17 Depth=1
	flat_load_dword v14, v[14:15]
	s_mov_b64 s[38:39], exec
	s_waitcnt vmcnt(0) lgkmcnt(0)
	v_lshlrev_b32_e32 v66, 16, v14
.LBB14_449:                             ;   in Loop: Header=BB14_17 Depth=1
	s_or_b64 exec, exec, s[40:41]
	s_mov_b64 s[40:41], -1
	s_and_b64 s[38:39], s[38:39], exec
                                        ; implicit-def: $vgpr14_vgpr15
.LBB14_450:                             ;   in Loop: Header=BB14_17 Depth=1
	s_andn2_saveexec_b64 s[42:43], vcc
	s_cbranch_execz .LBB14_454
; %bb.451:                              ;   in Loop: Header=BB14_17 Depth=1
	v_cmp_eq_u16_sdwa s[46:47], v7, v24 src0_sel:BYTE_0 src1_sel:DWORD
	s_mov_b64 vcc, s[38:39]
                                        ; implicit-def: $vgpr66
	s_and_saveexec_b64 s[44:45], s[46:47]
	s_cbranch_execz .LBB14_453
; %bb.452:                              ;   in Loop: Header=BB14_17 Depth=1
	flat_load_ubyte v14, v[14:15]
	s_movk_i32 vcc_lo, 0xff
	s_waitcnt vmcnt(0) lgkmcnt(0)
	v_lshlrev_b32_e32 v15, 23, v14
	v_cmp_ne_u32_e32 vcc, vcc_lo, v14
	v_cndmask_b32_e32 v15, v25, v15, vcc
	v_cmp_ne_u32_e32 vcc, 0, v14
	v_cndmask_b32_e32 v66, v26, v15, vcc
	s_or_b64 vcc, s[38:39], exec
.LBB14_453:                             ;   in Loop: Header=BB14_17 Depth=1
	s_or_b64 exec, exec, s[44:45]
	s_andn2_b64 s[38:39], s[38:39], exec
	s_and_b64 vcc, vcc, exec
	s_andn2_b64 s[36:37], s[36:37], exec
	s_or_b64 s[40:41], s[40:41], exec
	s_or_b64 s[38:39], s[38:39], vcc
.LBB14_454:                             ;   in Loop: Header=BB14_17 Depth=1
	s_or_b64 exec, exec, s[42:43]
	s_and_b64 s[36:37], s[36:37], exec
	s_and_b64 vcc, s[40:41], exec
	s_and_b64 s[40:41], s[38:39], exec
                                        ; implicit-def: $vgpr14_vgpr15
.LBB14_455:                             ;   in Loop: Header=BB14_17 Depth=1
	s_andn2_saveexec_b64 s[34:35], s[34:35]
	s_cbranch_execz .LBB14_459
; %bb.456:                              ;   in Loop: Header=BB14_17 Depth=1
	v_cmp_eq_u16_sdwa s[44:45], v7, v27 src0_sel:BYTE_0 src1_sel:DWORD
	s_mov_b64 s[42:43], s[40:41]
                                        ; implicit-def: $vgpr66
	s_and_saveexec_b64 s[38:39], s[44:45]
	s_cbranch_execz .LBB14_458
; %bb.457:                              ;   in Loop: Header=BB14_17 Depth=1
	flat_load_dwordx2 v[14:15], v[14:15]
	s_or_b64 s[42:43], s[40:41], exec
	s_waitcnt vmcnt(0) lgkmcnt(0)
	v_ffbh_u32_e32 v65, v15
	v_min_u32_e32 v65, 32, v65
	v_lshlrev_b64 v[14:15], v65, v[14:15]
	v_min_u32_e32 v14, 1, v14
	v_or_b32_e32 v14, v15, v14
	v_cvt_f32_u32_e32 v14, v14
	v_sub_u32_e32 v15, 32, v65
	v_ldexp_f32 v66, v14, v15
.LBB14_458:                             ;   in Loop: Header=BB14_17 Depth=1
	s_or_b64 exec, exec, s[38:39]
	s_andn2_b64 s[38:39], s[40:41], exec
	s_and_b64 s[40:41], s[42:43], exec
	s_andn2_b64 s[36:37], s[36:37], exec
	s_or_b64 vcc, vcc, exec
	s_or_b64 s[40:41], s[38:39], s[40:41]
.LBB14_459:                             ;   in Loop: Header=BB14_17 Depth=1
	s_or_b64 exec, exec, s[34:35]
	s_and_b64 s[38:39], s[36:37], exec
	s_and_b64 s[36:37], vcc, exec
	s_and_b64 s[34:35], s[40:41], exec
                                        ; implicit-def: $vgpr14_vgpr15
.LBB14_460:                             ;   in Loop: Header=BB14_17 Depth=1
	s_andn2_saveexec_b64 s[24:25], s[24:25]
	s_cbranch_execz .LBB14_474
; %bb.461:                              ;   in Loop: Header=BB14_17 Depth=1
	v_cmp_gt_i16_sdwa vcc, v7, v28 src0_sel:BYTE_0 src1_sel:DWORD
                                        ; implicit-def: $vgpr66
	s_and_saveexec_b64 s[40:41], vcc
	s_xor_b64 vcc, exec, s[40:41]
	s_cbranch_execz .LBB14_467
; %bb.462:                              ;   in Loop: Header=BB14_17 Depth=1
	v_cmp_gt_i16_sdwa s[40:41], v7, v29 src0_sel:BYTE_0 src1_sel:DWORD
                                        ; implicit-def: $vgpr66
	s_and_saveexec_b64 s[42:43], s[40:41]
	s_xor_b64 s[40:41], exec, s[42:43]
	s_cbranch_execz .LBB14_464
; %bb.463:                              ;   in Loop: Header=BB14_17 Depth=1
	flat_load_dword v14, v[14:15]
	s_waitcnt vmcnt(0) lgkmcnt(0)
	v_cvt_f32_u32_e32 v66, v14
                                        ; implicit-def: $vgpr14_vgpr15
.LBB14_464:                             ;   in Loop: Header=BB14_17 Depth=1
	s_andn2_saveexec_b64 s[40:41], s[40:41]
	s_cbranch_execz .LBB14_466
; %bb.465:                              ;   in Loop: Header=BB14_17 Depth=1
	flat_load_ushort v14, v[14:15]
	s_waitcnt vmcnt(0) lgkmcnt(0)
	v_cvt_f32_u32_e32 v66, v14
.LBB14_466:                             ;   in Loop: Header=BB14_17 Depth=1
	s_or_b64 exec, exec, s[40:41]
                                        ; implicit-def: $vgpr14_vgpr15
.LBB14_467:                             ;   in Loop: Header=BB14_17 Depth=1
	s_andn2_saveexec_b64 s[40:41], vcc
	s_cbranch_execz .LBB14_473
; %bb.468:                              ;   in Loop: Header=BB14_17 Depth=1
	flat_load_ubyte v14, v[14:15]
	s_movk_i32 vcc_lo, 0x7f
	s_mov_b64 s[42:43], 0
                                        ; implicit-def: $sgpr48
	s_waitcnt vmcnt(0) lgkmcnt(0)
	v_cmp_lt_i16_e32 vcc, vcc_lo, v14
	s_and_saveexec_b64 s[44:45], vcc
	s_xor_b64 s[44:45], exec, s[44:45]
	s_cbranch_execnz .LBB14_1215
; %bb.469:                              ;   in Loop: Header=BB14_17 Depth=1
	s_or_saveexec_b64 s[44:45], s[44:45]
	v_mov_b32_e32 v66, s48
	s_xor_b64 exec, exec, s[44:45]
	s_cbranch_execnz .LBB14_1218
.LBB14_470:                             ;   in Loop: Header=BB14_17 Depth=1
	s_or_b64 exec, exec, s[44:45]
	s_and_saveexec_b64 s[44:45], s[42:43]
	s_cbranch_execz .LBB14_472
.LBB14_471:                             ;   in Loop: Header=BB14_17 Depth=1
	v_lshlrev_b32_e32 v15, 24, v14
	v_and_b32_e32 v14, 0xffff, v14
	v_and_b32_e32 v65, 7, v14
	v_ffbh_u32_e32 v67, v65
	v_min_u32_e32 v67, 32, v67
	v_subrev_u32_e32 v68, 28, v67
	v_bfe_u32 v66, v14, 3, 4
	v_lshlrev_b32_e32 v14, v68, v14
	v_sub_u32_e32 v67, 29, v67
	v_and_b32_e32 v14, 7, v14
	v_cmp_eq_u32_e32 vcc, 0, v66
	v_cndmask_b32_e32 v66, v66, v67, vcc
	v_cndmask_b32_e32 v14, v65, v14, vcc
	v_lshlrev_b32_e32 v14, 20, v14
	v_and_b32_e32 v15, 0x80000000, v15
	v_lshl_add_u32 v65, v66, 23, v30
	v_or3_b32 v66, v15, v65, v14
.LBB14_472:                             ;   in Loop: Header=BB14_17 Depth=1
	s_or_b64 exec, exec, s[44:45]
.LBB14_473:                             ;   in Loop: Header=BB14_17 Depth=1
	s_or_b64 exec, exec, s[40:41]
	s_andn2_b64 s[38:39], s[38:39], exec
	s_andn2_b64 s[36:37], s[36:37], exec
	s_or_b64 s[34:35], s[34:35], exec
.LBB14_474:                             ;   in Loop: Header=BB14_17 Depth=1
	s_or_b64 exec, exec, s[24:25]
	s_and_b64 s[24:25], s[38:39], exec
	s_and_b64 s[36:37], s[36:37], exec
	;; [unrolled: 1-line block ×3, first 2 shown]
                                        ; implicit-def: $vgpr14_vgpr15
.LBB14_475:                             ;   in Loop: Header=BB14_17 Depth=1
	s_andn2_saveexec_b64 s[22:23], s[22:23]
	s_cbranch_execz .LBB14_501
; %bb.476:                              ;   in Loop: Header=BB14_17 Depth=1
	v_cmp_gt_i16_sdwa vcc, v7, v31 src0_sel:BYTE_0 src1_sel:DWORD
	s_mov_b64 s[40:41], s[34:35]
                                        ; implicit-def: $vgpr66
	s_and_saveexec_b64 s[38:39], vcc
	s_xor_b64 s[38:39], exec, s[38:39]
	s_cbranch_execz .LBB14_490
; %bb.477:                              ;   in Loop: Header=BB14_17 Depth=1
	v_cmp_gt_i16_sdwa vcc, v7, v32 src0_sel:BYTE_0 src1_sel:DWORD
                                        ; implicit-def: $vgpr66
	s_and_saveexec_b64 s[40:41], vcc
	s_xor_b64 s[40:41], exec, s[40:41]
	s_cbranch_execz .LBB14_487
; %bb.478:                              ;   in Loop: Header=BB14_17 Depth=1
	v_cmp_gt_i16_sdwa vcc, v7, v33 src0_sel:BYTE_0 src1_sel:DWORD
                                        ; implicit-def: $vgpr66
	s_and_saveexec_b64 s[42:43], vcc
	s_xor_b64 s[42:43], exec, s[42:43]
	s_cbranch_execz .LBB14_484
; %bb.479:                              ;   in Loop: Header=BB14_17 Depth=1
	flat_load_ubyte v14, v[14:15]
	s_movk_i32 vcc_lo, 0x7f
	s_mov_b64 s[44:45], 0
                                        ; implicit-def: $sgpr50
	s_waitcnt vmcnt(0) lgkmcnt(0)
	v_cmp_lt_i16_e32 vcc, vcc_lo, v14
	s_and_saveexec_b64 s[46:47], vcc
	s_xor_b64 s[46:47], exec, s[46:47]
	s_cbranch_execnz .LBB14_1434
; %bb.480:                              ;   in Loop: Header=BB14_17 Depth=1
	s_or_saveexec_b64 s[46:47], s[46:47]
	v_mov_b32_e32 v66, s50
	s_xor_b64 exec, exec, s[46:47]
	s_cbranch_execnz .LBB14_1437
.LBB14_481:                             ;   in Loop: Header=BB14_17 Depth=1
	s_or_b64 exec, exec, s[46:47]
	s_and_saveexec_b64 s[46:47], s[44:45]
	s_cbranch_execz .LBB14_483
.LBB14_482:                             ;   in Loop: Header=BB14_17 Depth=1
	v_lshlrev_b32_e32 v15, 24, v14
	v_and_b32_e32 v14, 0xffff, v14
	v_and_b32_e32 v65, 3, v14
	v_ffbh_u32_e32 v67, v65
	v_min_u32_e32 v67, 32, v67
	v_subrev_u32_e32 v68, 29, v67
	v_bfe_u32 v66, v14, 2, 5
	v_lshlrev_b32_e32 v14, v68, v14
	v_sub_u32_e32 v67, 30, v67
	v_and_b32_e32 v14, 3, v14
	v_cmp_eq_u32_e32 vcc, 0, v66
	v_cndmask_b32_e32 v66, v66, v67, vcc
	v_cndmask_b32_e32 v14, v65, v14, vcc
	v_lshlrev_b32_e32 v14, 21, v14
	v_and_b32_e32 v15, 0x80000000, v15
	v_lshl_add_u32 v65, v66, 23, v34
	v_or3_b32 v66, v15, v65, v14
.LBB14_483:                             ;   in Loop: Header=BB14_17 Depth=1
	s_or_b64 exec, exec, s[46:47]
                                        ; implicit-def: $vgpr14_vgpr15
.LBB14_484:                             ;   in Loop: Header=BB14_17 Depth=1
	s_andn2_saveexec_b64 s[42:43], s[42:43]
	s_cbranch_execz .LBB14_486
; %bb.485:                              ;   in Loop: Header=BB14_17 Depth=1
	flat_load_ubyte v14, v[14:15]
	s_mov_b32 vcc_lo, 0x7f800000
	s_waitcnt vmcnt(0) lgkmcnt(0)
	v_lshlrev_b32_e32 v14, 24, v14
	v_and_b32_e32 v15, 0x7f000000, v14
	v_ffbh_u32_e32 v65, v15
	v_min_u32_e32 v65, 32, v65
	v_sub_u32_e64 v65, v65, 4 clamp
	v_lshlrev_b32_e32 v67, v65, v15
	v_lshlrev_b32_e32 v65, 23, v65
	v_lshrrev_b32_e32 v67, 4, v67
	v_add_u32_e32 v66, 0x1000000, v15
	v_sub_u32_e32 v65, v67, v65
	v_ashrrev_i32_e32 v66, 8, v66
	v_add_u32_e32 v65, 0x3c000000, v65
	v_and_or_b32 v65, v66, vcc_lo, v65
	v_cmp_ne_u32_e32 vcc, 0, v15
	v_cndmask_b32_e32 v15, 0, v65, vcc
	s_brev_b32 vcc_lo, 1
	v_and_or_b32 v66, v14, vcc_lo, v15
.LBB14_486:                             ;   in Loop: Header=BB14_17 Depth=1
	s_or_b64 exec, exec, s[42:43]
                                        ; implicit-def: $vgpr14_vgpr15
.LBB14_487:                             ;   in Loop: Header=BB14_17 Depth=1
	s_andn2_saveexec_b64 s[40:41], s[40:41]
	s_cbranch_execz .LBB14_489
; %bb.488:                              ;   in Loop: Header=BB14_17 Depth=1
	flat_load_ubyte v14, v[14:15]
	s_movk_i32 vcc_lo, 0x7f00
	s_waitcnt vmcnt(0) lgkmcnt(0)
	v_lshlrev_b16_e32 v15, 8, v14
	v_lshlrev_b32_e32 v14, 25, v14
	v_lshrrev_b32_e32 v65, 4, v14
	v_and_or_b32 v66, v15, vcc_lo, 0.5
	v_or_b32_e32 v65, 0x70000000, v65
	s_brev_b32 vcc_lo, 16
	v_add_f32_e32 v66, -0.5, v66
	v_mul_f32_e32 v65, 0x7800000, v65
	v_cmp_gt_u32_e32 vcc, vcc_lo, v14
	v_cndmask_b32_e32 v14, v65, v66, vcc
	v_bfe_i32 v15, v15, 0, 16
	s_brev_b32 vcc_lo, 1
	v_and_or_b32 v66, v15, vcc_lo, v14
.LBB14_489:                             ;   in Loop: Header=BB14_17 Depth=1
	s_or_b64 exec, exec, s[40:41]
	s_or_b64 s[40:41], s[34:35], exec
                                        ; implicit-def: $vgpr14_vgpr15
.LBB14_490:                             ;   in Loop: Header=BB14_17 Depth=1
	s_or_saveexec_b64 s[38:39], s[38:39]
                                        ; implicit-def: $vcc
                                        ; implicit-def: $sgpr46_sgpr47
	s_xor_b64 exec, exec, s[38:39]
	s_cbranch_execz .LBB14_500
; %bb.491:                              ;   in Loop: Header=BB14_17 Depth=1
	v_cmp_gt_i16_sdwa vcc, v7, v35 src0_sel:BYTE_0 src1_sel:DWORD
	s_mov_b64 s[44:45], s[40:41]
                                        ; implicit-def: $sgpr46_sgpr47
                                        ; implicit-def: $sgpr42_sgpr43
                                        ; implicit-def: $vgpr66
	s_and_saveexec_b64 s[48:49], vcc
	s_xor_b64 vcc, exec, s[48:49]
	s_cbranch_execz .LBB14_495
; %bb.492:                              ;   in Loop: Header=BB14_17 Depth=1
	v_cmp_eq_u16_sdwa s[46:47], v7, v36 src0_sel:BYTE_0 src1_sel:DWORD
	s_mov_b64 s[44:45], s[40:41]
                                        ; implicit-def: $vgpr66
	s_and_saveexec_b64 s[42:43], s[46:47]
	s_cbranch_execz .LBB14_494
; %bb.493:                              ;   in Loop: Header=BB14_17 Depth=1
	flat_load_ushort v14, v[14:15]
	s_or_b64 s[44:45], s[40:41], exec
	s_waitcnt vmcnt(0) lgkmcnt(0)
	v_lshlrev_b32_e32 v66, 16, v14
.LBB14_494:                             ;   in Loop: Header=BB14_17 Depth=1
	s_or_b64 exec, exec, s[42:43]
	s_andn2_b64 s[48:49], s[40:41], exec
	s_and_b64 s[44:45], s[44:45], exec
	s_mov_b64 s[42:43], -1
	s_mov_b64 s[46:47], 0
	s_or_b64 s[44:45], s[48:49], s[44:45]
                                        ; implicit-def: $vgpr14_vgpr15
.LBB14_495:                             ;   in Loop: Header=BB14_17 Depth=1
	s_andn2_saveexec_b64 s[48:49], vcc
	s_cbranch_execz .LBB14_499
; %bb.496:                              ;   in Loop: Header=BB14_17 Depth=1
	v_cmp_eq_u16_sdwa s[52:53], v7, v37 src0_sel:BYTE_0 src1_sel:DWORD
	s_mov_b64 vcc, s[44:45]
                                        ; implicit-def: $vgpr66
	s_and_saveexec_b64 s[50:51], s[52:53]
	s_cbranch_execz .LBB14_498
; %bb.497:                              ;   in Loop: Header=BB14_17 Depth=1
	flat_load_ubyte v14, v[14:15]
	s_waitcnt vmcnt(0) lgkmcnt(0)
	v_cmp_ne_u16_e32 vcc, 0, v14
	v_cndmask_b32_e64 v66, 0, 1.0, vcc
	s_or_b64 vcc, s[44:45], exec
.LBB14_498:                             ;   in Loop: Header=BB14_17 Depth=1
	s_or_b64 exec, exec, s[50:51]
	s_andn2_b64 s[44:45], s[44:45], exec
	s_and_b64 vcc, vcc, exec
	s_andn2_b64 s[46:47], s[46:47], exec
	s_or_b64 s[42:43], s[42:43], exec
	s_or_b64 s[44:45], s[44:45], vcc
.LBB14_499:                             ;   in Loop: Header=BB14_17 Depth=1
	s_or_b64 exec, exec, s[48:49]
	s_and_b64 vcc, s[42:43], exec
	s_andn2_b64 s[40:41], s[40:41], exec
	s_and_b64 s[42:43], s[44:45], exec
	s_and_b64 s[46:47], s[46:47], exec
	s_or_b64 s[40:41], s[40:41], s[42:43]
.LBB14_500:                             ;   in Loop: Header=BB14_17 Depth=1
	s_or_b64 exec, exec, s[38:39]
	s_andn2_b64 s[36:37], s[36:37], exec
	s_and_b64 vcc, vcc, exec
	s_andn2_b64 s[24:25], s[24:25], exec
	s_and_b64 s[38:39], s[46:47], exec
	s_or_b64 s[36:37], s[36:37], vcc
	s_andn2_b64 vcc, s[34:35], exec
	s_and_b64 s[34:35], s[40:41], exec
	s_or_b64 s[24:25], s[24:25], s[38:39]
	s_or_b64 s[34:35], vcc, s[34:35]
.LBB14_501:                             ;   in Loop: Header=BB14_17 Depth=1
	s_or_b64 exec, exec, s[22:23]
	s_and_b64 s[24:25], s[24:25], exec
	s_and_b64 s[22:23], s[36:37], exec
	s_and_b64 vcc, s[34:35], exec
                                        ; implicit-def: $vgpr14_vgpr15
	s_andn2_saveexec_b64 s[30:31], s[30:31]
	s_cbranch_execz .LBB14_342
.LBB14_502:                             ;   in Loop: Header=BB14_17 Depth=1
	v_cmp_gt_i16_sdwa s[34:35], v7, v38 src0_sel:BYTE_0 src1_sel:DWORD
                                        ; implicit-def: $vgpr66
	s_and_saveexec_b64 s[36:37], s[34:35]
	s_xor_b64 s[34:35], exec, s[36:37]
	s_cbranch_execz .LBB14_524
; %bb.503:                              ;   in Loop: Header=BB14_17 Depth=1
	v_cmp_gt_i16_sdwa s[36:37], v7, v39 src0_sel:BYTE_0 src1_sel:DWORD
                                        ; implicit-def: $vgpr66
	s_and_saveexec_b64 s[38:39], s[36:37]
	s_xor_b64 s[36:37], exec, s[38:39]
	s_cbranch_execz .LBB14_513
; %bb.504:                              ;   in Loop: Header=BB14_17 Depth=1
	v_cmp_gt_i16_sdwa s[38:39], v7, v48 src0_sel:BYTE_0 src1_sel:DWORD
                                        ; implicit-def: $vgpr66
	s_and_saveexec_b64 s[40:41], s[38:39]
	s_xor_b64 s[38:39], exec, s[40:41]
	s_cbranch_execz .LBB14_510
; %bb.505:                              ;   in Loop: Header=BB14_17 Depth=1
	v_cmp_gt_i16_sdwa s[40:41], v7, v49 src0_sel:BYTE_0 src1_sel:DWORD
                                        ; implicit-def: $vgpr66
	s_and_saveexec_b64 s[42:43], s[40:41]
	s_xor_b64 s[40:41], exec, s[42:43]
	s_cbranch_execz .LBB14_507
; %bb.506:                              ;   in Loop: Header=BB14_17 Depth=1
	flat_load_dwordx2 v[14:15], v[14:15]
	s_waitcnt vmcnt(0) lgkmcnt(0)
	v_cvt_f32_f64_e32 v66, v[14:15]
                                        ; implicit-def: $vgpr14_vgpr15
.LBB14_507:                             ;   in Loop: Header=BB14_17 Depth=1
	s_andn2_saveexec_b64 s[40:41], s[40:41]
	s_cbranch_execz .LBB14_509
; %bb.508:                              ;   in Loop: Header=BB14_17 Depth=1
	flat_load_dword v66, v[14:15]
.LBB14_509:                             ;   in Loop: Header=BB14_17 Depth=1
	s_or_b64 exec, exec, s[40:41]
                                        ; implicit-def: $vgpr14_vgpr15
.LBB14_510:                             ;   in Loop: Header=BB14_17 Depth=1
	s_andn2_saveexec_b64 s[38:39], s[38:39]
	s_cbranch_execz .LBB14_512
; %bb.511:                              ;   in Loop: Header=BB14_17 Depth=1
	flat_load_dword v14, v[14:15]
	s_waitcnt vmcnt(0) lgkmcnt(0)
	v_cvt_f32_f16_e32 v66, v14
.LBB14_512:                             ;   in Loop: Header=BB14_17 Depth=1
	s_or_b64 exec, exec, s[38:39]
                                        ; implicit-def: $vgpr14_vgpr15
.LBB14_513:                             ;   in Loop: Header=BB14_17 Depth=1
	s_andn2_saveexec_b64 s[36:37], s[36:37]
	s_cbranch_execz .LBB14_523
; %bb.514:                              ;   in Loop: Header=BB14_17 Depth=1
	v_cmp_gt_i16_sdwa s[38:39], v7, v50 src0_sel:BYTE_0 src1_sel:DWORD
                                        ; implicit-def: $vgpr66
	s_and_saveexec_b64 s[40:41], s[38:39]
	s_xor_b64 s[38:39], exec, s[40:41]
	s_cbranch_execz .LBB14_520
; %bb.515:                              ;   in Loop: Header=BB14_17 Depth=1
	v_cmp_gt_i16_sdwa s[40:41], v7, v51 src0_sel:BYTE_0 src1_sel:DWORD
                                        ; implicit-def: $vgpr66
	s_and_saveexec_b64 s[42:43], s[40:41]
	s_xor_b64 s[40:41], exec, s[42:43]
	s_cbranch_execz .LBB14_517
; %bb.516:                              ;   in Loop: Header=BB14_17 Depth=1
	flat_load_dwordx2 v[14:15], v[14:15]
	s_waitcnt vmcnt(0) lgkmcnt(0)
	v_cvt_f32_f64_e32 v66, v[14:15]
                                        ; implicit-def: $vgpr14_vgpr15
.LBB14_517:                             ;   in Loop: Header=BB14_17 Depth=1
	s_andn2_saveexec_b64 s[40:41], s[40:41]
	s_cbranch_execz .LBB14_519
; %bb.518:                              ;   in Loop: Header=BB14_17 Depth=1
	s_waitcnt vmcnt(0) lgkmcnt(0)
	flat_load_dword v66, v[14:15]
.LBB14_519:                             ;   in Loop: Header=BB14_17 Depth=1
	s_or_b64 exec, exec, s[40:41]
                                        ; implicit-def: $vgpr14_vgpr15
.LBB14_520:                             ;   in Loop: Header=BB14_17 Depth=1
	s_andn2_saveexec_b64 s[38:39], s[38:39]
	s_cbranch_execz .LBB14_522
; %bb.521:                              ;   in Loop: Header=BB14_17 Depth=1
	flat_load_ushort v14, v[14:15]
	s_waitcnt vmcnt(0) lgkmcnt(0)
	v_cvt_f32_f16_e32 v66, v14
.LBB14_522:                             ;   in Loop: Header=BB14_17 Depth=1
	s_or_b64 exec, exec, s[38:39]
.LBB14_523:                             ;   in Loop: Header=BB14_17 Depth=1
	s_or_b64 exec, exec, s[36:37]
                                        ; implicit-def: $vgpr14_vgpr15
.LBB14_524:                             ;   in Loop: Header=BB14_17 Depth=1
	s_andn2_saveexec_b64 s[34:35], s[34:35]
	s_cbranch_execz .LBB14_542
; %bb.525:                              ;   in Loop: Header=BB14_17 Depth=1
	v_cmp_gt_i16_sdwa s[36:37], v7, v52 src0_sel:BYTE_0 src1_sel:DWORD
                                        ; implicit-def: $vgpr66
	s_and_saveexec_b64 s[38:39], s[36:37]
	s_xor_b64 s[36:37], exec, s[38:39]
	s_cbranch_execz .LBB14_535
; %bb.526:                              ;   in Loop: Header=BB14_17 Depth=1
	v_cmp_gt_i16_sdwa s[38:39], v7, v53 src0_sel:BYTE_0 src1_sel:DWORD
                                        ; implicit-def: $vgpr66
	s_and_saveexec_b64 s[40:41], s[38:39]
	s_xor_b64 s[38:39], exec, s[40:41]
	;; [unrolled: 6-line block ×3, first 2 shown]
	s_cbranch_execz .LBB14_529
; %bb.528:                              ;   in Loop: Header=BB14_17 Depth=1
	flat_load_dwordx2 v[14:15], v[14:15]
	s_waitcnt vmcnt(0) lgkmcnt(0)
	v_xor_b32_e32 v66, v14, v15
	v_ffbh_i32_e32 v65, v15
	v_ashrrev_i32_e32 v66, 31, v66
	v_add_u32_e32 v65, -1, v65
	v_add_u32_e32 v66, 32, v66
	v_min_u32_e32 v65, v65, v66
	v_lshlrev_b64 v[14:15], v65, v[14:15]
	v_min_u32_e32 v14, 1, v14
	v_or_b32_e32 v14, v15, v14
	v_cvt_f32_i32_e32 v14, v14
	v_sub_u32_e32 v15, 32, v65
	v_ldexp_f32 v66, v14, v15
                                        ; implicit-def: $vgpr14_vgpr15
.LBB14_529:                             ;   in Loop: Header=BB14_17 Depth=1
	s_andn2_saveexec_b64 s[40:41], s[40:41]
	s_cbranch_execz .LBB14_531
; %bb.530:                              ;   in Loop: Header=BB14_17 Depth=1
	flat_load_dword v14, v[14:15]
	s_waitcnt vmcnt(0) lgkmcnt(0)
	v_cvt_f32_i32_e32 v66, v14
.LBB14_531:                             ;   in Loop: Header=BB14_17 Depth=1
	s_or_b64 exec, exec, s[40:41]
                                        ; implicit-def: $vgpr14_vgpr15
.LBB14_532:                             ;   in Loop: Header=BB14_17 Depth=1
	s_andn2_saveexec_b64 s[38:39], s[38:39]
	s_cbranch_execz .LBB14_534
; %bb.533:                              ;   in Loop: Header=BB14_17 Depth=1
	flat_load_sshort v14, v[14:15]
	s_waitcnt vmcnt(0) lgkmcnt(0)
	v_cvt_f32_i32_e32 v66, v14
.LBB14_534:                             ;   in Loop: Header=BB14_17 Depth=1
	s_or_b64 exec, exec, s[38:39]
                                        ; implicit-def: $vgpr14_vgpr15
.LBB14_535:                             ;   in Loop: Header=BB14_17 Depth=1
	s_andn2_saveexec_b64 s[36:37], s[36:37]
	s_cbranch_execz .LBB14_541
; %bb.536:                              ;   in Loop: Header=BB14_17 Depth=1
	v_cmp_gt_i16_sdwa s[38:39], v7, v16 src0_sel:BYTE_0 src1_sel:DWORD
                                        ; implicit-def: $vgpr66
	s_and_saveexec_b64 s[40:41], s[38:39]
	s_xor_b64 s[38:39], exec, s[40:41]
	s_cbranch_execz .LBB14_538
; %bb.537:                              ;   in Loop: Header=BB14_17 Depth=1
	flat_load_sbyte v14, v[14:15]
	s_waitcnt vmcnt(0) lgkmcnt(0)
	v_cvt_f32_i32_e32 v66, v14
                                        ; implicit-def: $vgpr14_vgpr15
.LBB14_538:                             ;   in Loop: Header=BB14_17 Depth=1
	s_andn2_saveexec_b64 s[38:39], s[38:39]
	s_cbranch_execz .LBB14_540
; %bb.539:                              ;   in Loop: Header=BB14_17 Depth=1
	flat_load_ubyte v14, v[14:15]
	s_waitcnt vmcnt(0) lgkmcnt(0)
	v_cvt_f32_ubyte0_e32 v66, v14
.LBB14_540:                             ;   in Loop: Header=BB14_17 Depth=1
	s_or_b64 exec, exec, s[38:39]
.LBB14_541:                             ;   in Loop: Header=BB14_17 Depth=1
	s_or_b64 exec, exec, s[36:37]
.LBB14_542:                             ;   in Loop: Header=BB14_17 Depth=1
	s_or_b64 exec, exec, s[34:35]
	s_andn2_b64 s[24:25], s[24:25], exec
	s_andn2_b64 s[22:23], s[22:23], exec
	s_or_b64 vcc, vcc, exec
	s_or_b64 exec, exec, s[30:31]
	s_mov_b64 s[34:35], 0
	s_and_saveexec_b64 s[30:31], vcc
	s_cbranch_execz .LBB14_548
.LBB14_543:                             ;   in Loop: Header=BB14_17 Depth=1
	v_mul_lo_u32 v14, v64, v10
	v_readlane_b32 s34, v44, 0
	v_add_co_u32_e32 v14, vcc, v4, v14
	v_add_u32_e32 v65, s34, v17
	v_addc_co_u32_e32 v15, vcc, 0, v5, vcc
	v_cmp_gt_i16_sdwa s[34:35], v8, v18 src0_sel:BYTE_0 src1_sel:DWORD
	s_mov_b64 s[38:39], 0
	s_waitcnt vmcnt(0) lgkmcnt(0)
	buffer_store_dword v66, v65, s[0:3], 0 offen offset:20
                                        ; implicit-def: $vcc
                                        ; implicit-def: $sgpr36_sgpr37
                                        ; implicit-def: $vgpr64
	s_and_saveexec_b64 s[40:41], s[34:35]
	s_xor_b64 s[34:35], exec, s[40:41]
	s_cbranch_execnz .LBB14_554
; %bb.544:                              ;   in Loop: Header=BB14_17 Depth=1
	s_andn2_saveexec_b64 s[34:35], s[34:35]
	s_cbranch_execnz .LBB14_613
.LBB14_545:                             ;   in Loop: Header=BB14_17 Depth=1
	s_or_b64 exec, exec, s[34:35]
	s_mov_b64 s[34:35], 0
	s_and_saveexec_b64 s[40:41], s[38:39]
	s_cbranch_execz .LBB14_547
.LBB14_546:                             ;   in Loop: Header=BB14_17 Depth=1
	s_mov_b64 s[34:35], exec
	v_add_u32_e32 v55, 0x200, v55
	s_andn2_b64 s[36:37], s[36:37], exec
	s_andn2_b64 vcc, vcc, exec
	s_waitcnt vmcnt(0) lgkmcnt(0)
	buffer_store_dword v64, v65, s[0:3], 0 offen offset:16
.LBB14_547:                             ;   in Loop: Header=BB14_17 Depth=1
	s_or_b64 exec, exec, s[40:41]
	s_andn2_b64 s[24:25], s[24:25], exec
	s_and_b64 s[36:37], s[36:37], exec
	s_andn2_b64 s[22:23], s[22:23], exec
	s_and_b64 vcc, vcc, exec
	s_or_b64 s[24:25], s[24:25], s[36:37]
	s_or_b64 s[22:23], s[22:23], vcc
	s_and_b64 s[34:35], s[34:35], exec
.LBB14_548:                             ;   in Loop: Header=BB14_17 Depth=1
	s_or_b64 exec, exec, s[30:31]
	s_and_b64 s[24:25], s[24:25], exec
	s_and_b64 s[22:23], s[22:23], exec
	s_orn2_b64 s[30:31], s[34:35], exec
.LBB14_549:                             ;   in Loop: Header=BB14_17 Depth=1
	s_or_b64 exec, exec, s[26:27]
	s_and_saveexec_b64 s[26:27], s[30:31]
	s_cbranch_execz .LBB14_14
; %bb.550:                              ;   in Loop: Header=BB14_17 Depth=1
	v_cmp_lt_i32_e32 vcc, v55, v6
	s_mov_b64 s[36:37], -1
	s_mov_b64 s[38:39], -1
                                        ; implicit-def: $sgpr28_sgpr29
                                        ; implicit-def: $sgpr30_sgpr31
	s_and_saveexec_b64 s[34:35], vcc
	s_cbranch_execz .LBB14_760
; %bb.551:                              ;   in Loop: Header=BB14_17 Depth=1
	v_readlane_b32 s28, v44, 1
	s_waitcnt vmcnt(0) lgkmcnt(0)
	v_add_u32_e32 v64, s28, v55
	v_mul_lo_u32 v14, v64, v9
	v_add_co_u32_e32 v14, vcc, v2, v14
	v_addc_co_u32_e32 v15, vcc, 0, v3, vcc
	v_cmp_gt_i16_sdwa s[38:39], v7, v18 src0_sel:BYTE_0 src1_sel:DWORD
	s_mov_b64 vcc, 0
                                        ; implicit-def: $sgpr28_sgpr29
                                        ; implicit-def: $sgpr30_sgpr31
                                        ; implicit-def: $vgpr66
	s_and_saveexec_b64 s[40:41], s[38:39]
	s_xor_b64 s[38:39], exec, s[40:41]
	s_cbranch_execnz .LBB14_654
; %bb.552:                              ;   in Loop: Header=BB14_17 Depth=1
	s_andn2_saveexec_b64 s[38:39], s[38:39]
	s_cbranch_execnz .LBB14_713
.LBB14_553:                             ;   in Loop: Header=BB14_17 Depth=1
	s_or_b64 exec, exec, s[38:39]
	s_mov_b64 s[40:41], 0
	s_and_saveexec_b64 s[38:39], vcc
	s_cbranch_execnz .LBB14_754
	s_branch .LBB14_759
.LBB14_554:                             ;   in Loop: Header=BB14_17 Depth=1
	v_cmp_gt_i16_sdwa vcc, v8, v19 src0_sel:BYTE_0 src1_sel:DWORD
                                        ; implicit-def: $sgpr40_sgpr41
                                        ; implicit-def: $sgpr42_sgpr43
                                        ; implicit-def: $vgpr64
	s_and_saveexec_b64 s[36:37], vcc
	s_xor_b64 s[36:37], exec, s[36:37]
	s_cbranch_execz .LBB14_586
; %bb.555:                              ;   in Loop: Header=BB14_17 Depth=1
	v_cmp_gt_i16_sdwa vcc, v8, v20 src0_sel:BYTE_0 src1_sel:DWORD
                                        ; implicit-def: $sgpr40_sgpr41
                                        ; implicit-def: $sgpr44_sgpr45
                                        ; implicit-def: $vgpr64
	s_and_saveexec_b64 s[42:43], vcc
	s_xor_b64 s[42:43], exec, s[42:43]
	s_cbranch_execz .LBB14_571
; %bb.556:                              ;   in Loop: Header=BB14_17 Depth=1
	v_cmp_gt_i16_sdwa s[38:39], v8, v21 src0_sel:BYTE_0 src1_sel:DWORD
	s_mov_b64 s[46:47], 0
                                        ; implicit-def: $vcc
                                        ; implicit-def: $sgpr44_sgpr45
                                        ; implicit-def: $vgpr64
	s_and_saveexec_b64 s[40:41], s[38:39]
	s_xor_b64 s[38:39], exec, s[40:41]
	s_cbranch_execz .LBB14_566
; %bb.557:                              ;   in Loop: Header=BB14_17 Depth=1
	v_cmp_gt_i16_sdwa vcc, v8, v22 src0_sel:BYTE_0 src1_sel:DWORD
                                        ; implicit-def: $sgpr44_sgpr45
                                        ; implicit-def: $sgpr40_sgpr41
                                        ; implicit-def: $vgpr64
	s_and_saveexec_b64 s[48:49], vcc
	s_xor_b64 vcc, exec, s[48:49]
	s_cbranch_execz .LBB14_561
; %bb.558:                              ;   in Loop: Header=BB14_17 Depth=1
	v_cmp_eq_u16_sdwa s[48:49], v8, v23 src0_sel:BYTE_0 src1_sel:DWORD
	s_mov_b64 s[40:41], 0
                                        ; implicit-def: $vgpr64
	s_and_saveexec_b64 s[44:45], s[48:49]
	s_cbranch_execz .LBB14_560
; %bb.559:                              ;   in Loop: Header=BB14_17 Depth=1
	flat_load_dword v14, v[14:15]
	s_mov_b64 s[46:47], exec
	s_waitcnt vmcnt(0) lgkmcnt(0)
	v_lshlrev_b32_e32 v64, 16, v14
.LBB14_560:                             ;   in Loop: Header=BB14_17 Depth=1
	s_or_b64 exec, exec, s[44:45]
	s_mov_b64 s[44:45], -1
	s_and_b64 s[46:47], s[46:47], exec
                                        ; implicit-def: $vgpr14_vgpr15
.LBB14_561:                             ;   in Loop: Header=BB14_17 Depth=1
	s_andn2_saveexec_b64 s[48:49], vcc
	s_cbranch_execz .LBB14_565
; %bb.562:                              ;   in Loop: Header=BB14_17 Depth=1
	v_cmp_eq_u16_sdwa s[52:53], v8, v24 src0_sel:BYTE_0 src1_sel:DWORD
	s_mov_b64 vcc, s[46:47]
                                        ; implicit-def: $vgpr64
	s_and_saveexec_b64 s[50:51], s[52:53]
	s_cbranch_execz .LBB14_564
; %bb.563:                              ;   in Loop: Header=BB14_17 Depth=1
	flat_load_ubyte v14, v[14:15]
	s_movk_i32 vcc_lo, 0xff
	s_waitcnt vmcnt(0) lgkmcnt(0)
	v_lshlrev_b32_e32 v15, 23, v14
	v_cmp_ne_u32_e32 vcc, vcc_lo, v14
	v_cndmask_b32_e32 v15, v25, v15, vcc
	v_cmp_ne_u32_e32 vcc, 0, v14
	v_cndmask_b32_e32 v64, v26, v15, vcc
	s_or_b64 vcc, s[46:47], exec
.LBB14_564:                             ;   in Loop: Header=BB14_17 Depth=1
	s_or_b64 exec, exec, s[50:51]
	s_andn2_b64 s[46:47], s[46:47], exec
	s_and_b64 vcc, vcc, exec
	s_or_b64 s[44:45], s[44:45], exec
	s_andn2_b64 s[40:41], s[40:41], exec
	s_or_b64 s[46:47], s[46:47], vcc
.LBB14_565:                             ;   in Loop: Header=BB14_17 Depth=1
	s_or_b64 exec, exec, s[48:49]
	s_and_b64 s[44:45], s[44:45], exec
	s_and_b64 vcc, s[40:41], exec
	s_and_b64 s[46:47], s[46:47], exec
                                        ; implicit-def: $vgpr14_vgpr15
.LBB14_566:                             ;   in Loop: Header=BB14_17 Depth=1
	s_andn2_saveexec_b64 s[38:39], s[38:39]
	s_cbranch_execz .LBB14_570
; %bb.567:                              ;   in Loop: Header=BB14_17 Depth=1
	v_cmp_eq_u16_sdwa s[50:51], v8, v27 src0_sel:BYTE_0 src1_sel:DWORD
	s_mov_b64 s[48:49], s[46:47]
                                        ; implicit-def: $vgpr64
	s_and_saveexec_b64 s[40:41], s[50:51]
	s_cbranch_execz .LBB14_569
; %bb.568:                              ;   in Loop: Header=BB14_17 Depth=1
	flat_load_dwordx2 v[14:15], v[14:15]
	s_or_b64 s[48:49], s[46:47], exec
	s_waitcnt vmcnt(0) lgkmcnt(0)
	v_ffbh_u32_e32 v64, v15
	v_min_u32_e32 v64, 32, v64
	v_lshlrev_b64 v[14:15], v64, v[14:15]
	v_min_u32_e32 v14, 1, v14
	v_or_b32_e32 v14, v15, v14
	v_cvt_f32_u32_e32 v14, v14
	v_sub_u32_e32 v15, 32, v64
	v_ldexp_f32 v64, v14, v15
.LBB14_569:                             ;   in Loop: Header=BB14_17 Depth=1
	s_or_b64 exec, exec, s[40:41]
	s_andn2_b64 s[40:41], s[46:47], exec
	s_and_b64 s[46:47], s[48:49], exec
	s_or_b64 s[44:45], s[44:45], exec
	s_andn2_b64 vcc, vcc, exec
	s_or_b64 s[46:47], s[40:41], s[46:47]
.LBB14_570:                             ;   in Loop: Header=BB14_17 Depth=1
	s_or_b64 exec, exec, s[38:39]
	s_and_b64 s[44:45], s[44:45], exec
	s_and_b64 s[40:41], vcc, exec
	s_and_b64 s[38:39], s[46:47], exec
                                        ; implicit-def: $vgpr14_vgpr15
.LBB14_571:                             ;   in Loop: Header=BB14_17 Depth=1
	s_andn2_saveexec_b64 s[42:43], s[42:43]
	s_cbranch_execz .LBB14_585
; %bb.572:                              ;   in Loop: Header=BB14_17 Depth=1
	v_cmp_gt_i16_sdwa vcc, v8, v28 src0_sel:BYTE_0 src1_sel:DWORD
                                        ; implicit-def: $vgpr64
	s_and_saveexec_b64 s[46:47], vcc
	s_xor_b64 vcc, exec, s[46:47]
	s_cbranch_execz .LBB14_578
; %bb.573:                              ;   in Loop: Header=BB14_17 Depth=1
	v_cmp_gt_i16_sdwa s[46:47], v8, v29 src0_sel:BYTE_0 src1_sel:DWORD
                                        ; implicit-def: $vgpr64
	s_and_saveexec_b64 s[48:49], s[46:47]
	s_xor_b64 s[46:47], exec, s[48:49]
	s_cbranch_execz .LBB14_575
; %bb.574:                              ;   in Loop: Header=BB14_17 Depth=1
	flat_load_dword v14, v[14:15]
	s_waitcnt vmcnt(0) lgkmcnt(0)
	v_cvt_f32_u32_e32 v64, v14
                                        ; implicit-def: $vgpr14_vgpr15
.LBB14_575:                             ;   in Loop: Header=BB14_17 Depth=1
	s_andn2_saveexec_b64 s[46:47], s[46:47]
	s_cbranch_execz .LBB14_577
; %bb.576:                              ;   in Loop: Header=BB14_17 Depth=1
	flat_load_ushort v14, v[14:15]
	s_waitcnt vmcnt(0) lgkmcnt(0)
	v_cvt_f32_u32_e32 v64, v14
.LBB14_577:                             ;   in Loop: Header=BB14_17 Depth=1
	s_or_b64 exec, exec, s[46:47]
                                        ; implicit-def: $vgpr14_vgpr15
.LBB14_578:                             ;   in Loop: Header=BB14_17 Depth=1
	s_andn2_saveexec_b64 s[46:47], vcc
	s_cbranch_execz .LBB14_584
; %bb.579:                              ;   in Loop: Header=BB14_17 Depth=1
	flat_load_ubyte v14, v[14:15]
	s_movk_i32 vcc_lo, 0x7f
	s_mov_b64 s[48:49], 0
                                        ; implicit-def: $sgpr54
	s_waitcnt vmcnt(0) lgkmcnt(0)
	v_cmp_lt_i16_e32 vcc, vcc_lo, v14
	s_and_saveexec_b64 s[50:51], vcc
	s_xor_b64 s[50:51], exec, s[50:51]
	s_cbranch_execnz .LBB14_1438
; %bb.580:                              ;   in Loop: Header=BB14_17 Depth=1
	s_or_saveexec_b64 s[50:51], s[50:51]
	v_mov_b32_e32 v64, s54
	s_xor_b64 exec, exec, s[50:51]
	s_cbranch_execnz .LBB14_1441
.LBB14_581:                             ;   in Loop: Header=BB14_17 Depth=1
	s_or_b64 exec, exec, s[50:51]
	s_and_saveexec_b64 s[50:51], s[48:49]
	s_cbranch_execz .LBB14_583
.LBB14_582:                             ;   in Loop: Header=BB14_17 Depth=1
	v_lshlrev_b32_e32 v15, 24, v14
	v_and_b32_e32 v14, 0xffff, v14
	v_and_b32_e32 v64, 7, v14
	v_ffbh_u32_e32 v67, v64
	v_min_u32_e32 v67, 32, v67
	v_subrev_u32_e32 v68, 28, v67
	v_bfe_u32 v66, v14, 3, 4
	v_lshlrev_b32_e32 v14, v68, v14
	v_sub_u32_e32 v67, 29, v67
	v_and_b32_e32 v14, 7, v14
	v_cmp_eq_u32_e32 vcc, 0, v66
	v_cndmask_b32_e32 v66, v66, v67, vcc
	v_cndmask_b32_e32 v14, v64, v14, vcc
	v_lshlrev_b32_e32 v14, 20, v14
	v_and_b32_e32 v15, 0x80000000, v15
	v_lshl_add_u32 v64, v66, 23, v30
	v_or3_b32 v64, v15, v64, v14
.LBB14_583:                             ;   in Loop: Header=BB14_17 Depth=1
	s_or_b64 exec, exec, s[50:51]
.LBB14_584:                             ;   in Loop: Header=BB14_17 Depth=1
	s_or_b64 exec, exec, s[46:47]
	s_andn2_b64 s[44:45], s[44:45], exec
	s_andn2_b64 s[40:41], s[40:41], exec
	s_or_b64 s[38:39], s[38:39], exec
.LBB14_585:                             ;   in Loop: Header=BB14_17 Depth=1
	s_or_b64 exec, exec, s[42:43]
	s_and_b64 s[42:43], s[44:45], exec
	s_and_b64 s[40:41], s[40:41], exec
	;; [unrolled: 1-line block ×3, first 2 shown]
                                        ; implicit-def: $vgpr14_vgpr15
.LBB14_586:                             ;   in Loop: Header=BB14_17 Depth=1
	s_andn2_saveexec_b64 s[36:37], s[36:37]
	s_cbranch_execz .LBB14_612
; %bb.587:                              ;   in Loop: Header=BB14_17 Depth=1
	v_cmp_gt_i16_sdwa vcc, v8, v31 src0_sel:BYTE_0 src1_sel:DWORD
	s_mov_b64 s[46:47], s[38:39]
                                        ; implicit-def: $vgpr64
	s_and_saveexec_b64 s[44:45], vcc
	s_xor_b64 s[44:45], exec, s[44:45]
	s_cbranch_execz .LBB14_601
; %bb.588:                              ;   in Loop: Header=BB14_17 Depth=1
	v_cmp_gt_i16_sdwa vcc, v8, v32 src0_sel:BYTE_0 src1_sel:DWORD
                                        ; implicit-def: $vgpr64
	s_and_saveexec_b64 s[46:47], vcc
	s_xor_b64 s[46:47], exec, s[46:47]
	s_cbranch_execz .LBB14_598
; %bb.589:                              ;   in Loop: Header=BB14_17 Depth=1
	v_cmp_gt_i16_sdwa vcc, v8, v33 src0_sel:BYTE_0 src1_sel:DWORD
                                        ; implicit-def: $vgpr64
	s_and_saveexec_b64 s[48:49], vcc
	s_xor_b64 s[48:49], exec, s[48:49]
	s_cbranch_execz .LBB14_595
; %bb.590:                              ;   in Loop: Header=BB14_17 Depth=1
	flat_load_ubyte v14, v[14:15]
	s_movk_i32 vcc_lo, 0x7f
	s_mov_b64 s[50:51], 0
                                        ; implicit-def: $sgpr56
	s_waitcnt vmcnt(0) lgkmcnt(0)
	v_cmp_lt_i16_e32 vcc, vcc_lo, v14
	s_and_saveexec_b64 s[52:53], vcc
	s_xor_b64 s[52:53], exec, s[52:53]
	s_cbranch_execnz .LBB14_1657
; %bb.591:                              ;   in Loop: Header=BB14_17 Depth=1
	s_or_saveexec_b64 s[52:53], s[52:53]
	v_mov_b32_e32 v64, s56
	s_xor_b64 exec, exec, s[52:53]
	s_cbranch_execnz .LBB14_1660
.LBB14_592:                             ;   in Loop: Header=BB14_17 Depth=1
	s_or_b64 exec, exec, s[52:53]
	s_and_saveexec_b64 s[52:53], s[50:51]
	s_cbranch_execz .LBB14_594
.LBB14_593:                             ;   in Loop: Header=BB14_17 Depth=1
	v_lshlrev_b32_e32 v15, 24, v14
	v_and_b32_e32 v14, 0xffff, v14
	v_and_b32_e32 v64, 3, v14
	v_ffbh_u32_e32 v67, v64
	v_min_u32_e32 v67, 32, v67
	v_subrev_u32_e32 v68, 29, v67
	v_bfe_u32 v66, v14, 2, 5
	v_lshlrev_b32_e32 v14, v68, v14
	v_sub_u32_e32 v67, 30, v67
	v_and_b32_e32 v14, 3, v14
	v_cmp_eq_u32_e32 vcc, 0, v66
	v_cndmask_b32_e32 v66, v66, v67, vcc
	v_cndmask_b32_e32 v14, v64, v14, vcc
	v_lshlrev_b32_e32 v14, 21, v14
	v_and_b32_e32 v15, 0x80000000, v15
	v_lshl_add_u32 v64, v66, 23, v34
	v_or3_b32 v64, v15, v64, v14
.LBB14_594:                             ;   in Loop: Header=BB14_17 Depth=1
	s_or_b64 exec, exec, s[52:53]
                                        ; implicit-def: $vgpr14_vgpr15
.LBB14_595:                             ;   in Loop: Header=BB14_17 Depth=1
	s_andn2_saveexec_b64 s[48:49], s[48:49]
	s_cbranch_execz .LBB14_597
; %bb.596:                              ;   in Loop: Header=BB14_17 Depth=1
	flat_load_ubyte v14, v[14:15]
	s_mov_b32 vcc_lo, 0x7f800000
	s_waitcnt vmcnt(0) lgkmcnt(0)
	v_lshlrev_b32_e32 v14, 24, v14
	v_and_b32_e32 v15, 0x7f000000, v14
	v_ffbh_u32_e32 v64, v15
	v_min_u32_e32 v64, 32, v64
	v_sub_u32_e64 v64, v64, 4 clamp
	v_lshlrev_b32_e32 v67, v64, v15
	v_lshlrev_b32_e32 v64, 23, v64
	v_lshrrev_b32_e32 v67, 4, v67
	v_add_u32_e32 v66, 0x1000000, v15
	v_sub_u32_e32 v64, v67, v64
	v_ashrrev_i32_e32 v66, 8, v66
	v_add_u32_e32 v64, 0x3c000000, v64
	v_and_or_b32 v64, v66, vcc_lo, v64
	v_cmp_ne_u32_e32 vcc, 0, v15
	v_cndmask_b32_e32 v15, 0, v64, vcc
	s_brev_b32 vcc_lo, 1
	v_and_or_b32 v64, v14, vcc_lo, v15
.LBB14_597:                             ;   in Loop: Header=BB14_17 Depth=1
	s_or_b64 exec, exec, s[48:49]
                                        ; implicit-def: $vgpr14_vgpr15
.LBB14_598:                             ;   in Loop: Header=BB14_17 Depth=1
	s_andn2_saveexec_b64 s[46:47], s[46:47]
	s_cbranch_execz .LBB14_600
; %bb.599:                              ;   in Loop: Header=BB14_17 Depth=1
	flat_load_ubyte v14, v[14:15]
	s_movk_i32 vcc_lo, 0x7f00
	s_waitcnt vmcnt(0) lgkmcnt(0)
	v_lshlrev_b16_e32 v15, 8, v14
	v_lshlrev_b32_e32 v14, 25, v14
	v_lshrrev_b32_e32 v64, 4, v14
	v_and_or_b32 v66, v15, vcc_lo, 0.5
	v_or_b32_e32 v64, 0x70000000, v64
	s_brev_b32 vcc_lo, 16
	v_add_f32_e32 v66, -0.5, v66
	v_mul_f32_e32 v64, 0x7800000, v64
	v_cmp_gt_u32_e32 vcc, vcc_lo, v14
	v_cndmask_b32_e32 v14, v64, v66, vcc
	v_bfe_i32 v15, v15, 0, 16
	s_brev_b32 vcc_lo, 1
	v_and_or_b32 v64, v15, vcc_lo, v14
.LBB14_600:                             ;   in Loop: Header=BB14_17 Depth=1
	s_or_b64 exec, exec, s[46:47]
	s_or_b64 s[46:47], s[38:39], exec
                                        ; implicit-def: $vgpr14_vgpr15
.LBB14_601:                             ;   in Loop: Header=BB14_17 Depth=1
	s_or_saveexec_b64 s[44:45], s[44:45]
                                        ; implicit-def: $vcc
                                        ; implicit-def: $sgpr52_sgpr53
	s_xor_b64 exec, exec, s[44:45]
	s_cbranch_execz .LBB14_611
; %bb.602:                              ;   in Loop: Header=BB14_17 Depth=1
	v_cmp_gt_i16_sdwa vcc, v8, v35 src0_sel:BYTE_0 src1_sel:DWORD
	s_mov_b64 s[50:51], s[46:47]
                                        ; implicit-def: $sgpr52_sgpr53
                                        ; implicit-def: $sgpr48_sgpr49
                                        ; implicit-def: $vgpr64
	s_and_saveexec_b64 s[54:55], vcc
	s_xor_b64 vcc, exec, s[54:55]
	s_cbranch_execz .LBB14_606
; %bb.603:                              ;   in Loop: Header=BB14_17 Depth=1
	v_cmp_eq_u16_sdwa s[52:53], v8, v36 src0_sel:BYTE_0 src1_sel:DWORD
	s_mov_b64 s[50:51], s[46:47]
                                        ; implicit-def: $vgpr64
	s_and_saveexec_b64 s[48:49], s[52:53]
	s_cbranch_execz .LBB14_605
; %bb.604:                              ;   in Loop: Header=BB14_17 Depth=1
	flat_load_ushort v14, v[14:15]
	s_or_b64 s[50:51], s[46:47], exec
	s_waitcnt vmcnt(0) lgkmcnt(0)
	v_lshlrev_b32_e32 v64, 16, v14
.LBB14_605:                             ;   in Loop: Header=BB14_17 Depth=1
	s_or_b64 exec, exec, s[48:49]
	s_andn2_b64 s[54:55], s[46:47], exec
	s_and_b64 s[50:51], s[50:51], exec
	s_mov_b64 s[48:49], 0
	s_mov_b64 s[52:53], -1
	s_or_b64 s[50:51], s[54:55], s[50:51]
                                        ; implicit-def: $vgpr14_vgpr15
.LBB14_606:                             ;   in Loop: Header=BB14_17 Depth=1
	s_andn2_saveexec_b64 s[54:55], vcc
	s_cbranch_execz .LBB14_610
; %bb.607:                              ;   in Loop: Header=BB14_17 Depth=1
	v_cmp_eq_u16_sdwa s[58:59], v8, v37 src0_sel:BYTE_0 src1_sel:DWORD
	s_mov_b64 vcc, s[50:51]
                                        ; implicit-def: $vgpr64
	s_and_saveexec_b64 s[56:57], s[58:59]
	s_cbranch_execz .LBB14_609
; %bb.608:                              ;   in Loop: Header=BB14_17 Depth=1
	flat_load_ubyte v14, v[14:15]
	s_waitcnt vmcnt(0) lgkmcnt(0)
	v_cmp_ne_u16_e32 vcc, 0, v14
	v_cndmask_b32_e64 v64, 0, 1.0, vcc
	s_or_b64 vcc, s[50:51], exec
.LBB14_609:                             ;   in Loop: Header=BB14_17 Depth=1
	s_or_b64 exec, exec, s[56:57]
	s_andn2_b64 s[50:51], s[50:51], exec
	s_and_b64 vcc, vcc, exec
	s_or_b64 s[52:53], s[52:53], exec
	s_andn2_b64 s[48:49], s[48:49], exec
	s_or_b64 s[50:51], s[50:51], vcc
.LBB14_610:                             ;   in Loop: Header=BB14_17 Depth=1
	s_or_b64 exec, exec, s[54:55]
	s_and_b64 vcc, s[48:49], exec
	s_andn2_b64 s[46:47], s[46:47], exec
	s_and_b64 s[48:49], s[50:51], exec
	s_and_b64 s[52:53], s[52:53], exec
	s_or_b64 s[46:47], s[46:47], s[48:49]
.LBB14_611:                             ;   in Loop: Header=BB14_17 Depth=1
	s_or_b64 exec, exec, s[44:45]
	s_andn2_b64 s[40:41], s[40:41], exec
	s_and_b64 vcc, vcc, exec
	s_andn2_b64 s[42:43], s[42:43], exec
	s_and_b64 s[44:45], s[52:53], exec
	s_or_b64 s[40:41], s[40:41], vcc
	s_andn2_b64 vcc, s[38:39], exec
	s_and_b64 s[38:39], s[46:47], exec
	s_or_b64 s[42:43], s[42:43], s[44:45]
	s_or_b64 s[38:39], vcc, s[38:39]
.LBB14_612:                             ;   in Loop: Header=BB14_17 Depth=1
	s_or_b64 exec, exec, s[36:37]
	s_and_b64 s[36:37], s[42:43], exec
	s_and_b64 vcc, s[40:41], exec
	s_and_b64 s[38:39], s[38:39], exec
                                        ; implicit-def: $vgpr14_vgpr15
	s_andn2_saveexec_b64 s[34:35], s[34:35]
	s_cbranch_execz .LBB14_545
.LBB14_613:                             ;   in Loop: Header=BB14_17 Depth=1
	v_cmp_gt_i16_sdwa s[40:41], v8, v38 src0_sel:BYTE_0 src1_sel:DWORD
                                        ; implicit-def: $vgpr64
	s_and_saveexec_b64 s[42:43], s[40:41]
	s_xor_b64 s[40:41], exec, s[42:43]
	s_cbranch_execz .LBB14_635
; %bb.614:                              ;   in Loop: Header=BB14_17 Depth=1
	v_cmp_gt_i16_sdwa s[42:43], v8, v39 src0_sel:BYTE_0 src1_sel:DWORD
                                        ; implicit-def: $vgpr64
	s_and_saveexec_b64 s[44:45], s[42:43]
	s_xor_b64 s[42:43], exec, s[44:45]
	s_cbranch_execz .LBB14_624
; %bb.615:                              ;   in Loop: Header=BB14_17 Depth=1
	;; [unrolled: 6-line block ×4, first 2 shown]
	flat_load_dwordx2 v[14:15], v[14:15]
	s_waitcnt vmcnt(0) lgkmcnt(0)
	v_cvt_f32_f64_e32 v64, v[14:15]
                                        ; implicit-def: $vgpr14_vgpr15
.LBB14_618:                             ;   in Loop: Header=BB14_17 Depth=1
	s_andn2_saveexec_b64 s[46:47], s[46:47]
	s_cbranch_execz .LBB14_620
; %bb.619:                              ;   in Loop: Header=BB14_17 Depth=1
	flat_load_dword v64, v[14:15]
.LBB14_620:                             ;   in Loop: Header=BB14_17 Depth=1
	s_or_b64 exec, exec, s[46:47]
                                        ; implicit-def: $vgpr14_vgpr15
.LBB14_621:                             ;   in Loop: Header=BB14_17 Depth=1
	s_andn2_saveexec_b64 s[44:45], s[44:45]
	s_cbranch_execz .LBB14_623
; %bb.622:                              ;   in Loop: Header=BB14_17 Depth=1
	flat_load_dword v14, v[14:15]
	s_waitcnt vmcnt(0) lgkmcnt(0)
	v_cvt_f32_f16_e32 v64, v14
.LBB14_623:                             ;   in Loop: Header=BB14_17 Depth=1
	s_or_b64 exec, exec, s[44:45]
                                        ; implicit-def: $vgpr14_vgpr15
.LBB14_624:                             ;   in Loop: Header=BB14_17 Depth=1
	s_andn2_saveexec_b64 s[42:43], s[42:43]
	s_cbranch_execz .LBB14_634
; %bb.625:                              ;   in Loop: Header=BB14_17 Depth=1
	v_cmp_gt_i16_sdwa s[44:45], v8, v50 src0_sel:BYTE_0 src1_sel:DWORD
                                        ; implicit-def: $vgpr64
	s_and_saveexec_b64 s[46:47], s[44:45]
	s_xor_b64 s[44:45], exec, s[46:47]
	s_cbranch_execz .LBB14_631
; %bb.626:                              ;   in Loop: Header=BB14_17 Depth=1
	v_cmp_gt_i16_sdwa s[46:47], v8, v51 src0_sel:BYTE_0 src1_sel:DWORD
                                        ; implicit-def: $vgpr64
	s_and_saveexec_b64 s[48:49], s[46:47]
	s_xor_b64 s[46:47], exec, s[48:49]
	s_cbranch_execz .LBB14_628
; %bb.627:                              ;   in Loop: Header=BB14_17 Depth=1
	flat_load_dwordx2 v[14:15], v[14:15]
	s_waitcnt vmcnt(0) lgkmcnt(0)
	v_cvt_f32_f64_e32 v64, v[14:15]
                                        ; implicit-def: $vgpr14_vgpr15
.LBB14_628:                             ;   in Loop: Header=BB14_17 Depth=1
	s_andn2_saveexec_b64 s[46:47], s[46:47]
	s_cbranch_execz .LBB14_630
; %bb.629:                              ;   in Loop: Header=BB14_17 Depth=1
	s_waitcnt vmcnt(0) lgkmcnt(0)
	flat_load_dword v64, v[14:15]
.LBB14_630:                             ;   in Loop: Header=BB14_17 Depth=1
	s_or_b64 exec, exec, s[46:47]
                                        ; implicit-def: $vgpr14_vgpr15
.LBB14_631:                             ;   in Loop: Header=BB14_17 Depth=1
	s_andn2_saveexec_b64 s[44:45], s[44:45]
	s_cbranch_execz .LBB14_633
; %bb.632:                              ;   in Loop: Header=BB14_17 Depth=1
	flat_load_ushort v14, v[14:15]
	s_waitcnt vmcnt(0) lgkmcnt(0)
	v_cvt_f32_f16_e32 v64, v14
.LBB14_633:                             ;   in Loop: Header=BB14_17 Depth=1
	s_or_b64 exec, exec, s[44:45]
.LBB14_634:                             ;   in Loop: Header=BB14_17 Depth=1
	s_or_b64 exec, exec, s[42:43]
                                        ; implicit-def: $vgpr14_vgpr15
.LBB14_635:                             ;   in Loop: Header=BB14_17 Depth=1
	s_andn2_saveexec_b64 s[40:41], s[40:41]
	s_cbranch_execz .LBB14_653
; %bb.636:                              ;   in Loop: Header=BB14_17 Depth=1
	v_cmp_gt_i16_sdwa s[42:43], v8, v52 src0_sel:BYTE_0 src1_sel:DWORD
                                        ; implicit-def: $vgpr64
	s_and_saveexec_b64 s[44:45], s[42:43]
	s_xor_b64 s[42:43], exec, s[44:45]
	s_cbranch_execz .LBB14_646
; %bb.637:                              ;   in Loop: Header=BB14_17 Depth=1
	v_cmp_gt_i16_sdwa s[44:45], v8, v53 src0_sel:BYTE_0 src1_sel:DWORD
                                        ; implicit-def: $vgpr64
	s_and_saveexec_b64 s[46:47], s[44:45]
	s_xor_b64 s[44:45], exec, s[46:47]
	s_cbranch_execz .LBB14_643
; %bb.638:                              ;   in Loop: Header=BB14_17 Depth=1
	v_cmp_gt_i16_sdwa s[46:47], v8, v54 src0_sel:BYTE_0 src1_sel:DWORD
                                        ; implicit-def: $vgpr64
	s_and_saveexec_b64 s[48:49], s[46:47]
	s_xor_b64 s[46:47], exec, s[48:49]
	s_cbranch_execz .LBB14_640
; %bb.639:                              ;   in Loop: Header=BB14_17 Depth=1
	flat_load_dwordx2 v[14:15], v[14:15]
	s_waitcnt vmcnt(0) lgkmcnt(0)
	v_xor_b32_e32 v66, v14, v15
	v_ffbh_i32_e32 v64, v15
	v_ashrrev_i32_e32 v66, 31, v66
	v_add_u32_e32 v64, -1, v64
	v_add_u32_e32 v66, 32, v66
	v_min_u32_e32 v64, v64, v66
	v_lshlrev_b64 v[14:15], v64, v[14:15]
	v_min_u32_e32 v14, 1, v14
	v_or_b32_e32 v14, v15, v14
	v_cvt_f32_i32_e32 v14, v14
	v_sub_u32_e32 v15, 32, v64
	v_ldexp_f32 v64, v14, v15
                                        ; implicit-def: $vgpr14_vgpr15
.LBB14_640:                             ;   in Loop: Header=BB14_17 Depth=1
	s_andn2_saveexec_b64 s[46:47], s[46:47]
	s_cbranch_execz .LBB14_642
; %bb.641:                              ;   in Loop: Header=BB14_17 Depth=1
	flat_load_dword v14, v[14:15]
	s_waitcnt vmcnt(0) lgkmcnt(0)
	v_cvt_f32_i32_e32 v64, v14
.LBB14_642:                             ;   in Loop: Header=BB14_17 Depth=1
	s_or_b64 exec, exec, s[46:47]
                                        ; implicit-def: $vgpr14_vgpr15
.LBB14_643:                             ;   in Loop: Header=BB14_17 Depth=1
	s_andn2_saveexec_b64 s[44:45], s[44:45]
	s_cbranch_execz .LBB14_645
; %bb.644:                              ;   in Loop: Header=BB14_17 Depth=1
	flat_load_sshort v14, v[14:15]
	s_waitcnt vmcnt(0) lgkmcnt(0)
	v_cvt_f32_i32_e32 v64, v14
.LBB14_645:                             ;   in Loop: Header=BB14_17 Depth=1
	s_or_b64 exec, exec, s[44:45]
                                        ; implicit-def: $vgpr14_vgpr15
.LBB14_646:                             ;   in Loop: Header=BB14_17 Depth=1
	s_andn2_saveexec_b64 s[42:43], s[42:43]
	s_cbranch_execz .LBB14_652
; %bb.647:                              ;   in Loop: Header=BB14_17 Depth=1
	v_cmp_gt_i16_sdwa s[44:45], v8, v16 src0_sel:BYTE_0 src1_sel:DWORD
                                        ; implicit-def: $vgpr64
	s_and_saveexec_b64 s[46:47], s[44:45]
	s_xor_b64 s[44:45], exec, s[46:47]
	s_cbranch_execz .LBB14_649
; %bb.648:                              ;   in Loop: Header=BB14_17 Depth=1
	flat_load_sbyte v14, v[14:15]
	s_waitcnt vmcnt(0) lgkmcnt(0)
	v_cvt_f32_i32_e32 v64, v14
                                        ; implicit-def: $vgpr14_vgpr15
.LBB14_649:                             ;   in Loop: Header=BB14_17 Depth=1
	s_andn2_saveexec_b64 s[44:45], s[44:45]
	s_cbranch_execz .LBB14_651
; %bb.650:                              ;   in Loop: Header=BB14_17 Depth=1
	flat_load_ubyte v14, v[14:15]
	s_waitcnt vmcnt(0) lgkmcnt(0)
	v_cvt_f32_ubyte0_e32 v64, v14
.LBB14_651:                             ;   in Loop: Header=BB14_17 Depth=1
	s_or_b64 exec, exec, s[44:45]
.LBB14_652:                             ;   in Loop: Header=BB14_17 Depth=1
	s_or_b64 exec, exec, s[42:43]
.LBB14_653:                             ;   in Loop: Header=BB14_17 Depth=1
	s_or_b64 exec, exec, s[40:41]
	s_andn2_b64 s[36:37], s[36:37], exec
	s_andn2_b64 vcc, vcc, exec
	s_or_b64 s[38:39], s[38:39], exec
	s_or_b64 exec, exec, s[34:35]
	s_mov_b64 s[34:35], 0
	s_and_saveexec_b64 s[40:41], s[38:39]
	s_cbranch_execnz .LBB14_546
	s_branch .LBB14_547
.LBB14_654:                             ;   in Loop: Header=BB14_17 Depth=1
	v_cmp_gt_i16_sdwa s[28:29], v7, v19 src0_sel:BYTE_0 src1_sel:DWORD
	s_mov_b64 s[40:41], 0
                                        ; implicit-def: $sgpr42_sgpr43
                                        ; implicit-def: $sgpr30_sgpr31
                                        ; implicit-def: $vgpr66
	s_and_saveexec_b64 vcc, s[28:29]
	s_xor_b64 s[28:29], exec, vcc
	s_cbranch_execz .LBB14_686
; %bb.655:                              ;   in Loop: Header=BB14_17 Depth=1
	v_cmp_gt_i16_sdwa vcc, v7, v20 src0_sel:BYTE_0 src1_sel:DWORD
                                        ; implicit-def: $sgpr42_sgpr43
                                        ; implicit-def: $sgpr44_sgpr45
                                        ; implicit-def: $vgpr66
	s_and_saveexec_b64 s[30:31], vcc
	s_xor_b64 s[30:31], exec, s[30:31]
	s_cbranch_execz .LBB14_671
; %bb.656:                              ;   in Loop: Header=BB14_17 Depth=1
	v_cmp_gt_i16_sdwa s[40:41], v7, v21 src0_sel:BYTE_0 src1_sel:DWORD
	s_mov_b64 s[46:47], 0
                                        ; implicit-def: $vcc
                                        ; implicit-def: $sgpr42_sgpr43
                                        ; implicit-def: $vgpr66
	s_and_saveexec_b64 s[44:45], s[40:41]
	s_xor_b64 s[40:41], exec, s[44:45]
	s_cbranch_execz .LBB14_666
; %bb.657:                              ;   in Loop: Header=BB14_17 Depth=1
	v_cmp_gt_i16_sdwa vcc, v7, v22 src0_sel:BYTE_0 src1_sel:DWORD
	s_mov_b64 s[44:45], 0
                                        ; implicit-def: $sgpr42_sgpr43
                                        ; implicit-def: $sgpr46_sgpr47
                                        ; implicit-def: $vgpr66
	s_and_saveexec_b64 s[48:49], vcc
	s_xor_b64 vcc, exec, s[48:49]
	s_cbranch_execz .LBB14_661
; %bb.658:                              ;   in Loop: Header=BB14_17 Depth=1
	v_cmp_eq_u16_sdwa s[48:49], v7, v23 src0_sel:BYTE_0 src1_sel:DWORD
	s_mov_b64 s[42:43], 0
                                        ; implicit-def: $vgpr66
	s_and_saveexec_b64 s[46:47], s[48:49]
	s_cbranch_execz .LBB14_660
; %bb.659:                              ;   in Loop: Header=BB14_17 Depth=1
	flat_load_dword v14, v[14:15]
	s_mov_b64 s[44:45], exec
	s_waitcnt vmcnt(0) lgkmcnt(0)
	v_lshlrev_b32_e32 v66, 16, v14
.LBB14_660:                             ;   in Loop: Header=BB14_17 Depth=1
	s_or_b64 exec, exec, s[46:47]
	s_mov_b64 s[46:47], -1
	s_and_b64 s[44:45], s[44:45], exec
                                        ; implicit-def: $vgpr14_vgpr15
.LBB14_661:                             ;   in Loop: Header=BB14_17 Depth=1
	s_andn2_saveexec_b64 s[48:49], vcc
	s_cbranch_execz .LBB14_665
; %bb.662:                              ;   in Loop: Header=BB14_17 Depth=1
	v_cmp_eq_u16_sdwa s[52:53], v7, v24 src0_sel:BYTE_0 src1_sel:DWORD
	s_mov_b64 vcc, s[44:45]
                                        ; implicit-def: $vgpr66
	s_and_saveexec_b64 s[50:51], s[52:53]
	s_cbranch_execz .LBB14_664
; %bb.663:                              ;   in Loop: Header=BB14_17 Depth=1
	flat_load_ubyte v14, v[14:15]
	s_movk_i32 vcc_lo, 0xff
	s_waitcnt vmcnt(0) lgkmcnt(0)
	v_lshlrev_b32_e32 v15, 23, v14
	v_cmp_ne_u32_e32 vcc, vcc_lo, v14
	v_cndmask_b32_e32 v15, v25, v15, vcc
	v_cmp_ne_u32_e32 vcc, 0, v14
	v_cndmask_b32_e32 v66, v26, v15, vcc
	s_or_b64 vcc, s[44:45], exec
.LBB14_664:                             ;   in Loop: Header=BB14_17 Depth=1
	s_or_b64 exec, exec, s[50:51]
	s_andn2_b64 s[44:45], s[44:45], exec
	s_and_b64 vcc, vcc, exec
	s_andn2_b64 s[42:43], s[42:43], exec
	s_or_b64 s[46:47], s[46:47], exec
	s_or_b64 s[44:45], s[44:45], vcc
.LBB14_665:                             ;   in Loop: Header=BB14_17 Depth=1
	s_or_b64 exec, exec, s[48:49]
	s_and_b64 s[42:43], s[42:43], exec
	s_and_b64 vcc, s[46:47], exec
	s_and_b64 s[46:47], s[44:45], exec
                                        ; implicit-def: $vgpr14_vgpr15
.LBB14_666:                             ;   in Loop: Header=BB14_17 Depth=1
	s_andn2_saveexec_b64 s[40:41], s[40:41]
	s_cbranch_execz .LBB14_670
; %bb.667:                              ;   in Loop: Header=BB14_17 Depth=1
	v_cmp_eq_u16_sdwa s[50:51], v7, v27 src0_sel:BYTE_0 src1_sel:DWORD
	s_mov_b64 s[48:49], s[46:47]
                                        ; implicit-def: $vgpr66
	s_and_saveexec_b64 s[44:45], s[50:51]
	s_cbranch_execz .LBB14_669
; %bb.668:                              ;   in Loop: Header=BB14_17 Depth=1
	flat_load_dwordx2 v[14:15], v[14:15]
	s_or_b64 s[48:49], s[46:47], exec
	s_waitcnt vmcnt(0) lgkmcnt(0)
	v_ffbh_u32_e32 v65, v15
	v_min_u32_e32 v65, 32, v65
	v_lshlrev_b64 v[14:15], v65, v[14:15]
	v_min_u32_e32 v14, 1, v14
	v_or_b32_e32 v14, v15, v14
	v_cvt_f32_u32_e32 v14, v14
	v_sub_u32_e32 v15, 32, v65
	v_ldexp_f32 v66, v14, v15
.LBB14_669:                             ;   in Loop: Header=BB14_17 Depth=1
	s_or_b64 exec, exec, s[44:45]
	s_andn2_b64 s[44:45], s[46:47], exec
	s_and_b64 s[46:47], s[48:49], exec
	s_andn2_b64 s[42:43], s[42:43], exec
	s_or_b64 vcc, vcc, exec
	s_or_b64 s[46:47], s[44:45], s[46:47]
.LBB14_670:                             ;   in Loop: Header=BB14_17 Depth=1
	s_or_b64 exec, exec, s[40:41]
	s_and_b64 s[44:45], s[42:43], exec
	s_and_b64 s[42:43], vcc, exec
	s_and_b64 s[40:41], s[46:47], exec
                                        ; implicit-def: $vgpr14_vgpr15
.LBB14_671:                             ;   in Loop: Header=BB14_17 Depth=1
	s_andn2_saveexec_b64 s[30:31], s[30:31]
	s_cbranch_execz .LBB14_685
; %bb.672:                              ;   in Loop: Header=BB14_17 Depth=1
	v_cmp_gt_i16_sdwa vcc, v7, v28 src0_sel:BYTE_0 src1_sel:DWORD
                                        ; implicit-def: $vgpr66
	s_and_saveexec_b64 s[46:47], vcc
	s_xor_b64 vcc, exec, s[46:47]
	s_cbranch_execz .LBB14_678
; %bb.673:                              ;   in Loop: Header=BB14_17 Depth=1
	v_cmp_gt_i16_sdwa s[46:47], v7, v29 src0_sel:BYTE_0 src1_sel:DWORD
                                        ; implicit-def: $vgpr66
	s_and_saveexec_b64 s[48:49], s[46:47]
	s_xor_b64 s[46:47], exec, s[48:49]
	s_cbranch_execz .LBB14_675
; %bb.674:                              ;   in Loop: Header=BB14_17 Depth=1
	flat_load_dword v14, v[14:15]
	s_waitcnt vmcnt(0) lgkmcnt(0)
	v_cvt_f32_u32_e32 v66, v14
                                        ; implicit-def: $vgpr14_vgpr15
.LBB14_675:                             ;   in Loop: Header=BB14_17 Depth=1
	s_andn2_saveexec_b64 s[46:47], s[46:47]
	s_cbranch_execz .LBB14_677
; %bb.676:                              ;   in Loop: Header=BB14_17 Depth=1
	flat_load_ushort v14, v[14:15]
	s_waitcnt vmcnt(0) lgkmcnt(0)
	v_cvt_f32_u32_e32 v66, v14
.LBB14_677:                             ;   in Loop: Header=BB14_17 Depth=1
	s_or_b64 exec, exec, s[46:47]
                                        ; implicit-def: $vgpr14_vgpr15
.LBB14_678:                             ;   in Loop: Header=BB14_17 Depth=1
	s_andn2_saveexec_b64 s[46:47], vcc
	s_cbranch_execz .LBB14_684
; %bb.679:                              ;   in Loop: Header=BB14_17 Depth=1
	flat_load_ubyte v14, v[14:15]
	s_movk_i32 vcc_lo, 0x7f
	s_mov_b64 s[48:49], 0
                                        ; implicit-def: $sgpr54
	s_waitcnt vmcnt(0) lgkmcnt(0)
	v_cmp_lt_i16_e32 vcc, vcc_lo, v14
	s_and_saveexec_b64 s[50:51], vcc
	s_xor_b64 s[50:51], exec, s[50:51]
	s_cbranch_execnz .LBB14_1442
; %bb.680:                              ;   in Loop: Header=BB14_17 Depth=1
	s_or_saveexec_b64 s[50:51], s[50:51]
	v_mov_b32_e32 v66, s54
	s_xor_b64 exec, exec, s[50:51]
	s_cbranch_execnz .LBB14_1445
.LBB14_681:                             ;   in Loop: Header=BB14_17 Depth=1
	s_or_b64 exec, exec, s[50:51]
	s_and_saveexec_b64 s[50:51], s[48:49]
	s_cbranch_execz .LBB14_683
.LBB14_682:                             ;   in Loop: Header=BB14_17 Depth=1
	v_lshlrev_b32_e32 v15, 24, v14
	v_and_b32_e32 v14, 0xffff, v14
	v_and_b32_e32 v65, 7, v14
	v_ffbh_u32_e32 v67, v65
	v_min_u32_e32 v67, 32, v67
	v_subrev_u32_e32 v68, 28, v67
	v_bfe_u32 v66, v14, 3, 4
	v_lshlrev_b32_e32 v14, v68, v14
	v_sub_u32_e32 v67, 29, v67
	v_and_b32_e32 v14, 7, v14
	v_cmp_eq_u32_e32 vcc, 0, v66
	v_cndmask_b32_e32 v66, v66, v67, vcc
	v_cndmask_b32_e32 v14, v65, v14, vcc
	v_lshlrev_b32_e32 v14, 20, v14
	v_and_b32_e32 v15, 0x80000000, v15
	v_lshl_add_u32 v65, v66, 23, v30
	v_or3_b32 v66, v15, v65, v14
.LBB14_683:                             ;   in Loop: Header=BB14_17 Depth=1
	s_or_b64 exec, exec, s[50:51]
.LBB14_684:                             ;   in Loop: Header=BB14_17 Depth=1
	s_or_b64 exec, exec, s[46:47]
	s_andn2_b64 s[44:45], s[44:45], exec
	s_andn2_b64 s[42:43], s[42:43], exec
	s_or_b64 s[40:41], s[40:41], exec
.LBB14_685:                             ;   in Loop: Header=BB14_17 Depth=1
	s_or_b64 exec, exec, s[30:31]
	s_and_b64 s[30:31], s[44:45], exec
	s_and_b64 s[42:43], s[42:43], exec
	s_and_b64 s[40:41], s[40:41], exec
                                        ; implicit-def: $vgpr14_vgpr15
.LBB14_686:                             ;   in Loop: Header=BB14_17 Depth=1
	s_andn2_saveexec_b64 s[28:29], s[28:29]
	s_cbranch_execz .LBB14_712
; %bb.687:                              ;   in Loop: Header=BB14_17 Depth=1
	v_cmp_gt_i16_sdwa vcc, v7, v31 src0_sel:BYTE_0 src1_sel:DWORD
	s_mov_b64 s[46:47], s[40:41]
                                        ; implicit-def: $vgpr66
	s_and_saveexec_b64 s[44:45], vcc
	s_xor_b64 s[44:45], exec, s[44:45]
	s_cbranch_execz .LBB14_701
; %bb.688:                              ;   in Loop: Header=BB14_17 Depth=1
	v_cmp_gt_i16_sdwa vcc, v7, v32 src0_sel:BYTE_0 src1_sel:DWORD
                                        ; implicit-def: $vgpr66
	s_and_saveexec_b64 s[46:47], vcc
	s_xor_b64 s[46:47], exec, s[46:47]
	s_cbranch_execz .LBB14_698
; %bb.689:                              ;   in Loop: Header=BB14_17 Depth=1
	v_cmp_gt_i16_sdwa vcc, v7, v33 src0_sel:BYTE_0 src1_sel:DWORD
                                        ; implicit-def: $vgpr66
	s_and_saveexec_b64 s[48:49], vcc
	s_xor_b64 s[48:49], exec, s[48:49]
	s_cbranch_execz .LBB14_695
; %bb.690:                              ;   in Loop: Header=BB14_17 Depth=1
	flat_load_ubyte v14, v[14:15]
	s_movk_i32 vcc_lo, 0x7f
	s_mov_b64 s[50:51], 0
                                        ; implicit-def: $sgpr56
	s_waitcnt vmcnt(0) lgkmcnt(0)
	v_cmp_lt_i16_e32 vcc, vcc_lo, v14
	s_and_saveexec_b64 s[52:53], vcc
	s_xor_b64 s[52:53], exec, s[52:53]
	s_cbranch_execnz .LBB14_1661
; %bb.691:                              ;   in Loop: Header=BB14_17 Depth=1
	s_or_saveexec_b64 s[52:53], s[52:53]
	v_mov_b32_e32 v66, s56
	s_xor_b64 exec, exec, s[52:53]
	s_cbranch_execnz .LBB14_1664
.LBB14_692:                             ;   in Loop: Header=BB14_17 Depth=1
	s_or_b64 exec, exec, s[52:53]
	s_and_saveexec_b64 s[52:53], s[50:51]
	s_cbranch_execz .LBB14_694
.LBB14_693:                             ;   in Loop: Header=BB14_17 Depth=1
	v_lshlrev_b32_e32 v15, 24, v14
	v_and_b32_e32 v14, 0xffff, v14
	v_and_b32_e32 v65, 3, v14
	v_ffbh_u32_e32 v67, v65
	v_min_u32_e32 v67, 32, v67
	v_subrev_u32_e32 v68, 29, v67
	v_bfe_u32 v66, v14, 2, 5
	v_lshlrev_b32_e32 v14, v68, v14
	v_sub_u32_e32 v67, 30, v67
	v_and_b32_e32 v14, 3, v14
	v_cmp_eq_u32_e32 vcc, 0, v66
	v_cndmask_b32_e32 v66, v66, v67, vcc
	v_cndmask_b32_e32 v14, v65, v14, vcc
	v_lshlrev_b32_e32 v14, 21, v14
	v_and_b32_e32 v15, 0x80000000, v15
	v_lshl_add_u32 v65, v66, 23, v34
	v_or3_b32 v66, v15, v65, v14
.LBB14_694:                             ;   in Loop: Header=BB14_17 Depth=1
	s_or_b64 exec, exec, s[52:53]
                                        ; implicit-def: $vgpr14_vgpr15
.LBB14_695:                             ;   in Loop: Header=BB14_17 Depth=1
	s_andn2_saveexec_b64 s[48:49], s[48:49]
	s_cbranch_execz .LBB14_697
; %bb.696:                              ;   in Loop: Header=BB14_17 Depth=1
	flat_load_ubyte v14, v[14:15]
	s_mov_b32 vcc_lo, 0x7f800000
	s_waitcnt vmcnt(0) lgkmcnt(0)
	v_lshlrev_b32_e32 v14, 24, v14
	v_and_b32_e32 v15, 0x7f000000, v14
	v_ffbh_u32_e32 v65, v15
	v_min_u32_e32 v65, 32, v65
	v_sub_u32_e64 v65, v65, 4 clamp
	v_lshlrev_b32_e32 v67, v65, v15
	v_lshlrev_b32_e32 v65, 23, v65
	v_lshrrev_b32_e32 v67, 4, v67
	v_add_u32_e32 v66, 0x1000000, v15
	v_sub_u32_e32 v65, v67, v65
	v_ashrrev_i32_e32 v66, 8, v66
	v_add_u32_e32 v65, 0x3c000000, v65
	v_and_or_b32 v65, v66, vcc_lo, v65
	v_cmp_ne_u32_e32 vcc, 0, v15
	v_cndmask_b32_e32 v15, 0, v65, vcc
	s_brev_b32 vcc_lo, 1
	v_and_or_b32 v66, v14, vcc_lo, v15
.LBB14_697:                             ;   in Loop: Header=BB14_17 Depth=1
	s_or_b64 exec, exec, s[48:49]
                                        ; implicit-def: $vgpr14_vgpr15
.LBB14_698:                             ;   in Loop: Header=BB14_17 Depth=1
	s_andn2_saveexec_b64 s[46:47], s[46:47]
	s_cbranch_execz .LBB14_700
; %bb.699:                              ;   in Loop: Header=BB14_17 Depth=1
	flat_load_ubyte v14, v[14:15]
	s_movk_i32 vcc_lo, 0x7f00
	s_waitcnt vmcnt(0) lgkmcnt(0)
	v_lshlrev_b16_e32 v15, 8, v14
	v_lshlrev_b32_e32 v14, 25, v14
	v_lshrrev_b32_e32 v65, 4, v14
	v_and_or_b32 v66, v15, vcc_lo, 0.5
	v_or_b32_e32 v65, 0x70000000, v65
	s_brev_b32 vcc_lo, 16
	v_add_f32_e32 v66, -0.5, v66
	v_mul_f32_e32 v65, 0x7800000, v65
	v_cmp_gt_u32_e32 vcc, vcc_lo, v14
	v_cndmask_b32_e32 v14, v65, v66, vcc
	v_bfe_i32 v15, v15, 0, 16
	s_brev_b32 vcc_lo, 1
	v_and_or_b32 v66, v15, vcc_lo, v14
.LBB14_700:                             ;   in Loop: Header=BB14_17 Depth=1
	s_or_b64 exec, exec, s[46:47]
	s_or_b64 s[46:47], s[40:41], exec
                                        ; implicit-def: $vgpr14_vgpr15
.LBB14_701:                             ;   in Loop: Header=BB14_17 Depth=1
	s_or_saveexec_b64 s[44:45], s[44:45]
                                        ; implicit-def: $vcc
                                        ; implicit-def: $sgpr52_sgpr53
	s_xor_b64 exec, exec, s[44:45]
	s_cbranch_execz .LBB14_711
; %bb.702:                              ;   in Loop: Header=BB14_17 Depth=1
	v_cmp_gt_i16_sdwa vcc, v7, v35 src0_sel:BYTE_0 src1_sel:DWORD
	s_mov_b64 s[50:51], s[46:47]
                                        ; implicit-def: $sgpr52_sgpr53
                                        ; implicit-def: $sgpr48_sgpr49
                                        ; implicit-def: $vgpr66
	s_and_saveexec_b64 s[54:55], vcc
	s_xor_b64 vcc, exec, s[54:55]
	s_cbranch_execz .LBB14_706
; %bb.703:                              ;   in Loop: Header=BB14_17 Depth=1
	v_cmp_eq_u16_sdwa s[52:53], v7, v36 src0_sel:BYTE_0 src1_sel:DWORD
	s_mov_b64 s[50:51], s[46:47]
                                        ; implicit-def: $vgpr66
	s_and_saveexec_b64 s[48:49], s[52:53]
	s_cbranch_execz .LBB14_705
; %bb.704:                              ;   in Loop: Header=BB14_17 Depth=1
	flat_load_ushort v14, v[14:15]
	s_or_b64 s[50:51], s[46:47], exec
	s_waitcnt vmcnt(0) lgkmcnt(0)
	v_lshlrev_b32_e32 v66, 16, v14
.LBB14_705:                             ;   in Loop: Header=BB14_17 Depth=1
	s_or_b64 exec, exec, s[48:49]
	s_andn2_b64 s[54:55], s[46:47], exec
	s_and_b64 s[50:51], s[50:51], exec
	s_mov_b64 s[48:49], -1
	s_mov_b64 s[52:53], 0
	s_or_b64 s[50:51], s[54:55], s[50:51]
                                        ; implicit-def: $vgpr14_vgpr15
.LBB14_706:                             ;   in Loop: Header=BB14_17 Depth=1
	s_andn2_saveexec_b64 s[54:55], vcc
	s_cbranch_execz .LBB14_710
; %bb.707:                              ;   in Loop: Header=BB14_17 Depth=1
	v_cmp_eq_u16_sdwa s[58:59], v7, v37 src0_sel:BYTE_0 src1_sel:DWORD
	s_mov_b64 vcc, s[50:51]
                                        ; implicit-def: $vgpr66
	s_and_saveexec_b64 s[56:57], s[58:59]
	s_cbranch_execz .LBB14_709
; %bb.708:                              ;   in Loop: Header=BB14_17 Depth=1
	flat_load_ubyte v14, v[14:15]
	s_waitcnt vmcnt(0) lgkmcnt(0)
	v_cmp_ne_u16_e32 vcc, 0, v14
	v_cndmask_b32_e64 v66, 0, 1.0, vcc
	s_or_b64 vcc, s[50:51], exec
.LBB14_709:                             ;   in Loop: Header=BB14_17 Depth=1
	s_or_b64 exec, exec, s[56:57]
	s_andn2_b64 s[50:51], s[50:51], exec
	s_and_b64 vcc, vcc, exec
	s_andn2_b64 s[52:53], s[52:53], exec
	s_or_b64 s[48:49], s[48:49], exec
	s_or_b64 s[50:51], s[50:51], vcc
.LBB14_710:                             ;   in Loop: Header=BB14_17 Depth=1
	s_or_b64 exec, exec, s[54:55]
	s_and_b64 vcc, s[48:49], exec
	s_andn2_b64 s[46:47], s[46:47], exec
	s_and_b64 s[48:49], s[50:51], exec
	s_and_b64 s[52:53], s[52:53], exec
	s_or_b64 s[46:47], s[46:47], s[48:49]
.LBB14_711:                             ;   in Loop: Header=BB14_17 Depth=1
	s_or_b64 exec, exec, s[44:45]
	s_andn2_b64 s[42:43], s[42:43], exec
	s_and_b64 vcc, vcc, exec
	s_andn2_b64 s[30:31], s[30:31], exec
	s_and_b64 s[44:45], s[52:53], exec
	s_or_b64 s[42:43], s[42:43], vcc
	s_andn2_b64 vcc, s[40:41], exec
	s_and_b64 s[40:41], s[46:47], exec
	s_or_b64 s[30:31], s[30:31], s[44:45]
	s_or_b64 s[40:41], vcc, s[40:41]
.LBB14_712:                             ;   in Loop: Header=BB14_17 Depth=1
	s_or_b64 exec, exec, s[28:29]
	s_and_b64 s[30:31], s[30:31], exec
	s_and_b64 s[28:29], s[42:43], exec
	s_and_b64 vcc, s[40:41], exec
                                        ; implicit-def: $vgpr14_vgpr15
	s_andn2_saveexec_b64 s[38:39], s[38:39]
	s_cbranch_execz .LBB14_553
.LBB14_713:                             ;   in Loop: Header=BB14_17 Depth=1
	v_cmp_gt_i16_sdwa s[40:41], v7, v38 src0_sel:BYTE_0 src1_sel:DWORD
                                        ; implicit-def: $vgpr66
	s_and_saveexec_b64 s[42:43], s[40:41]
	s_xor_b64 s[40:41], exec, s[42:43]
	s_cbranch_execz .LBB14_735
; %bb.714:                              ;   in Loop: Header=BB14_17 Depth=1
	v_cmp_gt_i16_sdwa s[42:43], v7, v39 src0_sel:BYTE_0 src1_sel:DWORD
                                        ; implicit-def: $vgpr66
	s_and_saveexec_b64 s[44:45], s[42:43]
	s_xor_b64 s[42:43], exec, s[44:45]
	s_cbranch_execz .LBB14_724
; %bb.715:                              ;   in Loop: Header=BB14_17 Depth=1
	;; [unrolled: 6-line block ×4, first 2 shown]
	flat_load_dwordx2 v[14:15], v[14:15]
	s_waitcnt vmcnt(0) lgkmcnt(0)
	v_cvt_f32_f64_e32 v66, v[14:15]
                                        ; implicit-def: $vgpr14_vgpr15
.LBB14_718:                             ;   in Loop: Header=BB14_17 Depth=1
	s_andn2_saveexec_b64 s[46:47], s[46:47]
	s_cbranch_execz .LBB14_720
; %bb.719:                              ;   in Loop: Header=BB14_17 Depth=1
	flat_load_dword v66, v[14:15]
.LBB14_720:                             ;   in Loop: Header=BB14_17 Depth=1
	s_or_b64 exec, exec, s[46:47]
                                        ; implicit-def: $vgpr14_vgpr15
.LBB14_721:                             ;   in Loop: Header=BB14_17 Depth=1
	s_andn2_saveexec_b64 s[44:45], s[44:45]
	s_cbranch_execz .LBB14_723
; %bb.722:                              ;   in Loop: Header=BB14_17 Depth=1
	flat_load_dword v14, v[14:15]
	s_waitcnt vmcnt(0) lgkmcnt(0)
	v_cvt_f32_f16_e32 v66, v14
.LBB14_723:                             ;   in Loop: Header=BB14_17 Depth=1
	s_or_b64 exec, exec, s[44:45]
                                        ; implicit-def: $vgpr14_vgpr15
.LBB14_724:                             ;   in Loop: Header=BB14_17 Depth=1
	s_andn2_saveexec_b64 s[42:43], s[42:43]
	s_cbranch_execz .LBB14_734
; %bb.725:                              ;   in Loop: Header=BB14_17 Depth=1
	v_cmp_gt_i16_sdwa s[44:45], v7, v50 src0_sel:BYTE_0 src1_sel:DWORD
                                        ; implicit-def: $vgpr66
	s_and_saveexec_b64 s[46:47], s[44:45]
	s_xor_b64 s[44:45], exec, s[46:47]
	s_cbranch_execz .LBB14_731
; %bb.726:                              ;   in Loop: Header=BB14_17 Depth=1
	v_cmp_gt_i16_sdwa s[46:47], v7, v51 src0_sel:BYTE_0 src1_sel:DWORD
                                        ; implicit-def: $vgpr66
	s_and_saveexec_b64 s[48:49], s[46:47]
	s_xor_b64 s[46:47], exec, s[48:49]
	s_cbranch_execz .LBB14_728
; %bb.727:                              ;   in Loop: Header=BB14_17 Depth=1
	flat_load_dwordx2 v[14:15], v[14:15]
	s_waitcnt vmcnt(0) lgkmcnt(0)
	v_cvt_f32_f64_e32 v66, v[14:15]
                                        ; implicit-def: $vgpr14_vgpr15
.LBB14_728:                             ;   in Loop: Header=BB14_17 Depth=1
	s_andn2_saveexec_b64 s[46:47], s[46:47]
	s_cbranch_execz .LBB14_730
; %bb.729:                              ;   in Loop: Header=BB14_17 Depth=1
	s_waitcnt vmcnt(0) lgkmcnt(0)
	flat_load_dword v66, v[14:15]
.LBB14_730:                             ;   in Loop: Header=BB14_17 Depth=1
	s_or_b64 exec, exec, s[46:47]
                                        ; implicit-def: $vgpr14_vgpr15
.LBB14_731:                             ;   in Loop: Header=BB14_17 Depth=1
	s_andn2_saveexec_b64 s[44:45], s[44:45]
	s_cbranch_execz .LBB14_733
; %bb.732:                              ;   in Loop: Header=BB14_17 Depth=1
	flat_load_ushort v14, v[14:15]
	s_waitcnt vmcnt(0) lgkmcnt(0)
	v_cvt_f32_f16_e32 v66, v14
.LBB14_733:                             ;   in Loop: Header=BB14_17 Depth=1
	s_or_b64 exec, exec, s[44:45]
.LBB14_734:                             ;   in Loop: Header=BB14_17 Depth=1
	s_or_b64 exec, exec, s[42:43]
                                        ; implicit-def: $vgpr14_vgpr15
.LBB14_735:                             ;   in Loop: Header=BB14_17 Depth=1
	s_andn2_saveexec_b64 s[40:41], s[40:41]
	s_cbranch_execz .LBB14_753
; %bb.736:                              ;   in Loop: Header=BB14_17 Depth=1
	v_cmp_gt_i16_sdwa s[42:43], v7, v52 src0_sel:BYTE_0 src1_sel:DWORD
                                        ; implicit-def: $vgpr66
	s_and_saveexec_b64 s[44:45], s[42:43]
	s_xor_b64 s[42:43], exec, s[44:45]
	s_cbranch_execz .LBB14_746
; %bb.737:                              ;   in Loop: Header=BB14_17 Depth=1
	v_cmp_gt_i16_sdwa s[44:45], v7, v53 src0_sel:BYTE_0 src1_sel:DWORD
                                        ; implicit-def: $vgpr66
	s_and_saveexec_b64 s[46:47], s[44:45]
	s_xor_b64 s[44:45], exec, s[46:47]
	;; [unrolled: 6-line block ×3, first 2 shown]
	s_cbranch_execz .LBB14_740
; %bb.739:                              ;   in Loop: Header=BB14_17 Depth=1
	flat_load_dwordx2 v[14:15], v[14:15]
	s_waitcnt vmcnt(0) lgkmcnt(0)
	v_xor_b32_e32 v66, v14, v15
	v_ffbh_i32_e32 v65, v15
	v_ashrrev_i32_e32 v66, 31, v66
	v_add_u32_e32 v65, -1, v65
	v_add_u32_e32 v66, 32, v66
	v_min_u32_e32 v65, v65, v66
	v_lshlrev_b64 v[14:15], v65, v[14:15]
	v_min_u32_e32 v14, 1, v14
	v_or_b32_e32 v14, v15, v14
	v_cvt_f32_i32_e32 v14, v14
	v_sub_u32_e32 v15, 32, v65
	v_ldexp_f32 v66, v14, v15
                                        ; implicit-def: $vgpr14_vgpr15
.LBB14_740:                             ;   in Loop: Header=BB14_17 Depth=1
	s_andn2_saveexec_b64 s[46:47], s[46:47]
	s_cbranch_execz .LBB14_742
; %bb.741:                              ;   in Loop: Header=BB14_17 Depth=1
	flat_load_dword v14, v[14:15]
	s_waitcnt vmcnt(0) lgkmcnt(0)
	v_cvt_f32_i32_e32 v66, v14
.LBB14_742:                             ;   in Loop: Header=BB14_17 Depth=1
	s_or_b64 exec, exec, s[46:47]
                                        ; implicit-def: $vgpr14_vgpr15
.LBB14_743:                             ;   in Loop: Header=BB14_17 Depth=1
	s_andn2_saveexec_b64 s[44:45], s[44:45]
	s_cbranch_execz .LBB14_745
; %bb.744:                              ;   in Loop: Header=BB14_17 Depth=1
	flat_load_sshort v14, v[14:15]
	s_waitcnt vmcnt(0) lgkmcnt(0)
	v_cvt_f32_i32_e32 v66, v14
.LBB14_745:                             ;   in Loop: Header=BB14_17 Depth=1
	s_or_b64 exec, exec, s[44:45]
                                        ; implicit-def: $vgpr14_vgpr15
.LBB14_746:                             ;   in Loop: Header=BB14_17 Depth=1
	s_andn2_saveexec_b64 s[42:43], s[42:43]
	s_cbranch_execz .LBB14_752
; %bb.747:                              ;   in Loop: Header=BB14_17 Depth=1
	v_cmp_gt_i16_sdwa s[44:45], v7, v16 src0_sel:BYTE_0 src1_sel:DWORD
                                        ; implicit-def: $vgpr66
	s_and_saveexec_b64 s[46:47], s[44:45]
	s_xor_b64 s[44:45], exec, s[46:47]
	s_cbranch_execz .LBB14_749
; %bb.748:                              ;   in Loop: Header=BB14_17 Depth=1
	flat_load_sbyte v14, v[14:15]
	s_waitcnt vmcnt(0) lgkmcnt(0)
	v_cvt_f32_i32_e32 v66, v14
                                        ; implicit-def: $vgpr14_vgpr15
.LBB14_749:                             ;   in Loop: Header=BB14_17 Depth=1
	s_andn2_saveexec_b64 s[44:45], s[44:45]
	s_cbranch_execz .LBB14_751
; %bb.750:                              ;   in Loop: Header=BB14_17 Depth=1
	flat_load_ubyte v14, v[14:15]
	s_waitcnt vmcnt(0) lgkmcnt(0)
	v_cvt_f32_ubyte0_e32 v66, v14
.LBB14_751:                             ;   in Loop: Header=BB14_17 Depth=1
	s_or_b64 exec, exec, s[44:45]
.LBB14_752:                             ;   in Loop: Header=BB14_17 Depth=1
	s_or_b64 exec, exec, s[42:43]
.LBB14_753:                             ;   in Loop: Header=BB14_17 Depth=1
	s_or_b64 exec, exec, s[40:41]
	s_andn2_b64 s[30:31], s[30:31], exec
	s_andn2_b64 s[28:29], s[28:29], exec
	s_or_b64 vcc, vcc, exec
	s_or_b64 exec, exec, s[38:39]
	s_mov_b64 s[40:41], 0
	s_and_saveexec_b64 s[38:39], vcc
	s_cbranch_execz .LBB14_759
.LBB14_754:                             ;   in Loop: Header=BB14_17 Depth=1
	v_mul_lo_u32 v14, v64, v10
	v_readlane_b32 s40, v44, 0
	v_add_co_u32_e32 v14, vcc, v4, v14
	v_add_u32_e32 v65, s40, v17
	v_addc_co_u32_e32 v15, vcc, 0, v5, vcc
	v_cmp_gt_i16_sdwa s[40:41], v8, v18 src0_sel:BYTE_0 src1_sel:DWORD
	s_mov_b64 s[44:45], 0
	s_waitcnt vmcnt(0) lgkmcnt(0)
	buffer_store_dword v66, v65, s[0:3], 0 offen offset:28
                                        ; implicit-def: $vcc
                                        ; implicit-def: $sgpr42_sgpr43
                                        ; implicit-def: $vgpr64
	s_and_saveexec_b64 s[46:47], s[40:41]
	s_xor_b64 s[40:41], exec, s[46:47]
	s_cbranch_execnz .LBB14_769
; %bb.755:                              ;   in Loop: Header=BB14_17 Depth=1
	s_andn2_saveexec_b64 s[40:41], s[40:41]
	s_cbranch_execnz .LBB14_828
.LBB14_756:                             ;   in Loop: Header=BB14_17 Depth=1
	s_or_b64 exec, exec, s[40:41]
	s_mov_b64 s[40:41], 0
	s_and_saveexec_b64 s[46:47], s[44:45]
	s_cbranch_execz .LBB14_758
.LBB14_757:                             ;   in Loop: Header=BB14_17 Depth=1
	s_mov_b64 s[40:41], exec
	v_add_u32_e32 v55, 0x200, v55
	s_andn2_b64 s[42:43], s[42:43], exec
	s_andn2_b64 vcc, vcc, exec
	s_waitcnt vmcnt(0) lgkmcnt(0)
	buffer_store_dword v64, v65, s[0:3], 0 offen offset:24
.LBB14_758:                             ;   in Loop: Header=BB14_17 Depth=1
	s_or_b64 exec, exec, s[46:47]
	s_andn2_b64 s[30:31], s[30:31], exec
	s_and_b64 s[42:43], s[42:43], exec
	s_andn2_b64 s[28:29], s[28:29], exec
	s_and_b64 vcc, vcc, exec
	s_or_b64 s[30:31], s[30:31], s[42:43]
	s_or_b64 s[28:29], s[28:29], vcc
	s_and_b64 s[40:41], s[40:41], exec
.LBB14_759:                             ;   in Loop: Header=BB14_17 Depth=1
	s_or_b64 exec, exec, s[38:39]
	s_and_b64 s[30:31], s[30:31], exec
	s_and_b64 s[28:29], s[28:29], exec
	s_orn2_b64 s[38:39], s[40:41], exec
.LBB14_760:                             ;   in Loop: Header=BB14_17 Depth=1
	s_or_b64 exec, exec, s[34:35]
	s_and_saveexec_b64 s[34:35], s[38:39]
	s_cbranch_execz .LBB14_13
; %bb.761:                              ;   in Loop: Header=BB14_17 Depth=1
	v_cmp_lt_i32_e32 vcc, v55, v6
	s_mov_b64 s[42:43], -1
	s_mov_b64 s[44:45], -1
                                        ; implicit-def: $sgpr36_sgpr37
                                        ; implicit-def: $sgpr38_sgpr39
	s_and_saveexec_b64 s[40:41], vcc
	s_cbranch_execz .LBB14_975
; %bb.762:                              ;   in Loop: Header=BB14_17 Depth=1
	v_readlane_b32 vcc_lo, v44, 1
	s_waitcnt vmcnt(0) lgkmcnt(0)
	v_add_u32_e32 v64, vcc_lo, v55
	v_mul_lo_u32 v14, v64, v9
	v_add_co_u32_e32 v14, vcc, v2, v14
	v_addc_co_u32_e32 v15, vcc, 0, v3, vcc
	v_cmp_gt_i16_sdwa s[44:45], v7, v18 src0_sel:BYTE_0 src1_sel:DWORD
	s_mov_b64 vcc, 0
                                        ; implicit-def: $sgpr36_sgpr37
                                        ; implicit-def: $sgpr38_sgpr39
                                        ; implicit-def: $vgpr66
	s_and_saveexec_b64 s[46:47], s[44:45]
	s_xor_b64 s[44:45], exec, s[46:47]
	s_cbranch_execnz .LBB14_869
; %bb.763:                              ;   in Loop: Header=BB14_17 Depth=1
	s_andn2_saveexec_b64 s[44:45], s[44:45]
	s_cbranch_execnz .LBB14_928
.LBB14_764:                             ;   in Loop: Header=BB14_17 Depth=1
	s_or_b64 exec, exec, s[44:45]
	s_mov_b64 s[46:47], 0
	s_and_saveexec_b64 s[44:45], vcc
	s_cbranch_execnz .LBB14_969
	s_branch .LBB14_974
.LBB14_765:                             ;   in Loop: Header=BB14_17 Depth=1
	s_movk_i32 vcc_lo, 0x80
	v_cmp_eq_u16_e32 vcc, vcc_lo, v14
	s_mov_b64 s[34:35], -1
                                        ; implicit-def: $sgpr40
	s_and_saveexec_b64 s[38:39], vcc
; %bb.766:                              ;   in Loop: Header=BB14_17 Depth=1
	s_mov_b32 s40, 0x7f800001
	s_xor_b64 s[34:35], exec, -1
; %bb.767:                              ;   in Loop: Header=BB14_17 Depth=1
	s_or_b64 exec, exec, s[38:39]
	s_and_b64 s[34:35], s[34:35], exec
	s_or_saveexec_b64 s[36:37], s[36:37]
	v_mov_b32_e32 v66, s40
	s_xor_b64 exec, exec, s[36:37]
	s_cbranch_execz .LBB14_48
.LBB14_768:                             ;   in Loop: Header=BB14_17 Depth=1
	v_cmp_ne_u16_e32 vcc, 0, v14
	s_andn2_b64 s[34:35], s[34:35], exec
	s_and_b64 vcc, vcc, exec
	v_mov_b32_e32 v66, 0
	s_or_b64 s[34:35], s[34:35], vcc
	s_or_b64 exec, exec, s[36:37]
	s_and_saveexec_b64 s[36:37], s[34:35]
	s_cbranch_execnz .LBB14_49
	s_branch .LBB14_50
.LBB14_769:                             ;   in Loop: Header=BB14_17 Depth=1
	v_cmp_gt_i16_sdwa vcc, v8, v19 src0_sel:BYTE_0 src1_sel:DWORD
                                        ; implicit-def: $sgpr46_sgpr47
                                        ; implicit-def: $sgpr48_sgpr49
                                        ; implicit-def: $vgpr64
	s_and_saveexec_b64 s[42:43], vcc
	s_xor_b64 s[42:43], exec, s[42:43]
	s_cbranch_execz .LBB14_801
; %bb.770:                              ;   in Loop: Header=BB14_17 Depth=1
	v_cmp_gt_i16_sdwa vcc, v8, v20 src0_sel:BYTE_0 src1_sel:DWORD
                                        ; implicit-def: $sgpr46_sgpr47
                                        ; implicit-def: $sgpr50_sgpr51
                                        ; implicit-def: $vgpr64
	s_and_saveexec_b64 s[48:49], vcc
	s_xor_b64 s[48:49], exec, s[48:49]
	s_cbranch_execz .LBB14_786
; %bb.771:                              ;   in Loop: Header=BB14_17 Depth=1
	v_cmp_gt_i16_sdwa s[44:45], v8, v21 src0_sel:BYTE_0 src1_sel:DWORD
	s_mov_b64 s[52:53], 0
                                        ; implicit-def: $vcc
                                        ; implicit-def: $sgpr50_sgpr51
                                        ; implicit-def: $vgpr64
	s_and_saveexec_b64 s[46:47], s[44:45]
	s_xor_b64 s[44:45], exec, s[46:47]
	s_cbranch_execz .LBB14_781
; %bb.772:                              ;   in Loop: Header=BB14_17 Depth=1
	v_cmp_gt_i16_sdwa vcc, v8, v22 src0_sel:BYTE_0 src1_sel:DWORD
                                        ; implicit-def: $sgpr50_sgpr51
                                        ; implicit-def: $sgpr46_sgpr47
                                        ; implicit-def: $vgpr64
	s_and_saveexec_b64 s[54:55], vcc
	s_xor_b64 vcc, exec, s[54:55]
	s_cbranch_execz .LBB14_776
; %bb.773:                              ;   in Loop: Header=BB14_17 Depth=1
	v_cmp_eq_u16_sdwa s[54:55], v8, v23 src0_sel:BYTE_0 src1_sel:DWORD
	s_mov_b64 s[46:47], 0
                                        ; implicit-def: $vgpr64
	s_and_saveexec_b64 s[50:51], s[54:55]
	s_cbranch_execz .LBB14_775
; %bb.774:                              ;   in Loop: Header=BB14_17 Depth=1
	flat_load_dword v14, v[14:15]
	s_mov_b64 s[52:53], exec
	s_waitcnt vmcnt(0) lgkmcnt(0)
	v_lshlrev_b32_e32 v64, 16, v14
.LBB14_775:                             ;   in Loop: Header=BB14_17 Depth=1
	s_or_b64 exec, exec, s[50:51]
	s_mov_b64 s[50:51], -1
	s_and_b64 s[52:53], s[52:53], exec
                                        ; implicit-def: $vgpr14_vgpr15
.LBB14_776:                             ;   in Loop: Header=BB14_17 Depth=1
	s_andn2_saveexec_b64 s[54:55], vcc
	s_cbranch_execz .LBB14_780
; %bb.777:                              ;   in Loop: Header=BB14_17 Depth=1
	v_cmp_eq_u16_sdwa s[58:59], v8, v24 src0_sel:BYTE_0 src1_sel:DWORD
	s_mov_b64 vcc, s[52:53]
                                        ; implicit-def: $vgpr64
	s_and_saveexec_b64 s[56:57], s[58:59]
	s_cbranch_execz .LBB14_779
; %bb.778:                              ;   in Loop: Header=BB14_17 Depth=1
	flat_load_ubyte v14, v[14:15]
	s_movk_i32 vcc_lo, 0xff
	s_waitcnt vmcnt(0) lgkmcnt(0)
	v_lshlrev_b32_e32 v15, 23, v14
	v_cmp_ne_u32_e32 vcc, vcc_lo, v14
	v_cndmask_b32_e32 v15, v25, v15, vcc
	v_cmp_ne_u32_e32 vcc, 0, v14
	v_cndmask_b32_e32 v64, v26, v15, vcc
	s_or_b64 vcc, s[52:53], exec
.LBB14_779:                             ;   in Loop: Header=BB14_17 Depth=1
	s_or_b64 exec, exec, s[56:57]
	s_andn2_b64 s[52:53], s[52:53], exec
	s_and_b64 vcc, vcc, exec
	s_or_b64 s[50:51], s[50:51], exec
	s_andn2_b64 s[46:47], s[46:47], exec
	s_or_b64 s[52:53], s[52:53], vcc
.LBB14_780:                             ;   in Loop: Header=BB14_17 Depth=1
	s_or_b64 exec, exec, s[54:55]
	s_and_b64 s[50:51], s[50:51], exec
	s_and_b64 vcc, s[46:47], exec
	s_and_b64 s[52:53], s[52:53], exec
                                        ; implicit-def: $vgpr14_vgpr15
.LBB14_781:                             ;   in Loop: Header=BB14_17 Depth=1
	s_andn2_saveexec_b64 s[44:45], s[44:45]
	s_cbranch_execz .LBB14_785
; %bb.782:                              ;   in Loop: Header=BB14_17 Depth=1
	v_cmp_eq_u16_sdwa s[56:57], v8, v27 src0_sel:BYTE_0 src1_sel:DWORD
	s_mov_b64 s[54:55], s[52:53]
                                        ; implicit-def: $vgpr64
	s_and_saveexec_b64 s[46:47], s[56:57]
	s_cbranch_execz .LBB14_784
; %bb.783:                              ;   in Loop: Header=BB14_17 Depth=1
	flat_load_dwordx2 v[14:15], v[14:15]
	s_or_b64 s[54:55], s[52:53], exec
	s_waitcnt vmcnt(0) lgkmcnt(0)
	v_ffbh_u32_e32 v64, v15
	v_min_u32_e32 v64, 32, v64
	v_lshlrev_b64 v[14:15], v64, v[14:15]
	v_min_u32_e32 v14, 1, v14
	v_or_b32_e32 v14, v15, v14
	v_cvt_f32_u32_e32 v14, v14
	v_sub_u32_e32 v15, 32, v64
	v_ldexp_f32 v64, v14, v15
.LBB14_784:                             ;   in Loop: Header=BB14_17 Depth=1
	s_or_b64 exec, exec, s[46:47]
	s_andn2_b64 s[46:47], s[52:53], exec
	s_and_b64 s[52:53], s[54:55], exec
	s_or_b64 s[50:51], s[50:51], exec
	s_andn2_b64 vcc, vcc, exec
	s_or_b64 s[52:53], s[46:47], s[52:53]
.LBB14_785:                             ;   in Loop: Header=BB14_17 Depth=1
	s_or_b64 exec, exec, s[44:45]
	s_and_b64 s[50:51], s[50:51], exec
	s_and_b64 s[46:47], vcc, exec
	s_and_b64 s[44:45], s[52:53], exec
                                        ; implicit-def: $vgpr14_vgpr15
.LBB14_786:                             ;   in Loop: Header=BB14_17 Depth=1
	s_andn2_saveexec_b64 s[48:49], s[48:49]
	s_cbranch_execz .LBB14_800
; %bb.787:                              ;   in Loop: Header=BB14_17 Depth=1
	v_cmp_gt_i16_sdwa vcc, v8, v28 src0_sel:BYTE_0 src1_sel:DWORD
                                        ; implicit-def: $vgpr64
	s_and_saveexec_b64 s[52:53], vcc
	s_xor_b64 vcc, exec, s[52:53]
	s_cbranch_execz .LBB14_793
; %bb.788:                              ;   in Loop: Header=BB14_17 Depth=1
	v_cmp_gt_i16_sdwa s[52:53], v8, v29 src0_sel:BYTE_0 src1_sel:DWORD
                                        ; implicit-def: $vgpr64
	s_and_saveexec_b64 s[54:55], s[52:53]
	s_xor_b64 s[52:53], exec, s[54:55]
	s_cbranch_execz .LBB14_790
; %bb.789:                              ;   in Loop: Header=BB14_17 Depth=1
	flat_load_dword v14, v[14:15]
	s_waitcnt vmcnt(0) lgkmcnt(0)
	v_cvt_f32_u32_e32 v64, v14
                                        ; implicit-def: $vgpr14_vgpr15
.LBB14_790:                             ;   in Loop: Header=BB14_17 Depth=1
	s_andn2_saveexec_b64 s[52:53], s[52:53]
	s_cbranch_execz .LBB14_792
; %bb.791:                              ;   in Loop: Header=BB14_17 Depth=1
	flat_load_ushort v14, v[14:15]
	s_waitcnt vmcnt(0) lgkmcnt(0)
	v_cvt_f32_u32_e32 v64, v14
.LBB14_792:                             ;   in Loop: Header=BB14_17 Depth=1
	s_or_b64 exec, exec, s[52:53]
                                        ; implicit-def: $vgpr14_vgpr15
.LBB14_793:                             ;   in Loop: Header=BB14_17 Depth=1
	s_andn2_saveexec_b64 s[52:53], vcc
	s_cbranch_execz .LBB14_799
; %bb.794:                              ;   in Loop: Header=BB14_17 Depth=1
	flat_load_ubyte v14, v[14:15]
	s_movk_i32 vcc_lo, 0x7f
	s_mov_b64 s[54:55], 0
                                        ; implicit-def: $sgpr60
	s_waitcnt vmcnt(0) lgkmcnt(0)
	v_cmp_lt_i16_e32 vcc, vcc_lo, v14
	s_and_saveexec_b64 s[56:57], vcc
	s_xor_b64 s[56:57], exec, s[56:57]
	s_cbranch_execnz .LBB14_1665
; %bb.795:                              ;   in Loop: Header=BB14_17 Depth=1
	s_or_saveexec_b64 s[56:57], s[56:57]
	v_mov_b32_e32 v64, s60
	s_xor_b64 exec, exec, s[56:57]
	s_cbranch_execnz .LBB14_1668
.LBB14_796:                             ;   in Loop: Header=BB14_17 Depth=1
	s_or_b64 exec, exec, s[56:57]
	s_and_saveexec_b64 s[56:57], s[54:55]
	s_cbranch_execz .LBB14_798
.LBB14_797:                             ;   in Loop: Header=BB14_17 Depth=1
	v_lshlrev_b32_e32 v15, 24, v14
	v_and_b32_e32 v14, 0xffff, v14
	v_and_b32_e32 v64, 7, v14
	v_ffbh_u32_e32 v67, v64
	v_min_u32_e32 v67, 32, v67
	v_subrev_u32_e32 v68, 28, v67
	v_bfe_u32 v66, v14, 3, 4
	v_lshlrev_b32_e32 v14, v68, v14
	v_sub_u32_e32 v67, 29, v67
	v_and_b32_e32 v14, 7, v14
	v_cmp_eq_u32_e32 vcc, 0, v66
	v_cndmask_b32_e32 v66, v66, v67, vcc
	v_cndmask_b32_e32 v14, v64, v14, vcc
	v_lshlrev_b32_e32 v14, 20, v14
	v_and_b32_e32 v15, 0x80000000, v15
	v_lshl_add_u32 v64, v66, 23, v30
	v_or3_b32 v64, v15, v64, v14
.LBB14_798:                             ;   in Loop: Header=BB14_17 Depth=1
	s_or_b64 exec, exec, s[56:57]
.LBB14_799:                             ;   in Loop: Header=BB14_17 Depth=1
	s_or_b64 exec, exec, s[52:53]
	s_andn2_b64 s[50:51], s[50:51], exec
	s_andn2_b64 s[46:47], s[46:47], exec
	s_or_b64 s[44:45], s[44:45], exec
.LBB14_800:                             ;   in Loop: Header=BB14_17 Depth=1
	s_or_b64 exec, exec, s[48:49]
	s_and_b64 s[48:49], s[50:51], exec
	s_and_b64 s[46:47], s[46:47], exec
	;; [unrolled: 1-line block ×3, first 2 shown]
                                        ; implicit-def: $vgpr14_vgpr15
.LBB14_801:                             ;   in Loop: Header=BB14_17 Depth=1
	s_andn2_saveexec_b64 s[42:43], s[42:43]
	s_cbranch_execz .LBB14_827
; %bb.802:                              ;   in Loop: Header=BB14_17 Depth=1
	v_cmp_gt_i16_sdwa vcc, v8, v31 src0_sel:BYTE_0 src1_sel:DWORD
	s_mov_b64 s[52:53], s[44:45]
                                        ; implicit-def: $vgpr64
	s_and_saveexec_b64 s[50:51], vcc
	s_xor_b64 s[50:51], exec, s[50:51]
	s_cbranch_execz .LBB14_816
; %bb.803:                              ;   in Loop: Header=BB14_17 Depth=1
	v_cmp_gt_i16_sdwa vcc, v8, v32 src0_sel:BYTE_0 src1_sel:DWORD
                                        ; implicit-def: $vgpr64
	s_and_saveexec_b64 s[52:53], vcc
	s_xor_b64 s[52:53], exec, s[52:53]
	s_cbranch_execz .LBB14_813
; %bb.804:                              ;   in Loop: Header=BB14_17 Depth=1
	v_cmp_gt_i16_sdwa vcc, v8, v33 src0_sel:BYTE_0 src1_sel:DWORD
                                        ; implicit-def: $vgpr64
	s_and_saveexec_b64 s[54:55], vcc
	s_xor_b64 s[54:55], exec, s[54:55]
	s_cbranch_execz .LBB14_810
; %bb.805:                              ;   in Loop: Header=BB14_17 Depth=1
	flat_load_ubyte v14, v[14:15]
	s_movk_i32 vcc_lo, 0x7f
	s_mov_b64 s[56:57], 0
                                        ; implicit-def: $sgpr62
	s_waitcnt vmcnt(0) lgkmcnt(0)
	v_cmp_lt_i16_e32 vcc, vcc_lo, v14
	s_and_saveexec_b64 s[58:59], vcc
	s_xor_b64 s[58:59], exec, s[58:59]
	s_cbranch_execnz .LBB14_1884
; %bb.806:                              ;   in Loop: Header=BB14_17 Depth=1
	s_or_saveexec_b64 s[58:59], s[58:59]
	v_mov_b32_e32 v64, s62
	s_xor_b64 exec, exec, s[58:59]
	s_cbranch_execnz .LBB14_1887
.LBB14_807:                             ;   in Loop: Header=BB14_17 Depth=1
	s_or_b64 exec, exec, s[58:59]
	s_and_saveexec_b64 s[58:59], s[56:57]
	s_cbranch_execz .LBB14_809
.LBB14_808:                             ;   in Loop: Header=BB14_17 Depth=1
	v_lshlrev_b32_e32 v15, 24, v14
	v_and_b32_e32 v14, 0xffff, v14
	v_and_b32_e32 v64, 3, v14
	v_ffbh_u32_e32 v67, v64
	v_min_u32_e32 v67, 32, v67
	v_subrev_u32_e32 v68, 29, v67
	v_bfe_u32 v66, v14, 2, 5
	v_lshlrev_b32_e32 v14, v68, v14
	v_sub_u32_e32 v67, 30, v67
	v_and_b32_e32 v14, 3, v14
	v_cmp_eq_u32_e32 vcc, 0, v66
	v_cndmask_b32_e32 v66, v66, v67, vcc
	v_cndmask_b32_e32 v14, v64, v14, vcc
	v_lshlrev_b32_e32 v14, 21, v14
	v_and_b32_e32 v15, 0x80000000, v15
	v_lshl_add_u32 v64, v66, 23, v34
	v_or3_b32 v64, v15, v64, v14
.LBB14_809:                             ;   in Loop: Header=BB14_17 Depth=1
	s_or_b64 exec, exec, s[58:59]
                                        ; implicit-def: $vgpr14_vgpr15
.LBB14_810:                             ;   in Loop: Header=BB14_17 Depth=1
	s_andn2_saveexec_b64 s[54:55], s[54:55]
	s_cbranch_execz .LBB14_812
; %bb.811:                              ;   in Loop: Header=BB14_17 Depth=1
	flat_load_ubyte v14, v[14:15]
	s_mov_b32 vcc_lo, 0x7f800000
	s_waitcnt vmcnt(0) lgkmcnt(0)
	v_lshlrev_b32_e32 v14, 24, v14
	v_and_b32_e32 v15, 0x7f000000, v14
	v_ffbh_u32_e32 v64, v15
	v_min_u32_e32 v64, 32, v64
	v_sub_u32_e64 v64, v64, 4 clamp
	v_lshlrev_b32_e32 v67, v64, v15
	v_lshlrev_b32_e32 v64, 23, v64
	v_lshrrev_b32_e32 v67, 4, v67
	v_add_u32_e32 v66, 0x1000000, v15
	v_sub_u32_e32 v64, v67, v64
	v_ashrrev_i32_e32 v66, 8, v66
	v_add_u32_e32 v64, 0x3c000000, v64
	v_and_or_b32 v64, v66, vcc_lo, v64
	v_cmp_ne_u32_e32 vcc, 0, v15
	v_cndmask_b32_e32 v15, 0, v64, vcc
	s_brev_b32 vcc_lo, 1
	v_and_or_b32 v64, v14, vcc_lo, v15
.LBB14_812:                             ;   in Loop: Header=BB14_17 Depth=1
	s_or_b64 exec, exec, s[54:55]
                                        ; implicit-def: $vgpr14_vgpr15
.LBB14_813:                             ;   in Loop: Header=BB14_17 Depth=1
	s_andn2_saveexec_b64 s[52:53], s[52:53]
	s_cbranch_execz .LBB14_815
; %bb.814:                              ;   in Loop: Header=BB14_17 Depth=1
	flat_load_ubyte v14, v[14:15]
	s_movk_i32 vcc_lo, 0x7f00
	s_waitcnt vmcnt(0) lgkmcnt(0)
	v_lshlrev_b16_e32 v15, 8, v14
	v_lshlrev_b32_e32 v14, 25, v14
	v_lshrrev_b32_e32 v64, 4, v14
	v_and_or_b32 v66, v15, vcc_lo, 0.5
	v_or_b32_e32 v64, 0x70000000, v64
	s_brev_b32 vcc_lo, 16
	v_add_f32_e32 v66, -0.5, v66
	v_mul_f32_e32 v64, 0x7800000, v64
	v_cmp_gt_u32_e32 vcc, vcc_lo, v14
	v_cndmask_b32_e32 v14, v64, v66, vcc
	v_bfe_i32 v15, v15, 0, 16
	s_brev_b32 vcc_lo, 1
	v_and_or_b32 v64, v15, vcc_lo, v14
.LBB14_815:                             ;   in Loop: Header=BB14_17 Depth=1
	s_or_b64 exec, exec, s[52:53]
	s_or_b64 s[52:53], s[44:45], exec
                                        ; implicit-def: $vgpr14_vgpr15
.LBB14_816:                             ;   in Loop: Header=BB14_17 Depth=1
	s_or_saveexec_b64 s[50:51], s[50:51]
                                        ; implicit-def: $vcc
                                        ; implicit-def: $sgpr58_sgpr59
	s_xor_b64 exec, exec, s[50:51]
	s_cbranch_execz .LBB14_826
; %bb.817:                              ;   in Loop: Header=BB14_17 Depth=1
	v_cmp_gt_i16_sdwa vcc, v8, v35 src0_sel:BYTE_0 src1_sel:DWORD
	s_mov_b64 s[56:57], s[52:53]
                                        ; implicit-def: $sgpr58_sgpr59
                                        ; implicit-def: $sgpr54_sgpr55
                                        ; implicit-def: $vgpr64
	s_and_saveexec_b64 s[60:61], vcc
	s_xor_b64 vcc, exec, s[60:61]
	s_cbranch_execz .LBB14_821
; %bb.818:                              ;   in Loop: Header=BB14_17 Depth=1
	v_cmp_eq_u16_sdwa s[58:59], v8, v36 src0_sel:BYTE_0 src1_sel:DWORD
	s_mov_b64 s[56:57], s[52:53]
                                        ; implicit-def: $vgpr64
	s_and_saveexec_b64 s[54:55], s[58:59]
	s_cbranch_execz .LBB14_820
; %bb.819:                              ;   in Loop: Header=BB14_17 Depth=1
	flat_load_ushort v14, v[14:15]
	s_or_b64 s[56:57], s[52:53], exec
	s_waitcnt vmcnt(0) lgkmcnt(0)
	v_lshlrev_b32_e32 v64, 16, v14
.LBB14_820:                             ;   in Loop: Header=BB14_17 Depth=1
	s_or_b64 exec, exec, s[54:55]
	s_andn2_b64 s[60:61], s[52:53], exec
	s_and_b64 s[56:57], s[56:57], exec
	s_mov_b64 s[54:55], 0
	s_mov_b64 s[58:59], -1
	s_or_b64 s[56:57], s[60:61], s[56:57]
                                        ; implicit-def: $vgpr14_vgpr15
.LBB14_821:                             ;   in Loop: Header=BB14_17 Depth=1
	s_andn2_saveexec_b64 s[60:61], vcc
	s_cbranch_execz .LBB14_825
; %bb.822:                              ;   in Loop: Header=BB14_17 Depth=1
	v_cmp_eq_u16_sdwa s[64:65], v8, v37 src0_sel:BYTE_0 src1_sel:DWORD
	s_mov_b64 vcc, s[56:57]
                                        ; implicit-def: $vgpr64
	s_and_saveexec_b64 s[62:63], s[64:65]
	s_cbranch_execz .LBB14_824
; %bb.823:                              ;   in Loop: Header=BB14_17 Depth=1
	flat_load_ubyte v14, v[14:15]
	s_waitcnt vmcnt(0) lgkmcnt(0)
	v_cmp_ne_u16_e32 vcc, 0, v14
	v_cndmask_b32_e64 v64, 0, 1.0, vcc
	s_or_b64 vcc, s[56:57], exec
.LBB14_824:                             ;   in Loop: Header=BB14_17 Depth=1
	s_or_b64 exec, exec, s[62:63]
	s_andn2_b64 s[56:57], s[56:57], exec
	s_and_b64 vcc, vcc, exec
	s_or_b64 s[58:59], s[58:59], exec
	s_andn2_b64 s[54:55], s[54:55], exec
	s_or_b64 s[56:57], s[56:57], vcc
.LBB14_825:                             ;   in Loop: Header=BB14_17 Depth=1
	s_or_b64 exec, exec, s[60:61]
	s_and_b64 vcc, s[54:55], exec
	s_andn2_b64 s[52:53], s[52:53], exec
	s_and_b64 s[54:55], s[56:57], exec
	s_and_b64 s[58:59], s[58:59], exec
	s_or_b64 s[52:53], s[52:53], s[54:55]
.LBB14_826:                             ;   in Loop: Header=BB14_17 Depth=1
	s_or_b64 exec, exec, s[50:51]
	s_andn2_b64 s[46:47], s[46:47], exec
	s_and_b64 vcc, vcc, exec
	s_andn2_b64 s[48:49], s[48:49], exec
	s_and_b64 s[50:51], s[58:59], exec
	s_or_b64 s[46:47], s[46:47], vcc
	s_andn2_b64 vcc, s[44:45], exec
	s_and_b64 s[44:45], s[52:53], exec
	s_or_b64 s[48:49], s[48:49], s[50:51]
	s_or_b64 s[44:45], vcc, s[44:45]
.LBB14_827:                             ;   in Loop: Header=BB14_17 Depth=1
	s_or_b64 exec, exec, s[42:43]
	s_and_b64 s[42:43], s[48:49], exec
	s_and_b64 vcc, s[46:47], exec
	s_and_b64 s[44:45], s[44:45], exec
                                        ; implicit-def: $vgpr14_vgpr15
	s_andn2_saveexec_b64 s[40:41], s[40:41]
	s_cbranch_execz .LBB14_756
.LBB14_828:                             ;   in Loop: Header=BB14_17 Depth=1
	v_cmp_gt_i16_sdwa s[46:47], v8, v38 src0_sel:BYTE_0 src1_sel:DWORD
                                        ; implicit-def: $vgpr64
	s_and_saveexec_b64 s[48:49], s[46:47]
	s_xor_b64 s[46:47], exec, s[48:49]
	s_cbranch_execz .LBB14_850
; %bb.829:                              ;   in Loop: Header=BB14_17 Depth=1
	v_cmp_gt_i16_sdwa s[48:49], v8, v39 src0_sel:BYTE_0 src1_sel:DWORD
                                        ; implicit-def: $vgpr64
	s_and_saveexec_b64 s[50:51], s[48:49]
	s_xor_b64 s[48:49], exec, s[50:51]
	s_cbranch_execz .LBB14_839
; %bb.830:                              ;   in Loop: Header=BB14_17 Depth=1
	;; [unrolled: 6-line block ×4, first 2 shown]
	flat_load_dwordx2 v[14:15], v[14:15]
	s_waitcnt vmcnt(0) lgkmcnt(0)
	v_cvt_f32_f64_e32 v64, v[14:15]
                                        ; implicit-def: $vgpr14_vgpr15
.LBB14_833:                             ;   in Loop: Header=BB14_17 Depth=1
	s_andn2_saveexec_b64 s[52:53], s[52:53]
	s_cbranch_execz .LBB14_835
; %bb.834:                              ;   in Loop: Header=BB14_17 Depth=1
	flat_load_dword v64, v[14:15]
.LBB14_835:                             ;   in Loop: Header=BB14_17 Depth=1
	s_or_b64 exec, exec, s[52:53]
                                        ; implicit-def: $vgpr14_vgpr15
.LBB14_836:                             ;   in Loop: Header=BB14_17 Depth=1
	s_andn2_saveexec_b64 s[50:51], s[50:51]
	s_cbranch_execz .LBB14_838
; %bb.837:                              ;   in Loop: Header=BB14_17 Depth=1
	flat_load_dword v14, v[14:15]
	s_waitcnt vmcnt(0) lgkmcnt(0)
	v_cvt_f32_f16_e32 v64, v14
.LBB14_838:                             ;   in Loop: Header=BB14_17 Depth=1
	s_or_b64 exec, exec, s[50:51]
                                        ; implicit-def: $vgpr14_vgpr15
.LBB14_839:                             ;   in Loop: Header=BB14_17 Depth=1
	s_andn2_saveexec_b64 s[48:49], s[48:49]
	s_cbranch_execz .LBB14_849
; %bb.840:                              ;   in Loop: Header=BB14_17 Depth=1
	v_cmp_gt_i16_sdwa s[50:51], v8, v50 src0_sel:BYTE_0 src1_sel:DWORD
                                        ; implicit-def: $vgpr64
	s_and_saveexec_b64 s[52:53], s[50:51]
	s_xor_b64 s[50:51], exec, s[52:53]
	s_cbranch_execz .LBB14_846
; %bb.841:                              ;   in Loop: Header=BB14_17 Depth=1
	v_cmp_gt_i16_sdwa s[52:53], v8, v51 src0_sel:BYTE_0 src1_sel:DWORD
                                        ; implicit-def: $vgpr64
	s_and_saveexec_b64 s[54:55], s[52:53]
	s_xor_b64 s[52:53], exec, s[54:55]
	s_cbranch_execz .LBB14_843
; %bb.842:                              ;   in Loop: Header=BB14_17 Depth=1
	flat_load_dwordx2 v[14:15], v[14:15]
	s_waitcnt vmcnt(0) lgkmcnt(0)
	v_cvt_f32_f64_e32 v64, v[14:15]
                                        ; implicit-def: $vgpr14_vgpr15
.LBB14_843:                             ;   in Loop: Header=BB14_17 Depth=1
	s_andn2_saveexec_b64 s[52:53], s[52:53]
	s_cbranch_execz .LBB14_845
; %bb.844:                              ;   in Loop: Header=BB14_17 Depth=1
	s_waitcnt vmcnt(0) lgkmcnt(0)
	flat_load_dword v64, v[14:15]
.LBB14_845:                             ;   in Loop: Header=BB14_17 Depth=1
	s_or_b64 exec, exec, s[52:53]
                                        ; implicit-def: $vgpr14_vgpr15
.LBB14_846:                             ;   in Loop: Header=BB14_17 Depth=1
	s_andn2_saveexec_b64 s[50:51], s[50:51]
	s_cbranch_execz .LBB14_848
; %bb.847:                              ;   in Loop: Header=BB14_17 Depth=1
	flat_load_ushort v14, v[14:15]
	s_waitcnt vmcnt(0) lgkmcnt(0)
	v_cvt_f32_f16_e32 v64, v14
.LBB14_848:                             ;   in Loop: Header=BB14_17 Depth=1
	s_or_b64 exec, exec, s[50:51]
.LBB14_849:                             ;   in Loop: Header=BB14_17 Depth=1
	s_or_b64 exec, exec, s[48:49]
                                        ; implicit-def: $vgpr14_vgpr15
.LBB14_850:                             ;   in Loop: Header=BB14_17 Depth=1
	s_andn2_saveexec_b64 s[46:47], s[46:47]
	s_cbranch_execz .LBB14_868
; %bb.851:                              ;   in Loop: Header=BB14_17 Depth=1
	v_cmp_gt_i16_sdwa s[48:49], v8, v52 src0_sel:BYTE_0 src1_sel:DWORD
                                        ; implicit-def: $vgpr64
	s_and_saveexec_b64 s[50:51], s[48:49]
	s_xor_b64 s[48:49], exec, s[50:51]
	s_cbranch_execz .LBB14_861
; %bb.852:                              ;   in Loop: Header=BB14_17 Depth=1
	v_cmp_gt_i16_sdwa s[50:51], v8, v53 src0_sel:BYTE_0 src1_sel:DWORD
                                        ; implicit-def: $vgpr64
	s_and_saveexec_b64 s[52:53], s[50:51]
	s_xor_b64 s[50:51], exec, s[52:53]
	s_cbranch_execz .LBB14_858
; %bb.853:                              ;   in Loop: Header=BB14_17 Depth=1
	v_cmp_gt_i16_sdwa s[52:53], v8, v54 src0_sel:BYTE_0 src1_sel:DWORD
                                        ; implicit-def: $vgpr64
	s_and_saveexec_b64 s[54:55], s[52:53]
	s_xor_b64 s[52:53], exec, s[54:55]
	s_cbranch_execz .LBB14_855
; %bb.854:                              ;   in Loop: Header=BB14_17 Depth=1
	flat_load_dwordx2 v[14:15], v[14:15]
	s_waitcnt vmcnt(0) lgkmcnt(0)
	v_xor_b32_e32 v66, v14, v15
	v_ffbh_i32_e32 v64, v15
	v_ashrrev_i32_e32 v66, 31, v66
	v_add_u32_e32 v64, -1, v64
	v_add_u32_e32 v66, 32, v66
	v_min_u32_e32 v64, v64, v66
	v_lshlrev_b64 v[14:15], v64, v[14:15]
	v_min_u32_e32 v14, 1, v14
	v_or_b32_e32 v14, v15, v14
	v_cvt_f32_i32_e32 v14, v14
	v_sub_u32_e32 v15, 32, v64
	v_ldexp_f32 v64, v14, v15
                                        ; implicit-def: $vgpr14_vgpr15
.LBB14_855:                             ;   in Loop: Header=BB14_17 Depth=1
	s_andn2_saveexec_b64 s[52:53], s[52:53]
	s_cbranch_execz .LBB14_857
; %bb.856:                              ;   in Loop: Header=BB14_17 Depth=1
	flat_load_dword v14, v[14:15]
	s_waitcnt vmcnt(0) lgkmcnt(0)
	v_cvt_f32_i32_e32 v64, v14
.LBB14_857:                             ;   in Loop: Header=BB14_17 Depth=1
	s_or_b64 exec, exec, s[52:53]
                                        ; implicit-def: $vgpr14_vgpr15
.LBB14_858:                             ;   in Loop: Header=BB14_17 Depth=1
	s_andn2_saveexec_b64 s[50:51], s[50:51]
	s_cbranch_execz .LBB14_860
; %bb.859:                              ;   in Loop: Header=BB14_17 Depth=1
	flat_load_sshort v14, v[14:15]
	s_waitcnt vmcnt(0) lgkmcnt(0)
	v_cvt_f32_i32_e32 v64, v14
.LBB14_860:                             ;   in Loop: Header=BB14_17 Depth=1
	s_or_b64 exec, exec, s[50:51]
                                        ; implicit-def: $vgpr14_vgpr15
.LBB14_861:                             ;   in Loop: Header=BB14_17 Depth=1
	s_andn2_saveexec_b64 s[48:49], s[48:49]
	s_cbranch_execz .LBB14_867
; %bb.862:                              ;   in Loop: Header=BB14_17 Depth=1
	v_cmp_gt_i16_sdwa s[50:51], v8, v16 src0_sel:BYTE_0 src1_sel:DWORD
                                        ; implicit-def: $vgpr64
	s_and_saveexec_b64 s[52:53], s[50:51]
	s_xor_b64 s[50:51], exec, s[52:53]
	s_cbranch_execz .LBB14_864
; %bb.863:                              ;   in Loop: Header=BB14_17 Depth=1
	flat_load_sbyte v14, v[14:15]
	s_waitcnt vmcnt(0) lgkmcnt(0)
	v_cvt_f32_i32_e32 v64, v14
                                        ; implicit-def: $vgpr14_vgpr15
.LBB14_864:                             ;   in Loop: Header=BB14_17 Depth=1
	s_andn2_saveexec_b64 s[50:51], s[50:51]
	s_cbranch_execz .LBB14_866
; %bb.865:                              ;   in Loop: Header=BB14_17 Depth=1
	flat_load_ubyte v14, v[14:15]
	s_waitcnt vmcnt(0) lgkmcnt(0)
	v_cvt_f32_ubyte0_e32 v64, v14
.LBB14_866:                             ;   in Loop: Header=BB14_17 Depth=1
	s_or_b64 exec, exec, s[50:51]
.LBB14_867:                             ;   in Loop: Header=BB14_17 Depth=1
	s_or_b64 exec, exec, s[48:49]
.LBB14_868:                             ;   in Loop: Header=BB14_17 Depth=1
	s_or_b64 exec, exec, s[46:47]
	s_andn2_b64 s[42:43], s[42:43], exec
	s_andn2_b64 vcc, vcc, exec
	s_or_b64 s[44:45], s[44:45], exec
	s_or_b64 exec, exec, s[40:41]
	s_mov_b64 s[40:41], 0
	s_and_saveexec_b64 s[46:47], s[44:45]
	s_cbranch_execnz .LBB14_757
	s_branch .LBB14_758
.LBB14_869:                             ;   in Loop: Header=BB14_17 Depth=1
	v_cmp_gt_i16_sdwa vcc, v7, v19 src0_sel:BYTE_0 src1_sel:DWORD
	s_mov_b64 s[46:47], 0
                                        ; implicit-def: $sgpr48_sgpr49
                                        ; implicit-def: $sgpr38_sgpr39
                                        ; implicit-def: $vgpr66
	s_and_saveexec_b64 s[36:37], vcc
	s_xor_b64 s[36:37], exec, s[36:37]
	s_cbranch_execz .LBB14_901
; %bb.870:                              ;   in Loop: Header=BB14_17 Depth=1
	v_cmp_gt_i16_sdwa vcc, v7, v20 src0_sel:BYTE_0 src1_sel:DWORD
                                        ; implicit-def: $sgpr48_sgpr49
                                        ; implicit-def: $sgpr50_sgpr51
                                        ; implicit-def: $vgpr66
	s_and_saveexec_b64 s[38:39], vcc
	s_xor_b64 s[38:39], exec, s[38:39]
	s_cbranch_execz .LBB14_886
; %bb.871:                              ;   in Loop: Header=BB14_17 Depth=1
	v_cmp_gt_i16_sdwa s[46:47], v7, v21 src0_sel:BYTE_0 src1_sel:DWORD
	s_mov_b64 s[52:53], 0
                                        ; implicit-def: $vcc
                                        ; implicit-def: $sgpr48_sgpr49
                                        ; implicit-def: $vgpr66
	s_and_saveexec_b64 s[50:51], s[46:47]
	s_xor_b64 s[46:47], exec, s[50:51]
	s_cbranch_execz .LBB14_881
; %bb.872:                              ;   in Loop: Header=BB14_17 Depth=1
	v_cmp_gt_i16_sdwa vcc, v7, v22 src0_sel:BYTE_0 src1_sel:DWORD
	s_mov_b64 s[50:51], 0
                                        ; implicit-def: $sgpr48_sgpr49
                                        ; implicit-def: $sgpr52_sgpr53
                                        ; implicit-def: $vgpr66
	s_and_saveexec_b64 s[54:55], vcc
	s_xor_b64 vcc, exec, s[54:55]
	s_cbranch_execz .LBB14_876
; %bb.873:                              ;   in Loop: Header=BB14_17 Depth=1
	v_cmp_eq_u16_sdwa s[54:55], v7, v23 src0_sel:BYTE_0 src1_sel:DWORD
	s_mov_b64 s[48:49], 0
                                        ; implicit-def: $vgpr66
	s_and_saveexec_b64 s[52:53], s[54:55]
	s_cbranch_execz .LBB14_875
; %bb.874:                              ;   in Loop: Header=BB14_17 Depth=1
	flat_load_dword v14, v[14:15]
	s_mov_b64 s[50:51], exec
	s_waitcnt vmcnt(0) lgkmcnt(0)
	v_lshlrev_b32_e32 v66, 16, v14
.LBB14_875:                             ;   in Loop: Header=BB14_17 Depth=1
	s_or_b64 exec, exec, s[52:53]
	s_mov_b64 s[52:53], -1
	s_and_b64 s[50:51], s[50:51], exec
                                        ; implicit-def: $vgpr14_vgpr15
.LBB14_876:                             ;   in Loop: Header=BB14_17 Depth=1
	s_andn2_saveexec_b64 s[54:55], vcc
	s_cbranch_execz .LBB14_880
; %bb.877:                              ;   in Loop: Header=BB14_17 Depth=1
	v_cmp_eq_u16_sdwa s[58:59], v7, v24 src0_sel:BYTE_0 src1_sel:DWORD
	s_mov_b64 vcc, s[50:51]
                                        ; implicit-def: $vgpr66
	s_and_saveexec_b64 s[56:57], s[58:59]
	s_cbranch_execz .LBB14_879
; %bb.878:                              ;   in Loop: Header=BB14_17 Depth=1
	flat_load_ubyte v14, v[14:15]
	s_movk_i32 vcc_lo, 0xff
	s_waitcnt vmcnt(0) lgkmcnt(0)
	v_lshlrev_b32_e32 v15, 23, v14
	v_cmp_ne_u32_e32 vcc, vcc_lo, v14
	v_cndmask_b32_e32 v15, v25, v15, vcc
	v_cmp_ne_u32_e32 vcc, 0, v14
	v_cndmask_b32_e32 v66, v26, v15, vcc
	s_or_b64 vcc, s[50:51], exec
.LBB14_879:                             ;   in Loop: Header=BB14_17 Depth=1
	s_or_b64 exec, exec, s[56:57]
	s_andn2_b64 s[50:51], s[50:51], exec
	s_and_b64 vcc, vcc, exec
	s_andn2_b64 s[48:49], s[48:49], exec
	s_or_b64 s[52:53], s[52:53], exec
	s_or_b64 s[50:51], s[50:51], vcc
.LBB14_880:                             ;   in Loop: Header=BB14_17 Depth=1
	s_or_b64 exec, exec, s[54:55]
	s_and_b64 s[48:49], s[48:49], exec
	s_and_b64 vcc, s[52:53], exec
	s_and_b64 s[52:53], s[50:51], exec
                                        ; implicit-def: $vgpr14_vgpr15
.LBB14_881:                             ;   in Loop: Header=BB14_17 Depth=1
	s_andn2_saveexec_b64 s[46:47], s[46:47]
	s_cbranch_execz .LBB14_885
; %bb.882:                              ;   in Loop: Header=BB14_17 Depth=1
	v_cmp_eq_u16_sdwa s[56:57], v7, v27 src0_sel:BYTE_0 src1_sel:DWORD
	s_mov_b64 s[54:55], s[52:53]
                                        ; implicit-def: $vgpr66
	s_and_saveexec_b64 s[50:51], s[56:57]
	s_cbranch_execz .LBB14_884
; %bb.883:                              ;   in Loop: Header=BB14_17 Depth=1
	flat_load_dwordx2 v[14:15], v[14:15]
	s_or_b64 s[54:55], s[52:53], exec
	s_waitcnt vmcnt(0) lgkmcnt(0)
	v_ffbh_u32_e32 v65, v15
	v_min_u32_e32 v65, 32, v65
	v_lshlrev_b64 v[14:15], v65, v[14:15]
	v_min_u32_e32 v14, 1, v14
	v_or_b32_e32 v14, v15, v14
	v_cvt_f32_u32_e32 v14, v14
	v_sub_u32_e32 v15, 32, v65
	v_ldexp_f32 v66, v14, v15
.LBB14_884:                             ;   in Loop: Header=BB14_17 Depth=1
	s_or_b64 exec, exec, s[50:51]
	s_andn2_b64 s[50:51], s[52:53], exec
	s_and_b64 s[52:53], s[54:55], exec
	s_andn2_b64 s[48:49], s[48:49], exec
	s_or_b64 vcc, vcc, exec
	s_or_b64 s[52:53], s[50:51], s[52:53]
.LBB14_885:                             ;   in Loop: Header=BB14_17 Depth=1
	s_or_b64 exec, exec, s[46:47]
	s_and_b64 s[50:51], s[48:49], exec
	s_and_b64 s[48:49], vcc, exec
	s_and_b64 s[46:47], s[52:53], exec
                                        ; implicit-def: $vgpr14_vgpr15
.LBB14_886:                             ;   in Loop: Header=BB14_17 Depth=1
	s_andn2_saveexec_b64 s[38:39], s[38:39]
	s_cbranch_execz .LBB14_900
; %bb.887:                              ;   in Loop: Header=BB14_17 Depth=1
	v_cmp_gt_i16_sdwa vcc, v7, v28 src0_sel:BYTE_0 src1_sel:DWORD
                                        ; implicit-def: $vgpr66
	s_and_saveexec_b64 s[52:53], vcc
	s_xor_b64 vcc, exec, s[52:53]
	s_cbranch_execz .LBB14_893
; %bb.888:                              ;   in Loop: Header=BB14_17 Depth=1
	v_cmp_gt_i16_sdwa s[52:53], v7, v29 src0_sel:BYTE_0 src1_sel:DWORD
                                        ; implicit-def: $vgpr66
	s_and_saveexec_b64 s[54:55], s[52:53]
	s_xor_b64 s[52:53], exec, s[54:55]
	s_cbranch_execz .LBB14_890
; %bb.889:                              ;   in Loop: Header=BB14_17 Depth=1
	flat_load_dword v14, v[14:15]
	s_waitcnt vmcnt(0) lgkmcnt(0)
	v_cvt_f32_u32_e32 v66, v14
                                        ; implicit-def: $vgpr14_vgpr15
.LBB14_890:                             ;   in Loop: Header=BB14_17 Depth=1
	s_andn2_saveexec_b64 s[52:53], s[52:53]
	s_cbranch_execz .LBB14_892
; %bb.891:                              ;   in Loop: Header=BB14_17 Depth=1
	flat_load_ushort v14, v[14:15]
	s_waitcnt vmcnt(0) lgkmcnt(0)
	v_cvt_f32_u32_e32 v66, v14
.LBB14_892:                             ;   in Loop: Header=BB14_17 Depth=1
	s_or_b64 exec, exec, s[52:53]
                                        ; implicit-def: $vgpr14_vgpr15
.LBB14_893:                             ;   in Loop: Header=BB14_17 Depth=1
	s_andn2_saveexec_b64 s[52:53], vcc
	s_cbranch_execz .LBB14_899
; %bb.894:                              ;   in Loop: Header=BB14_17 Depth=1
	flat_load_ubyte v14, v[14:15]
	s_movk_i32 vcc_lo, 0x7f
	s_mov_b64 s[54:55], 0
                                        ; implicit-def: $sgpr60
	s_waitcnt vmcnt(0) lgkmcnt(0)
	v_cmp_lt_i16_e32 vcc, vcc_lo, v14
	s_and_saveexec_b64 s[56:57], vcc
	s_xor_b64 s[56:57], exec, s[56:57]
	s_cbranch_execnz .LBB14_1669
; %bb.895:                              ;   in Loop: Header=BB14_17 Depth=1
	s_or_saveexec_b64 s[56:57], s[56:57]
	v_mov_b32_e32 v66, s60
	s_xor_b64 exec, exec, s[56:57]
	s_cbranch_execnz .LBB14_1672
.LBB14_896:                             ;   in Loop: Header=BB14_17 Depth=1
	s_or_b64 exec, exec, s[56:57]
	s_and_saveexec_b64 s[56:57], s[54:55]
	s_cbranch_execz .LBB14_898
.LBB14_897:                             ;   in Loop: Header=BB14_17 Depth=1
	v_lshlrev_b32_e32 v15, 24, v14
	v_and_b32_e32 v14, 0xffff, v14
	v_and_b32_e32 v65, 7, v14
	v_ffbh_u32_e32 v67, v65
	v_min_u32_e32 v67, 32, v67
	v_subrev_u32_e32 v68, 28, v67
	v_bfe_u32 v66, v14, 3, 4
	v_lshlrev_b32_e32 v14, v68, v14
	v_sub_u32_e32 v67, 29, v67
	v_and_b32_e32 v14, 7, v14
	v_cmp_eq_u32_e32 vcc, 0, v66
	v_cndmask_b32_e32 v66, v66, v67, vcc
	v_cndmask_b32_e32 v14, v65, v14, vcc
	v_lshlrev_b32_e32 v14, 20, v14
	v_and_b32_e32 v15, 0x80000000, v15
	v_lshl_add_u32 v65, v66, 23, v30
	v_or3_b32 v66, v15, v65, v14
.LBB14_898:                             ;   in Loop: Header=BB14_17 Depth=1
	s_or_b64 exec, exec, s[56:57]
.LBB14_899:                             ;   in Loop: Header=BB14_17 Depth=1
	s_or_b64 exec, exec, s[52:53]
	s_andn2_b64 s[50:51], s[50:51], exec
	s_andn2_b64 s[48:49], s[48:49], exec
	s_or_b64 s[46:47], s[46:47], exec
.LBB14_900:                             ;   in Loop: Header=BB14_17 Depth=1
	s_or_b64 exec, exec, s[38:39]
	s_and_b64 s[38:39], s[50:51], exec
	s_and_b64 s[48:49], s[48:49], exec
	;; [unrolled: 1-line block ×3, first 2 shown]
                                        ; implicit-def: $vgpr14_vgpr15
.LBB14_901:                             ;   in Loop: Header=BB14_17 Depth=1
	s_andn2_saveexec_b64 s[36:37], s[36:37]
	s_cbranch_execz .LBB14_927
; %bb.902:                              ;   in Loop: Header=BB14_17 Depth=1
	v_cmp_gt_i16_sdwa vcc, v7, v31 src0_sel:BYTE_0 src1_sel:DWORD
	s_mov_b64 s[52:53], s[46:47]
                                        ; implicit-def: $vgpr66
	s_and_saveexec_b64 s[50:51], vcc
	s_xor_b64 s[50:51], exec, s[50:51]
	s_cbranch_execz .LBB14_916
; %bb.903:                              ;   in Loop: Header=BB14_17 Depth=1
	v_cmp_gt_i16_sdwa vcc, v7, v32 src0_sel:BYTE_0 src1_sel:DWORD
                                        ; implicit-def: $vgpr66
	s_and_saveexec_b64 s[52:53], vcc
	s_xor_b64 s[52:53], exec, s[52:53]
	s_cbranch_execz .LBB14_913
; %bb.904:                              ;   in Loop: Header=BB14_17 Depth=1
	v_cmp_gt_i16_sdwa vcc, v7, v33 src0_sel:BYTE_0 src1_sel:DWORD
                                        ; implicit-def: $vgpr66
	s_and_saveexec_b64 s[54:55], vcc
	s_xor_b64 s[54:55], exec, s[54:55]
	s_cbranch_execz .LBB14_910
; %bb.905:                              ;   in Loop: Header=BB14_17 Depth=1
	flat_load_ubyte v14, v[14:15]
	s_movk_i32 vcc_lo, 0x7f
	s_mov_b64 s[56:57], 0
                                        ; implicit-def: $sgpr62
	s_waitcnt vmcnt(0) lgkmcnt(0)
	v_cmp_lt_i16_e32 vcc, vcc_lo, v14
	s_and_saveexec_b64 s[58:59], vcc
	s_xor_b64 s[58:59], exec, s[58:59]
	s_cbranch_execnz .LBB14_1888
; %bb.906:                              ;   in Loop: Header=BB14_17 Depth=1
	s_or_saveexec_b64 s[58:59], s[58:59]
	v_mov_b32_e32 v66, s62
	s_xor_b64 exec, exec, s[58:59]
	s_cbranch_execnz .LBB14_1891
.LBB14_907:                             ;   in Loop: Header=BB14_17 Depth=1
	s_or_b64 exec, exec, s[58:59]
	s_and_saveexec_b64 s[58:59], s[56:57]
	s_cbranch_execz .LBB14_909
.LBB14_908:                             ;   in Loop: Header=BB14_17 Depth=1
	v_lshlrev_b32_e32 v15, 24, v14
	v_and_b32_e32 v14, 0xffff, v14
	v_and_b32_e32 v65, 3, v14
	v_ffbh_u32_e32 v67, v65
	v_min_u32_e32 v67, 32, v67
	v_subrev_u32_e32 v68, 29, v67
	v_bfe_u32 v66, v14, 2, 5
	v_lshlrev_b32_e32 v14, v68, v14
	v_sub_u32_e32 v67, 30, v67
	v_and_b32_e32 v14, 3, v14
	v_cmp_eq_u32_e32 vcc, 0, v66
	v_cndmask_b32_e32 v66, v66, v67, vcc
	v_cndmask_b32_e32 v14, v65, v14, vcc
	v_lshlrev_b32_e32 v14, 21, v14
	v_and_b32_e32 v15, 0x80000000, v15
	v_lshl_add_u32 v65, v66, 23, v34
	v_or3_b32 v66, v15, v65, v14
.LBB14_909:                             ;   in Loop: Header=BB14_17 Depth=1
	s_or_b64 exec, exec, s[58:59]
                                        ; implicit-def: $vgpr14_vgpr15
.LBB14_910:                             ;   in Loop: Header=BB14_17 Depth=1
	s_andn2_saveexec_b64 s[54:55], s[54:55]
	s_cbranch_execz .LBB14_912
; %bb.911:                              ;   in Loop: Header=BB14_17 Depth=1
	flat_load_ubyte v14, v[14:15]
	s_mov_b32 vcc_lo, 0x7f800000
	s_waitcnt vmcnt(0) lgkmcnt(0)
	v_lshlrev_b32_e32 v14, 24, v14
	v_and_b32_e32 v15, 0x7f000000, v14
	v_ffbh_u32_e32 v65, v15
	v_min_u32_e32 v65, 32, v65
	v_sub_u32_e64 v65, v65, 4 clamp
	v_lshlrev_b32_e32 v67, v65, v15
	v_lshlrev_b32_e32 v65, 23, v65
	v_lshrrev_b32_e32 v67, 4, v67
	v_add_u32_e32 v66, 0x1000000, v15
	v_sub_u32_e32 v65, v67, v65
	v_ashrrev_i32_e32 v66, 8, v66
	v_add_u32_e32 v65, 0x3c000000, v65
	v_and_or_b32 v65, v66, vcc_lo, v65
	v_cmp_ne_u32_e32 vcc, 0, v15
	v_cndmask_b32_e32 v15, 0, v65, vcc
	s_brev_b32 vcc_lo, 1
	v_and_or_b32 v66, v14, vcc_lo, v15
.LBB14_912:                             ;   in Loop: Header=BB14_17 Depth=1
	s_or_b64 exec, exec, s[54:55]
                                        ; implicit-def: $vgpr14_vgpr15
.LBB14_913:                             ;   in Loop: Header=BB14_17 Depth=1
	s_andn2_saveexec_b64 s[52:53], s[52:53]
	s_cbranch_execz .LBB14_915
; %bb.914:                              ;   in Loop: Header=BB14_17 Depth=1
	flat_load_ubyte v14, v[14:15]
	s_movk_i32 vcc_lo, 0x7f00
	s_waitcnt vmcnt(0) lgkmcnt(0)
	v_lshlrev_b16_e32 v15, 8, v14
	v_lshlrev_b32_e32 v14, 25, v14
	v_lshrrev_b32_e32 v65, 4, v14
	v_and_or_b32 v66, v15, vcc_lo, 0.5
	v_or_b32_e32 v65, 0x70000000, v65
	s_brev_b32 vcc_lo, 16
	v_add_f32_e32 v66, -0.5, v66
	v_mul_f32_e32 v65, 0x7800000, v65
	v_cmp_gt_u32_e32 vcc, vcc_lo, v14
	v_cndmask_b32_e32 v14, v65, v66, vcc
	v_bfe_i32 v15, v15, 0, 16
	s_brev_b32 vcc_lo, 1
	v_and_or_b32 v66, v15, vcc_lo, v14
.LBB14_915:                             ;   in Loop: Header=BB14_17 Depth=1
	s_or_b64 exec, exec, s[52:53]
	s_or_b64 s[52:53], s[46:47], exec
                                        ; implicit-def: $vgpr14_vgpr15
.LBB14_916:                             ;   in Loop: Header=BB14_17 Depth=1
	s_or_saveexec_b64 s[50:51], s[50:51]
                                        ; implicit-def: $vcc
                                        ; implicit-def: $sgpr58_sgpr59
	s_xor_b64 exec, exec, s[50:51]
	s_cbranch_execz .LBB14_926
; %bb.917:                              ;   in Loop: Header=BB14_17 Depth=1
	v_cmp_gt_i16_sdwa vcc, v7, v35 src0_sel:BYTE_0 src1_sel:DWORD
	s_mov_b64 s[56:57], s[52:53]
                                        ; implicit-def: $sgpr58_sgpr59
                                        ; implicit-def: $sgpr54_sgpr55
                                        ; implicit-def: $vgpr66
	s_and_saveexec_b64 s[60:61], vcc
	s_xor_b64 vcc, exec, s[60:61]
	s_cbranch_execz .LBB14_921
; %bb.918:                              ;   in Loop: Header=BB14_17 Depth=1
	v_cmp_eq_u16_sdwa s[58:59], v7, v36 src0_sel:BYTE_0 src1_sel:DWORD
	s_mov_b64 s[56:57], s[52:53]
                                        ; implicit-def: $vgpr66
	s_and_saveexec_b64 s[54:55], s[58:59]
	s_cbranch_execz .LBB14_920
; %bb.919:                              ;   in Loop: Header=BB14_17 Depth=1
	flat_load_ushort v14, v[14:15]
	s_or_b64 s[56:57], s[52:53], exec
	s_waitcnt vmcnt(0) lgkmcnt(0)
	v_lshlrev_b32_e32 v66, 16, v14
.LBB14_920:                             ;   in Loop: Header=BB14_17 Depth=1
	s_or_b64 exec, exec, s[54:55]
	s_andn2_b64 s[60:61], s[52:53], exec
	s_and_b64 s[56:57], s[56:57], exec
	s_mov_b64 s[54:55], -1
	s_mov_b64 s[58:59], 0
	s_or_b64 s[56:57], s[60:61], s[56:57]
                                        ; implicit-def: $vgpr14_vgpr15
.LBB14_921:                             ;   in Loop: Header=BB14_17 Depth=1
	s_andn2_saveexec_b64 s[60:61], vcc
	s_cbranch_execz .LBB14_925
; %bb.922:                              ;   in Loop: Header=BB14_17 Depth=1
	v_cmp_eq_u16_sdwa s[64:65], v7, v37 src0_sel:BYTE_0 src1_sel:DWORD
	s_mov_b64 vcc, s[56:57]
                                        ; implicit-def: $vgpr66
	s_and_saveexec_b64 s[62:63], s[64:65]
	s_cbranch_execz .LBB14_924
; %bb.923:                              ;   in Loop: Header=BB14_17 Depth=1
	flat_load_ubyte v14, v[14:15]
	s_waitcnt vmcnt(0) lgkmcnt(0)
	v_cmp_ne_u16_e32 vcc, 0, v14
	v_cndmask_b32_e64 v66, 0, 1.0, vcc
	s_or_b64 vcc, s[56:57], exec
.LBB14_924:                             ;   in Loop: Header=BB14_17 Depth=1
	s_or_b64 exec, exec, s[62:63]
	s_andn2_b64 s[56:57], s[56:57], exec
	s_and_b64 vcc, vcc, exec
	s_andn2_b64 s[58:59], s[58:59], exec
	s_or_b64 s[54:55], s[54:55], exec
	s_or_b64 s[56:57], s[56:57], vcc
.LBB14_925:                             ;   in Loop: Header=BB14_17 Depth=1
	s_or_b64 exec, exec, s[60:61]
	s_and_b64 vcc, s[54:55], exec
	s_andn2_b64 s[52:53], s[52:53], exec
	s_and_b64 s[54:55], s[56:57], exec
	s_and_b64 s[58:59], s[58:59], exec
	s_or_b64 s[52:53], s[52:53], s[54:55]
.LBB14_926:                             ;   in Loop: Header=BB14_17 Depth=1
	s_or_b64 exec, exec, s[50:51]
	s_andn2_b64 s[48:49], s[48:49], exec
	s_and_b64 vcc, vcc, exec
	s_andn2_b64 s[38:39], s[38:39], exec
	s_and_b64 s[50:51], s[58:59], exec
	s_or_b64 s[48:49], s[48:49], vcc
	s_andn2_b64 vcc, s[46:47], exec
	s_and_b64 s[46:47], s[52:53], exec
	s_or_b64 s[38:39], s[38:39], s[50:51]
	s_or_b64 s[46:47], vcc, s[46:47]
.LBB14_927:                             ;   in Loop: Header=BB14_17 Depth=1
	s_or_b64 exec, exec, s[36:37]
	s_and_b64 s[38:39], s[38:39], exec
	s_and_b64 s[36:37], s[48:49], exec
	s_and_b64 vcc, s[46:47], exec
                                        ; implicit-def: $vgpr14_vgpr15
	s_andn2_saveexec_b64 s[44:45], s[44:45]
	s_cbranch_execz .LBB14_764
.LBB14_928:                             ;   in Loop: Header=BB14_17 Depth=1
	v_cmp_gt_i16_sdwa s[46:47], v7, v38 src0_sel:BYTE_0 src1_sel:DWORD
                                        ; implicit-def: $vgpr66
	s_and_saveexec_b64 s[48:49], s[46:47]
	s_xor_b64 s[46:47], exec, s[48:49]
	s_cbranch_execz .LBB14_950
; %bb.929:                              ;   in Loop: Header=BB14_17 Depth=1
	v_cmp_gt_i16_sdwa s[48:49], v7, v39 src0_sel:BYTE_0 src1_sel:DWORD
                                        ; implicit-def: $vgpr66
	s_and_saveexec_b64 s[50:51], s[48:49]
	s_xor_b64 s[48:49], exec, s[50:51]
	s_cbranch_execz .LBB14_939
; %bb.930:                              ;   in Loop: Header=BB14_17 Depth=1
	;; [unrolled: 6-line block ×4, first 2 shown]
	flat_load_dwordx2 v[14:15], v[14:15]
	s_waitcnt vmcnt(0) lgkmcnt(0)
	v_cvt_f32_f64_e32 v66, v[14:15]
                                        ; implicit-def: $vgpr14_vgpr15
.LBB14_933:                             ;   in Loop: Header=BB14_17 Depth=1
	s_andn2_saveexec_b64 s[52:53], s[52:53]
	s_cbranch_execz .LBB14_935
; %bb.934:                              ;   in Loop: Header=BB14_17 Depth=1
	flat_load_dword v66, v[14:15]
.LBB14_935:                             ;   in Loop: Header=BB14_17 Depth=1
	s_or_b64 exec, exec, s[52:53]
                                        ; implicit-def: $vgpr14_vgpr15
.LBB14_936:                             ;   in Loop: Header=BB14_17 Depth=1
	s_andn2_saveexec_b64 s[50:51], s[50:51]
	s_cbranch_execz .LBB14_938
; %bb.937:                              ;   in Loop: Header=BB14_17 Depth=1
	flat_load_dword v14, v[14:15]
	s_waitcnt vmcnt(0) lgkmcnt(0)
	v_cvt_f32_f16_e32 v66, v14
.LBB14_938:                             ;   in Loop: Header=BB14_17 Depth=1
	s_or_b64 exec, exec, s[50:51]
                                        ; implicit-def: $vgpr14_vgpr15
.LBB14_939:                             ;   in Loop: Header=BB14_17 Depth=1
	s_andn2_saveexec_b64 s[48:49], s[48:49]
	s_cbranch_execz .LBB14_949
; %bb.940:                              ;   in Loop: Header=BB14_17 Depth=1
	v_cmp_gt_i16_sdwa s[50:51], v7, v50 src0_sel:BYTE_0 src1_sel:DWORD
                                        ; implicit-def: $vgpr66
	s_and_saveexec_b64 s[52:53], s[50:51]
	s_xor_b64 s[50:51], exec, s[52:53]
	s_cbranch_execz .LBB14_946
; %bb.941:                              ;   in Loop: Header=BB14_17 Depth=1
	v_cmp_gt_i16_sdwa s[52:53], v7, v51 src0_sel:BYTE_0 src1_sel:DWORD
                                        ; implicit-def: $vgpr66
	s_and_saveexec_b64 s[54:55], s[52:53]
	s_xor_b64 s[52:53], exec, s[54:55]
	s_cbranch_execz .LBB14_943
; %bb.942:                              ;   in Loop: Header=BB14_17 Depth=1
	flat_load_dwordx2 v[14:15], v[14:15]
	s_waitcnt vmcnt(0) lgkmcnt(0)
	v_cvt_f32_f64_e32 v66, v[14:15]
                                        ; implicit-def: $vgpr14_vgpr15
.LBB14_943:                             ;   in Loop: Header=BB14_17 Depth=1
	s_andn2_saveexec_b64 s[52:53], s[52:53]
	s_cbranch_execz .LBB14_945
; %bb.944:                              ;   in Loop: Header=BB14_17 Depth=1
	s_waitcnt vmcnt(0) lgkmcnt(0)
	flat_load_dword v66, v[14:15]
.LBB14_945:                             ;   in Loop: Header=BB14_17 Depth=1
	s_or_b64 exec, exec, s[52:53]
                                        ; implicit-def: $vgpr14_vgpr15
.LBB14_946:                             ;   in Loop: Header=BB14_17 Depth=1
	s_andn2_saveexec_b64 s[50:51], s[50:51]
	s_cbranch_execz .LBB14_948
; %bb.947:                              ;   in Loop: Header=BB14_17 Depth=1
	flat_load_ushort v14, v[14:15]
	s_waitcnt vmcnt(0) lgkmcnt(0)
	v_cvt_f32_f16_e32 v66, v14
.LBB14_948:                             ;   in Loop: Header=BB14_17 Depth=1
	s_or_b64 exec, exec, s[50:51]
.LBB14_949:                             ;   in Loop: Header=BB14_17 Depth=1
	s_or_b64 exec, exec, s[48:49]
                                        ; implicit-def: $vgpr14_vgpr15
.LBB14_950:                             ;   in Loop: Header=BB14_17 Depth=1
	s_andn2_saveexec_b64 s[46:47], s[46:47]
	s_cbranch_execz .LBB14_968
; %bb.951:                              ;   in Loop: Header=BB14_17 Depth=1
	v_cmp_gt_i16_sdwa s[48:49], v7, v52 src0_sel:BYTE_0 src1_sel:DWORD
                                        ; implicit-def: $vgpr66
	s_and_saveexec_b64 s[50:51], s[48:49]
	s_xor_b64 s[48:49], exec, s[50:51]
	s_cbranch_execz .LBB14_961
; %bb.952:                              ;   in Loop: Header=BB14_17 Depth=1
	v_cmp_gt_i16_sdwa s[50:51], v7, v53 src0_sel:BYTE_0 src1_sel:DWORD
                                        ; implicit-def: $vgpr66
	s_and_saveexec_b64 s[52:53], s[50:51]
	s_xor_b64 s[50:51], exec, s[52:53]
	;; [unrolled: 6-line block ×3, first 2 shown]
	s_cbranch_execz .LBB14_955
; %bb.954:                              ;   in Loop: Header=BB14_17 Depth=1
	flat_load_dwordx2 v[14:15], v[14:15]
	s_waitcnt vmcnt(0) lgkmcnt(0)
	v_xor_b32_e32 v66, v14, v15
	v_ffbh_i32_e32 v65, v15
	v_ashrrev_i32_e32 v66, 31, v66
	v_add_u32_e32 v65, -1, v65
	v_add_u32_e32 v66, 32, v66
	v_min_u32_e32 v65, v65, v66
	v_lshlrev_b64 v[14:15], v65, v[14:15]
	v_min_u32_e32 v14, 1, v14
	v_or_b32_e32 v14, v15, v14
	v_cvt_f32_i32_e32 v14, v14
	v_sub_u32_e32 v15, 32, v65
	v_ldexp_f32 v66, v14, v15
                                        ; implicit-def: $vgpr14_vgpr15
.LBB14_955:                             ;   in Loop: Header=BB14_17 Depth=1
	s_andn2_saveexec_b64 s[52:53], s[52:53]
	s_cbranch_execz .LBB14_957
; %bb.956:                              ;   in Loop: Header=BB14_17 Depth=1
	flat_load_dword v14, v[14:15]
	s_waitcnt vmcnt(0) lgkmcnt(0)
	v_cvt_f32_i32_e32 v66, v14
.LBB14_957:                             ;   in Loop: Header=BB14_17 Depth=1
	s_or_b64 exec, exec, s[52:53]
                                        ; implicit-def: $vgpr14_vgpr15
.LBB14_958:                             ;   in Loop: Header=BB14_17 Depth=1
	s_andn2_saveexec_b64 s[50:51], s[50:51]
	s_cbranch_execz .LBB14_960
; %bb.959:                              ;   in Loop: Header=BB14_17 Depth=1
	flat_load_sshort v14, v[14:15]
	s_waitcnt vmcnt(0) lgkmcnt(0)
	v_cvt_f32_i32_e32 v66, v14
.LBB14_960:                             ;   in Loop: Header=BB14_17 Depth=1
	s_or_b64 exec, exec, s[50:51]
                                        ; implicit-def: $vgpr14_vgpr15
.LBB14_961:                             ;   in Loop: Header=BB14_17 Depth=1
	s_andn2_saveexec_b64 s[48:49], s[48:49]
	s_cbranch_execz .LBB14_967
; %bb.962:                              ;   in Loop: Header=BB14_17 Depth=1
	v_cmp_gt_i16_sdwa s[50:51], v7, v16 src0_sel:BYTE_0 src1_sel:DWORD
                                        ; implicit-def: $vgpr66
	s_and_saveexec_b64 s[52:53], s[50:51]
	s_xor_b64 s[50:51], exec, s[52:53]
	s_cbranch_execz .LBB14_964
; %bb.963:                              ;   in Loop: Header=BB14_17 Depth=1
	flat_load_sbyte v14, v[14:15]
	s_waitcnt vmcnt(0) lgkmcnt(0)
	v_cvt_f32_i32_e32 v66, v14
                                        ; implicit-def: $vgpr14_vgpr15
.LBB14_964:                             ;   in Loop: Header=BB14_17 Depth=1
	s_andn2_saveexec_b64 s[50:51], s[50:51]
	s_cbranch_execz .LBB14_966
; %bb.965:                              ;   in Loop: Header=BB14_17 Depth=1
	flat_load_ubyte v14, v[14:15]
	s_waitcnt vmcnt(0) lgkmcnt(0)
	v_cvt_f32_ubyte0_e32 v66, v14
.LBB14_966:                             ;   in Loop: Header=BB14_17 Depth=1
	s_or_b64 exec, exec, s[50:51]
.LBB14_967:                             ;   in Loop: Header=BB14_17 Depth=1
	s_or_b64 exec, exec, s[48:49]
.LBB14_968:                             ;   in Loop: Header=BB14_17 Depth=1
	s_or_b64 exec, exec, s[46:47]
	s_andn2_b64 s[38:39], s[38:39], exec
	s_andn2_b64 s[36:37], s[36:37], exec
	s_or_b64 vcc, vcc, exec
	s_or_b64 exec, exec, s[44:45]
	s_mov_b64 s[46:47], 0
	s_and_saveexec_b64 s[44:45], vcc
	s_cbranch_execz .LBB14_974
.LBB14_969:                             ;   in Loop: Header=BB14_17 Depth=1
	v_mul_lo_u32 v14, v64, v10
	v_readlane_b32 s46, v44, 0
	v_add_co_u32_e32 v14, vcc, v4, v14
	v_add_u32_e32 v65, s46, v17
	v_addc_co_u32_e32 v15, vcc, 0, v5, vcc
	v_cmp_gt_i16_sdwa s[46:47], v8, v18 src0_sel:BYTE_0 src1_sel:DWORD
	s_mov_b64 s[50:51], 0
	s_waitcnt vmcnt(0) lgkmcnt(0)
	buffer_store_dword v66, v65, s[0:3], 0 offen offset:36
                                        ; implicit-def: $vcc
                                        ; implicit-def: $sgpr48_sgpr49
                                        ; implicit-def: $vgpr64
	s_and_saveexec_b64 s[52:53], s[46:47]
	s_xor_b64 s[46:47], exec, s[52:53]
	s_cbranch_execnz .LBB14_992
; %bb.970:                              ;   in Loop: Header=BB14_17 Depth=1
	s_andn2_saveexec_b64 s[46:47], s[46:47]
	s_cbranch_execnz .LBB14_1051
.LBB14_971:                             ;   in Loop: Header=BB14_17 Depth=1
	s_or_b64 exec, exec, s[46:47]
	s_mov_b64 s[46:47], 0
	s_and_saveexec_b64 s[52:53], s[50:51]
	s_cbranch_execz .LBB14_973
.LBB14_972:                             ;   in Loop: Header=BB14_17 Depth=1
	s_mov_b64 s[46:47], exec
	v_add_u32_e32 v55, 0x200, v55
	s_andn2_b64 s[48:49], s[48:49], exec
	s_andn2_b64 vcc, vcc, exec
	s_waitcnt vmcnt(0) lgkmcnt(0)
	buffer_store_dword v64, v65, s[0:3], 0 offen offset:32
.LBB14_973:                             ;   in Loop: Header=BB14_17 Depth=1
	s_or_b64 exec, exec, s[52:53]
	s_andn2_b64 s[38:39], s[38:39], exec
	s_and_b64 s[48:49], s[48:49], exec
	s_andn2_b64 s[36:37], s[36:37], exec
	s_and_b64 vcc, vcc, exec
	s_or_b64 s[38:39], s[38:39], s[48:49]
	s_or_b64 s[36:37], s[36:37], vcc
	s_and_b64 s[46:47], s[46:47], exec
.LBB14_974:                             ;   in Loop: Header=BB14_17 Depth=1
	s_or_b64 exec, exec, s[44:45]
	s_and_b64 s[38:39], s[38:39], exec
	s_and_b64 s[36:37], s[36:37], exec
	s_orn2_b64 s[44:45], s[46:47], exec
.LBB14_975:                             ;   in Loop: Header=BB14_17 Depth=1
	s_or_b64 exec, exec, s[40:41]
	s_and_saveexec_b64 s[40:41], s[44:45]
	s_cbranch_execz .LBB14_12
; %bb.976:                              ;   in Loop: Header=BB14_17 Depth=1
	v_cmp_lt_i32_e32 vcc, v55, v6
	s_mov_b64 s[48:49], -1
	s_mov_b64 s[50:51], -1
                                        ; implicit-def: $sgpr42_sgpr43
                                        ; implicit-def: $sgpr44_sgpr45
	s_and_saveexec_b64 s[46:47], vcc
	s_cbranch_execz .LBB14_1198
; %bb.977:                              ;   in Loop: Header=BB14_17 Depth=1
	v_readlane_b32 vcc_lo, v44, 1
	s_waitcnt vmcnt(0) lgkmcnt(0)
	v_add_u32_e32 v64, vcc_lo, v55
	v_mul_lo_u32 v14, v64, v9
	v_add_co_u32_e32 v14, vcc, v2, v14
	v_addc_co_u32_e32 v15, vcc, 0, v3, vcc
	v_cmp_gt_i16_sdwa s[50:51], v7, v18 src0_sel:BYTE_0 src1_sel:DWORD
	s_mov_b64 vcc, 0
                                        ; implicit-def: $sgpr42_sgpr43
                                        ; implicit-def: $sgpr44_sgpr45
                                        ; implicit-def: $vgpr66
	s_and_saveexec_b64 s[52:53], s[50:51]
	s_xor_b64 s[50:51], exec, s[52:53]
	s_cbranch_execnz .LBB14_1092
; %bb.978:                              ;   in Loop: Header=BB14_17 Depth=1
	s_andn2_saveexec_b64 s[50:51], s[50:51]
	s_cbranch_execnz .LBB14_1151
.LBB14_979:                             ;   in Loop: Header=BB14_17 Depth=1
	s_or_b64 exec, exec, s[50:51]
	s_mov_b64 s[52:53], 0
	s_and_saveexec_b64 s[50:51], vcc
	s_cbranch_execnz .LBB14_1192
	s_branch .LBB14_1197
.LBB14_980:                             ;   in Loop: Header=BB14_17 Depth=1
	s_movk_i32 vcc_lo, 0x80
	v_cmp_eq_u16_e32 vcc, vcc_lo, v14
	s_mov_b64 s[36:37], -1
                                        ; implicit-def: $sgpr42
	s_and_saveexec_b64 s[40:41], vcc
; %bb.981:                              ;   in Loop: Header=BB14_17 Depth=1
	s_mov_b32 s42, 0x7f800001
	s_xor_b64 s[36:37], exec, -1
; %bb.982:                              ;   in Loop: Header=BB14_17 Depth=1
	s_or_b64 exec, exec, s[40:41]
	s_and_b64 s[36:37], s[36:37], exec
	s_or_saveexec_b64 s[38:39], s[38:39]
	v_mov_b32_e32 v66, s42
	s_xor_b64 exec, exec, s[38:39]
	s_cbranch_execz .LBB14_59
.LBB14_983:                             ;   in Loop: Header=BB14_17 Depth=1
	v_cmp_ne_u16_e32 vcc, 0, v14
	s_andn2_b64 s[36:37], s[36:37], exec
	s_and_b64 vcc, vcc, exec
	v_mov_b32_e32 v66, 0
	s_or_b64 s[36:37], s[36:37], vcc
	s_or_b64 exec, exec, s[38:39]
	s_and_saveexec_b64 s[38:39], s[36:37]
	s_cbranch_execnz .LBB14_60
	s_branch .LBB14_61
.LBB14_984:                             ;   in Loop: Header=BB14_17 Depth=1
	s_movk_i32 vcc_lo, 0x80
	v_cmp_eq_u16_e32 vcc, vcc_lo, v14
	s_mov_b64 s[40:41], -1
                                        ; implicit-def: $sgpr46
	s_and_saveexec_b64 s[44:45], vcc
; %bb.985:                              ;   in Loop: Header=BB14_17 Depth=1
	s_mov_b32 s46, 0x7f800001
	s_xor_b64 s[40:41], exec, -1
; %bb.986:                              ;   in Loop: Header=BB14_17 Depth=1
	s_or_b64 exec, exec, s[44:45]
	s_and_b64 s[40:41], s[40:41], exec
	s_or_saveexec_b64 s[42:43], s[42:43]
	v_mov_b32_e32 v64, s46
	s_xor_b64 exec, exec, s[42:43]
	s_cbranch_execz .LBB14_159
.LBB14_987:                             ;   in Loop: Header=BB14_17 Depth=1
	v_cmp_ne_u16_e32 vcc, 0, v14
	s_andn2_b64 s[40:41], s[40:41], exec
	s_and_b64 vcc, vcc, exec
	v_mov_b32_e32 v64, 0
	s_or_b64 s[40:41], s[40:41], vcc
	s_or_b64 exec, exec, s[42:43]
	s_and_saveexec_b64 s[42:43], s[40:41]
	s_cbranch_execnz .LBB14_160
	s_branch .LBB14_161
.LBB14_988:                             ;   in Loop: Header=BB14_17 Depth=1
	s_movk_i32 vcc_lo, 0x80
	v_cmp_eq_u16_e32 vcc, vcc_lo, v14
	s_mov_b64 s[36:37], -1
                                        ; implicit-def: $sgpr42
	s_and_saveexec_b64 s[40:41], vcc
; %bb.989:                              ;   in Loop: Header=BB14_17 Depth=1
	s_mov_b32 s42, 0x7f800001
	s_xor_b64 s[36:37], exec, -1
; %bb.990:                              ;   in Loop: Header=BB14_17 Depth=1
	s_or_b64 exec, exec, s[40:41]
	s_and_b64 s[36:37], s[36:37], exec
	s_or_saveexec_b64 s[38:39], s[38:39]
	v_mov_b32_e32 v66, s42
	s_xor_b64 exec, exec, s[38:39]
	s_cbranch_execz .LBB14_259
.LBB14_991:                             ;   in Loop: Header=BB14_17 Depth=1
	v_cmp_ne_u16_e32 vcc, 0, v14
	s_andn2_b64 s[36:37], s[36:37], exec
	s_and_b64 vcc, vcc, exec
	v_mov_b32_e32 v66, 0
	s_or_b64 s[36:37], s[36:37], vcc
	s_or_b64 exec, exec, s[38:39]
	s_and_saveexec_b64 s[38:39], s[36:37]
	s_cbranch_execnz .LBB14_260
	s_branch .LBB14_261
.LBB14_992:                             ;   in Loop: Header=BB14_17 Depth=1
	v_cmp_gt_i16_sdwa vcc, v8, v19 src0_sel:BYTE_0 src1_sel:DWORD
                                        ; implicit-def: $sgpr52_sgpr53
                                        ; implicit-def: $sgpr54_sgpr55
                                        ; implicit-def: $vgpr64
	s_and_saveexec_b64 s[48:49], vcc
	s_xor_b64 s[48:49], exec, s[48:49]
	s_cbranch_execz .LBB14_1024
; %bb.993:                              ;   in Loop: Header=BB14_17 Depth=1
	v_cmp_gt_i16_sdwa vcc, v8, v20 src0_sel:BYTE_0 src1_sel:DWORD
                                        ; implicit-def: $sgpr52_sgpr53
                                        ; implicit-def: $sgpr56_sgpr57
                                        ; implicit-def: $vgpr64
	s_and_saveexec_b64 s[54:55], vcc
	s_xor_b64 s[54:55], exec, s[54:55]
	s_cbranch_execz .LBB14_1009
; %bb.994:                              ;   in Loop: Header=BB14_17 Depth=1
	v_cmp_gt_i16_sdwa s[50:51], v8, v21 src0_sel:BYTE_0 src1_sel:DWORD
	s_mov_b64 s[58:59], 0
                                        ; implicit-def: $vcc
                                        ; implicit-def: $sgpr56_sgpr57
                                        ; implicit-def: $vgpr64
	s_and_saveexec_b64 s[52:53], s[50:51]
	s_xor_b64 s[50:51], exec, s[52:53]
	s_cbranch_execz .LBB14_1004
; %bb.995:                              ;   in Loop: Header=BB14_17 Depth=1
	v_cmp_gt_i16_sdwa vcc, v8, v22 src0_sel:BYTE_0 src1_sel:DWORD
                                        ; implicit-def: $sgpr56_sgpr57
                                        ; implicit-def: $sgpr52_sgpr53
                                        ; implicit-def: $vgpr64
	s_and_saveexec_b64 s[60:61], vcc
	s_xor_b64 vcc, exec, s[60:61]
	s_cbranch_execz .LBB14_999
; %bb.996:                              ;   in Loop: Header=BB14_17 Depth=1
	v_cmp_eq_u16_sdwa s[60:61], v8, v23 src0_sel:BYTE_0 src1_sel:DWORD
	s_mov_b64 s[52:53], 0
                                        ; implicit-def: $vgpr64
	s_and_saveexec_b64 s[56:57], s[60:61]
	s_cbranch_execz .LBB14_998
; %bb.997:                              ;   in Loop: Header=BB14_17 Depth=1
	flat_load_dword v14, v[14:15]
	s_mov_b64 s[58:59], exec
	s_waitcnt vmcnt(0) lgkmcnt(0)
	v_lshlrev_b32_e32 v64, 16, v14
.LBB14_998:                             ;   in Loop: Header=BB14_17 Depth=1
	s_or_b64 exec, exec, s[56:57]
	s_mov_b64 s[56:57], -1
	s_and_b64 s[58:59], s[58:59], exec
                                        ; implicit-def: $vgpr14_vgpr15
.LBB14_999:                             ;   in Loop: Header=BB14_17 Depth=1
	s_andn2_saveexec_b64 s[60:61], vcc
	s_cbranch_execz .LBB14_1003
; %bb.1000:                             ;   in Loop: Header=BB14_17 Depth=1
	v_cmp_eq_u16_sdwa s[64:65], v8, v24 src0_sel:BYTE_0 src1_sel:DWORD
	s_mov_b64 vcc, s[58:59]
                                        ; implicit-def: $vgpr64
	s_and_saveexec_b64 s[62:63], s[64:65]
	s_cbranch_execz .LBB14_1002
; %bb.1001:                             ;   in Loop: Header=BB14_17 Depth=1
	flat_load_ubyte v14, v[14:15]
	s_movk_i32 vcc_lo, 0xff
	s_waitcnt vmcnt(0) lgkmcnt(0)
	v_lshlrev_b32_e32 v15, 23, v14
	v_cmp_ne_u32_e32 vcc, vcc_lo, v14
	v_cndmask_b32_e32 v15, v25, v15, vcc
	v_cmp_ne_u32_e32 vcc, 0, v14
	v_cndmask_b32_e32 v64, v26, v15, vcc
	s_or_b64 vcc, s[58:59], exec
.LBB14_1002:                            ;   in Loop: Header=BB14_17 Depth=1
	s_or_b64 exec, exec, s[62:63]
	s_andn2_b64 s[58:59], s[58:59], exec
	s_and_b64 vcc, vcc, exec
	s_or_b64 s[56:57], s[56:57], exec
	s_andn2_b64 s[52:53], s[52:53], exec
	s_or_b64 s[58:59], s[58:59], vcc
.LBB14_1003:                            ;   in Loop: Header=BB14_17 Depth=1
	s_or_b64 exec, exec, s[60:61]
	s_and_b64 s[56:57], s[56:57], exec
	s_and_b64 vcc, s[52:53], exec
	s_and_b64 s[58:59], s[58:59], exec
                                        ; implicit-def: $vgpr14_vgpr15
.LBB14_1004:                            ;   in Loop: Header=BB14_17 Depth=1
	s_andn2_saveexec_b64 s[50:51], s[50:51]
	s_cbranch_execz .LBB14_1008
; %bb.1005:                             ;   in Loop: Header=BB14_17 Depth=1
	v_cmp_eq_u16_sdwa s[62:63], v8, v27 src0_sel:BYTE_0 src1_sel:DWORD
	s_mov_b64 s[60:61], s[58:59]
                                        ; implicit-def: $vgpr64
	s_and_saveexec_b64 s[52:53], s[62:63]
	s_cbranch_execz .LBB14_1007
; %bb.1006:                             ;   in Loop: Header=BB14_17 Depth=1
	flat_load_dwordx2 v[14:15], v[14:15]
	s_or_b64 s[60:61], s[58:59], exec
	s_waitcnt vmcnt(0) lgkmcnt(0)
	v_ffbh_u32_e32 v64, v15
	v_min_u32_e32 v64, 32, v64
	v_lshlrev_b64 v[14:15], v64, v[14:15]
	v_min_u32_e32 v14, 1, v14
	v_or_b32_e32 v14, v15, v14
	v_cvt_f32_u32_e32 v14, v14
	v_sub_u32_e32 v15, 32, v64
	v_ldexp_f32 v64, v14, v15
.LBB14_1007:                            ;   in Loop: Header=BB14_17 Depth=1
	s_or_b64 exec, exec, s[52:53]
	s_andn2_b64 s[52:53], s[58:59], exec
	s_and_b64 s[58:59], s[60:61], exec
	s_or_b64 s[56:57], s[56:57], exec
	s_andn2_b64 vcc, vcc, exec
	s_or_b64 s[58:59], s[52:53], s[58:59]
.LBB14_1008:                            ;   in Loop: Header=BB14_17 Depth=1
	s_or_b64 exec, exec, s[50:51]
	s_and_b64 s[56:57], s[56:57], exec
	s_and_b64 s[52:53], vcc, exec
	s_and_b64 s[50:51], s[58:59], exec
                                        ; implicit-def: $vgpr14_vgpr15
.LBB14_1009:                            ;   in Loop: Header=BB14_17 Depth=1
	s_andn2_saveexec_b64 s[54:55], s[54:55]
	s_cbranch_execz .LBB14_1023
; %bb.1010:                             ;   in Loop: Header=BB14_17 Depth=1
	v_cmp_gt_i16_sdwa vcc, v8, v28 src0_sel:BYTE_0 src1_sel:DWORD
                                        ; implicit-def: $vgpr64
	s_and_saveexec_b64 s[58:59], vcc
	s_xor_b64 vcc, exec, s[58:59]
	s_cbranch_execz .LBB14_1016
; %bb.1011:                             ;   in Loop: Header=BB14_17 Depth=1
	v_cmp_gt_i16_sdwa s[58:59], v8, v29 src0_sel:BYTE_0 src1_sel:DWORD
                                        ; implicit-def: $vgpr64
	s_and_saveexec_b64 s[60:61], s[58:59]
	s_xor_b64 s[58:59], exec, s[60:61]
	s_cbranch_execz .LBB14_1013
; %bb.1012:                             ;   in Loop: Header=BB14_17 Depth=1
	flat_load_dword v14, v[14:15]
	s_waitcnt vmcnt(0) lgkmcnt(0)
	v_cvt_f32_u32_e32 v64, v14
                                        ; implicit-def: $vgpr14_vgpr15
.LBB14_1013:                            ;   in Loop: Header=BB14_17 Depth=1
	s_andn2_saveexec_b64 s[58:59], s[58:59]
	s_cbranch_execz .LBB14_1015
; %bb.1014:                             ;   in Loop: Header=BB14_17 Depth=1
	flat_load_ushort v14, v[14:15]
	s_waitcnt vmcnt(0) lgkmcnt(0)
	v_cvt_f32_u32_e32 v64, v14
.LBB14_1015:                            ;   in Loop: Header=BB14_17 Depth=1
	s_or_b64 exec, exec, s[58:59]
                                        ; implicit-def: $vgpr14_vgpr15
.LBB14_1016:                            ;   in Loop: Header=BB14_17 Depth=1
	s_andn2_saveexec_b64 s[58:59], vcc
	s_cbranch_execz .LBB14_1022
; %bb.1017:                             ;   in Loop: Header=BB14_17 Depth=1
	flat_load_ubyte v14, v[14:15]
	s_movk_i32 vcc_lo, 0x7f
	s_mov_b64 s[60:61], 0
                                        ; implicit-def: $sgpr66
	s_waitcnt vmcnt(0) lgkmcnt(0)
	v_cmp_lt_i16_e32 vcc, vcc_lo, v14
	s_and_saveexec_b64 s[62:63], vcc
	s_xor_b64 s[62:63], exec, s[62:63]
	s_cbranch_execnz .LBB14_1892
; %bb.1018:                             ;   in Loop: Header=BB14_17 Depth=1
	s_or_saveexec_b64 s[62:63], s[62:63]
	v_mov_b32_e32 v64, s66
	s_xor_b64 exec, exec, s[62:63]
	s_cbranch_execnz .LBB14_1895
.LBB14_1019:                            ;   in Loop: Header=BB14_17 Depth=1
	s_or_b64 exec, exec, s[62:63]
	s_and_saveexec_b64 s[62:63], s[60:61]
	s_cbranch_execz .LBB14_1021
.LBB14_1020:                            ;   in Loop: Header=BB14_17 Depth=1
	v_lshlrev_b32_e32 v15, 24, v14
	v_and_b32_e32 v14, 0xffff, v14
	v_and_b32_e32 v64, 7, v14
	v_ffbh_u32_e32 v67, v64
	v_min_u32_e32 v67, 32, v67
	v_subrev_u32_e32 v68, 28, v67
	v_bfe_u32 v66, v14, 3, 4
	v_lshlrev_b32_e32 v14, v68, v14
	v_sub_u32_e32 v67, 29, v67
	v_and_b32_e32 v14, 7, v14
	v_cmp_eq_u32_e32 vcc, 0, v66
	v_cndmask_b32_e32 v66, v66, v67, vcc
	v_cndmask_b32_e32 v14, v64, v14, vcc
	v_lshlrev_b32_e32 v14, 20, v14
	v_and_b32_e32 v15, 0x80000000, v15
	v_lshl_add_u32 v64, v66, 23, v30
	v_or3_b32 v64, v15, v64, v14
.LBB14_1021:                            ;   in Loop: Header=BB14_17 Depth=1
	s_or_b64 exec, exec, s[62:63]
.LBB14_1022:                            ;   in Loop: Header=BB14_17 Depth=1
	s_or_b64 exec, exec, s[58:59]
	s_andn2_b64 s[56:57], s[56:57], exec
	s_andn2_b64 s[52:53], s[52:53], exec
	s_or_b64 s[50:51], s[50:51], exec
.LBB14_1023:                            ;   in Loop: Header=BB14_17 Depth=1
	s_or_b64 exec, exec, s[54:55]
	s_and_b64 s[54:55], s[56:57], exec
	s_and_b64 s[52:53], s[52:53], exec
	s_and_b64 s[50:51], s[50:51], exec
                                        ; implicit-def: $vgpr14_vgpr15
.LBB14_1024:                            ;   in Loop: Header=BB14_17 Depth=1
	s_andn2_saveexec_b64 s[48:49], s[48:49]
	s_cbranch_execz .LBB14_1050
; %bb.1025:                             ;   in Loop: Header=BB14_17 Depth=1
	v_cmp_gt_i16_sdwa vcc, v8, v31 src0_sel:BYTE_0 src1_sel:DWORD
	s_mov_b64 s[58:59], s[50:51]
                                        ; implicit-def: $vgpr64
	s_and_saveexec_b64 s[56:57], vcc
	s_xor_b64 s[56:57], exec, s[56:57]
	s_cbranch_execz .LBB14_1039
; %bb.1026:                             ;   in Loop: Header=BB14_17 Depth=1
	v_cmp_gt_i16_sdwa vcc, v8, v32 src0_sel:BYTE_0 src1_sel:DWORD
                                        ; implicit-def: $vgpr64
	s_and_saveexec_b64 s[58:59], vcc
	s_xor_b64 s[58:59], exec, s[58:59]
	s_cbranch_execz .LBB14_1036
; %bb.1027:                             ;   in Loop: Header=BB14_17 Depth=1
	v_cmp_gt_i16_sdwa vcc, v8, v33 src0_sel:BYTE_0 src1_sel:DWORD
                                        ; implicit-def: $vgpr64
	s_and_saveexec_b64 s[60:61], vcc
	s_xor_b64 s[60:61], exec, s[60:61]
	s_cbranch_execz .LBB14_1033
; %bb.1028:                             ;   in Loop: Header=BB14_17 Depth=1
	flat_load_ubyte v14, v[14:15]
	s_movk_i32 vcc_lo, 0x7f
	s_mov_b64 s[62:63], 0
                                        ; implicit-def: $sgpr68
	s_waitcnt vmcnt(0) lgkmcnt(0)
	v_cmp_lt_i16_e32 vcc, vcc_lo, v14
	s_and_saveexec_b64 s[64:65], vcc
	s_xor_b64 s[64:65], exec, s[64:65]
	s_cbranch_execnz .LBB14_2111
; %bb.1029:                             ;   in Loop: Header=BB14_17 Depth=1
	s_or_saveexec_b64 s[64:65], s[64:65]
	v_mov_b32_e32 v64, s68
	s_xor_b64 exec, exec, s[64:65]
	s_cbranch_execnz .LBB14_2114
.LBB14_1030:                            ;   in Loop: Header=BB14_17 Depth=1
	s_or_b64 exec, exec, s[64:65]
	s_and_saveexec_b64 s[64:65], s[62:63]
	s_cbranch_execz .LBB14_1032
.LBB14_1031:                            ;   in Loop: Header=BB14_17 Depth=1
	v_lshlrev_b32_e32 v15, 24, v14
	v_and_b32_e32 v14, 0xffff, v14
	v_and_b32_e32 v64, 3, v14
	v_ffbh_u32_e32 v67, v64
	v_min_u32_e32 v67, 32, v67
	v_subrev_u32_e32 v68, 29, v67
	v_bfe_u32 v66, v14, 2, 5
	v_lshlrev_b32_e32 v14, v68, v14
	v_sub_u32_e32 v67, 30, v67
	v_and_b32_e32 v14, 3, v14
	v_cmp_eq_u32_e32 vcc, 0, v66
	v_cndmask_b32_e32 v66, v66, v67, vcc
	v_cndmask_b32_e32 v14, v64, v14, vcc
	v_lshlrev_b32_e32 v14, 21, v14
	v_and_b32_e32 v15, 0x80000000, v15
	v_lshl_add_u32 v64, v66, 23, v34
	v_or3_b32 v64, v15, v64, v14
.LBB14_1032:                            ;   in Loop: Header=BB14_17 Depth=1
	s_or_b64 exec, exec, s[64:65]
                                        ; implicit-def: $vgpr14_vgpr15
.LBB14_1033:                            ;   in Loop: Header=BB14_17 Depth=1
	s_andn2_saveexec_b64 s[60:61], s[60:61]
	s_cbranch_execz .LBB14_1035
; %bb.1034:                             ;   in Loop: Header=BB14_17 Depth=1
	flat_load_ubyte v14, v[14:15]
	s_mov_b32 vcc_lo, 0x7f800000
	s_waitcnt vmcnt(0) lgkmcnt(0)
	v_lshlrev_b32_e32 v14, 24, v14
	v_and_b32_e32 v15, 0x7f000000, v14
	v_ffbh_u32_e32 v64, v15
	v_min_u32_e32 v64, 32, v64
	v_sub_u32_e64 v64, v64, 4 clamp
	v_lshlrev_b32_e32 v67, v64, v15
	v_lshlrev_b32_e32 v64, 23, v64
	v_lshrrev_b32_e32 v67, 4, v67
	v_add_u32_e32 v66, 0x1000000, v15
	v_sub_u32_e32 v64, v67, v64
	v_ashrrev_i32_e32 v66, 8, v66
	v_add_u32_e32 v64, 0x3c000000, v64
	v_and_or_b32 v64, v66, vcc_lo, v64
	v_cmp_ne_u32_e32 vcc, 0, v15
	v_cndmask_b32_e32 v15, 0, v64, vcc
	s_brev_b32 vcc_lo, 1
	v_and_or_b32 v64, v14, vcc_lo, v15
.LBB14_1035:                            ;   in Loop: Header=BB14_17 Depth=1
	s_or_b64 exec, exec, s[60:61]
                                        ; implicit-def: $vgpr14_vgpr15
.LBB14_1036:                            ;   in Loop: Header=BB14_17 Depth=1
	s_andn2_saveexec_b64 s[58:59], s[58:59]
	s_cbranch_execz .LBB14_1038
; %bb.1037:                             ;   in Loop: Header=BB14_17 Depth=1
	flat_load_ubyte v14, v[14:15]
	s_movk_i32 vcc_lo, 0x7f00
	s_waitcnt vmcnt(0) lgkmcnt(0)
	v_lshlrev_b16_e32 v15, 8, v14
	v_lshlrev_b32_e32 v14, 25, v14
	v_lshrrev_b32_e32 v64, 4, v14
	v_and_or_b32 v66, v15, vcc_lo, 0.5
	v_or_b32_e32 v64, 0x70000000, v64
	s_brev_b32 vcc_lo, 16
	v_add_f32_e32 v66, -0.5, v66
	v_mul_f32_e32 v64, 0x7800000, v64
	v_cmp_gt_u32_e32 vcc, vcc_lo, v14
	v_cndmask_b32_e32 v14, v64, v66, vcc
	v_bfe_i32 v15, v15, 0, 16
	s_brev_b32 vcc_lo, 1
	v_and_or_b32 v64, v15, vcc_lo, v14
.LBB14_1038:                            ;   in Loop: Header=BB14_17 Depth=1
	s_or_b64 exec, exec, s[58:59]
	s_or_b64 s[58:59], s[50:51], exec
                                        ; implicit-def: $vgpr14_vgpr15
.LBB14_1039:                            ;   in Loop: Header=BB14_17 Depth=1
	s_or_saveexec_b64 s[56:57], s[56:57]
                                        ; implicit-def: $vcc
                                        ; implicit-def: $sgpr64_sgpr65
	s_xor_b64 exec, exec, s[56:57]
	s_cbranch_execz .LBB14_1049
; %bb.1040:                             ;   in Loop: Header=BB14_17 Depth=1
	v_cmp_gt_i16_sdwa vcc, v8, v35 src0_sel:BYTE_0 src1_sel:DWORD
	s_mov_b64 s[62:63], s[58:59]
                                        ; implicit-def: $sgpr64_sgpr65
                                        ; implicit-def: $sgpr60_sgpr61
                                        ; implicit-def: $vgpr64
	s_and_saveexec_b64 s[66:67], vcc
	s_xor_b64 vcc, exec, s[66:67]
	s_cbranch_execz .LBB14_1044
; %bb.1041:                             ;   in Loop: Header=BB14_17 Depth=1
	v_cmp_eq_u16_sdwa s[64:65], v8, v36 src0_sel:BYTE_0 src1_sel:DWORD
	s_mov_b64 s[62:63], s[58:59]
                                        ; implicit-def: $vgpr64
	s_and_saveexec_b64 s[60:61], s[64:65]
	s_cbranch_execz .LBB14_1043
; %bb.1042:                             ;   in Loop: Header=BB14_17 Depth=1
	flat_load_ushort v14, v[14:15]
	s_or_b64 s[62:63], s[58:59], exec
	s_waitcnt vmcnt(0) lgkmcnt(0)
	v_lshlrev_b32_e32 v64, 16, v14
.LBB14_1043:                            ;   in Loop: Header=BB14_17 Depth=1
	s_or_b64 exec, exec, s[60:61]
	s_andn2_b64 s[66:67], s[58:59], exec
	s_and_b64 s[62:63], s[62:63], exec
	s_mov_b64 s[60:61], 0
	s_mov_b64 s[64:65], -1
	s_or_b64 s[62:63], s[66:67], s[62:63]
                                        ; implicit-def: $vgpr14_vgpr15
.LBB14_1044:                            ;   in Loop: Header=BB14_17 Depth=1
	s_andn2_saveexec_b64 s[66:67], vcc
	s_cbranch_execz .LBB14_1048
; %bb.1045:                             ;   in Loop: Header=BB14_17 Depth=1
	v_cmp_eq_u16_sdwa s[70:71], v8, v37 src0_sel:BYTE_0 src1_sel:DWORD
	s_mov_b64 vcc, s[62:63]
                                        ; implicit-def: $vgpr64
	s_and_saveexec_b64 s[68:69], s[70:71]
	s_cbranch_execz .LBB14_1047
; %bb.1046:                             ;   in Loop: Header=BB14_17 Depth=1
	flat_load_ubyte v14, v[14:15]
	s_waitcnt vmcnt(0) lgkmcnt(0)
	v_cmp_ne_u16_e32 vcc, 0, v14
	v_cndmask_b32_e64 v64, 0, 1.0, vcc
	s_or_b64 vcc, s[62:63], exec
.LBB14_1047:                            ;   in Loop: Header=BB14_17 Depth=1
	s_or_b64 exec, exec, s[68:69]
	s_andn2_b64 s[62:63], s[62:63], exec
	s_and_b64 vcc, vcc, exec
	s_or_b64 s[64:65], s[64:65], exec
	s_andn2_b64 s[60:61], s[60:61], exec
	s_or_b64 s[62:63], s[62:63], vcc
.LBB14_1048:                            ;   in Loop: Header=BB14_17 Depth=1
	s_or_b64 exec, exec, s[66:67]
	s_and_b64 vcc, s[60:61], exec
	s_andn2_b64 s[58:59], s[58:59], exec
	s_and_b64 s[60:61], s[62:63], exec
	s_and_b64 s[64:65], s[64:65], exec
	s_or_b64 s[58:59], s[58:59], s[60:61]
.LBB14_1049:                            ;   in Loop: Header=BB14_17 Depth=1
	s_or_b64 exec, exec, s[56:57]
	s_andn2_b64 s[52:53], s[52:53], exec
	s_and_b64 vcc, vcc, exec
	s_andn2_b64 s[54:55], s[54:55], exec
	s_and_b64 s[56:57], s[64:65], exec
	s_or_b64 s[52:53], s[52:53], vcc
	s_andn2_b64 vcc, s[50:51], exec
	s_and_b64 s[50:51], s[58:59], exec
	s_or_b64 s[54:55], s[54:55], s[56:57]
	s_or_b64 s[50:51], vcc, s[50:51]
.LBB14_1050:                            ;   in Loop: Header=BB14_17 Depth=1
	s_or_b64 exec, exec, s[48:49]
	s_and_b64 s[48:49], s[54:55], exec
	s_and_b64 vcc, s[52:53], exec
	s_and_b64 s[50:51], s[50:51], exec
                                        ; implicit-def: $vgpr14_vgpr15
	s_andn2_saveexec_b64 s[46:47], s[46:47]
	s_cbranch_execz .LBB14_971
.LBB14_1051:                            ;   in Loop: Header=BB14_17 Depth=1
	v_cmp_gt_i16_sdwa s[52:53], v8, v38 src0_sel:BYTE_0 src1_sel:DWORD
                                        ; implicit-def: $vgpr64
	s_and_saveexec_b64 s[54:55], s[52:53]
	s_xor_b64 s[52:53], exec, s[54:55]
	s_cbranch_execz .LBB14_1073
; %bb.1052:                             ;   in Loop: Header=BB14_17 Depth=1
	v_cmp_gt_i16_sdwa s[54:55], v8, v39 src0_sel:BYTE_0 src1_sel:DWORD
                                        ; implicit-def: $vgpr64
	s_and_saveexec_b64 s[56:57], s[54:55]
	s_xor_b64 s[54:55], exec, s[56:57]
	s_cbranch_execz .LBB14_1062
; %bb.1053:                             ;   in Loop: Header=BB14_17 Depth=1
	v_cmp_gt_i16_sdwa s[56:57], v8, v48 src0_sel:BYTE_0 src1_sel:DWORD
                                        ; implicit-def: $vgpr64
	s_and_saveexec_b64 s[58:59], s[56:57]
	s_xor_b64 s[56:57], exec, s[58:59]
	s_cbranch_execz .LBB14_1059
; %bb.1054:                             ;   in Loop: Header=BB14_17 Depth=1
	v_cmp_gt_i16_sdwa s[58:59], v8, v49 src0_sel:BYTE_0 src1_sel:DWORD
                                        ; implicit-def: $vgpr64
	s_and_saveexec_b64 s[60:61], s[58:59]
	s_xor_b64 s[58:59], exec, s[60:61]
	s_cbranch_execz .LBB14_1056
; %bb.1055:                             ;   in Loop: Header=BB14_17 Depth=1
	flat_load_dwordx2 v[14:15], v[14:15]
	s_waitcnt vmcnt(0) lgkmcnt(0)
	v_cvt_f32_f64_e32 v64, v[14:15]
                                        ; implicit-def: $vgpr14_vgpr15
.LBB14_1056:                            ;   in Loop: Header=BB14_17 Depth=1
	s_andn2_saveexec_b64 s[58:59], s[58:59]
	s_cbranch_execz .LBB14_1058
; %bb.1057:                             ;   in Loop: Header=BB14_17 Depth=1
	flat_load_dword v64, v[14:15]
.LBB14_1058:                            ;   in Loop: Header=BB14_17 Depth=1
	s_or_b64 exec, exec, s[58:59]
                                        ; implicit-def: $vgpr14_vgpr15
.LBB14_1059:                            ;   in Loop: Header=BB14_17 Depth=1
	s_andn2_saveexec_b64 s[56:57], s[56:57]
	s_cbranch_execz .LBB14_1061
; %bb.1060:                             ;   in Loop: Header=BB14_17 Depth=1
	flat_load_dword v14, v[14:15]
	s_waitcnt vmcnt(0) lgkmcnt(0)
	v_cvt_f32_f16_e32 v64, v14
.LBB14_1061:                            ;   in Loop: Header=BB14_17 Depth=1
	s_or_b64 exec, exec, s[56:57]
                                        ; implicit-def: $vgpr14_vgpr15
.LBB14_1062:                            ;   in Loop: Header=BB14_17 Depth=1
	s_andn2_saveexec_b64 s[54:55], s[54:55]
	s_cbranch_execz .LBB14_1072
; %bb.1063:                             ;   in Loop: Header=BB14_17 Depth=1
	v_cmp_gt_i16_sdwa s[56:57], v8, v50 src0_sel:BYTE_0 src1_sel:DWORD
                                        ; implicit-def: $vgpr64
	s_and_saveexec_b64 s[58:59], s[56:57]
	s_xor_b64 s[56:57], exec, s[58:59]
	s_cbranch_execz .LBB14_1069
; %bb.1064:                             ;   in Loop: Header=BB14_17 Depth=1
	v_cmp_gt_i16_sdwa s[58:59], v8, v51 src0_sel:BYTE_0 src1_sel:DWORD
                                        ; implicit-def: $vgpr64
	s_and_saveexec_b64 s[60:61], s[58:59]
	s_xor_b64 s[58:59], exec, s[60:61]
	s_cbranch_execz .LBB14_1066
; %bb.1065:                             ;   in Loop: Header=BB14_17 Depth=1
	flat_load_dwordx2 v[14:15], v[14:15]
	s_waitcnt vmcnt(0) lgkmcnt(0)
	v_cvt_f32_f64_e32 v64, v[14:15]
                                        ; implicit-def: $vgpr14_vgpr15
.LBB14_1066:                            ;   in Loop: Header=BB14_17 Depth=1
	s_andn2_saveexec_b64 s[58:59], s[58:59]
	s_cbranch_execz .LBB14_1068
; %bb.1067:                             ;   in Loop: Header=BB14_17 Depth=1
	s_waitcnt vmcnt(0) lgkmcnt(0)
	flat_load_dword v64, v[14:15]
.LBB14_1068:                            ;   in Loop: Header=BB14_17 Depth=1
	s_or_b64 exec, exec, s[58:59]
                                        ; implicit-def: $vgpr14_vgpr15
.LBB14_1069:                            ;   in Loop: Header=BB14_17 Depth=1
	s_andn2_saveexec_b64 s[56:57], s[56:57]
	s_cbranch_execz .LBB14_1071
; %bb.1070:                             ;   in Loop: Header=BB14_17 Depth=1
	flat_load_ushort v14, v[14:15]
	s_waitcnt vmcnt(0) lgkmcnt(0)
	v_cvt_f32_f16_e32 v64, v14
.LBB14_1071:                            ;   in Loop: Header=BB14_17 Depth=1
	s_or_b64 exec, exec, s[56:57]
.LBB14_1072:                            ;   in Loop: Header=BB14_17 Depth=1
	s_or_b64 exec, exec, s[54:55]
                                        ; implicit-def: $vgpr14_vgpr15
.LBB14_1073:                            ;   in Loop: Header=BB14_17 Depth=1
	s_andn2_saveexec_b64 s[52:53], s[52:53]
	s_cbranch_execz .LBB14_1091
; %bb.1074:                             ;   in Loop: Header=BB14_17 Depth=1
	v_cmp_gt_i16_sdwa s[54:55], v8, v52 src0_sel:BYTE_0 src1_sel:DWORD
                                        ; implicit-def: $vgpr64
	s_and_saveexec_b64 s[56:57], s[54:55]
	s_xor_b64 s[54:55], exec, s[56:57]
	s_cbranch_execz .LBB14_1084
; %bb.1075:                             ;   in Loop: Header=BB14_17 Depth=1
	v_cmp_gt_i16_sdwa s[56:57], v8, v53 src0_sel:BYTE_0 src1_sel:DWORD
                                        ; implicit-def: $vgpr64
	s_and_saveexec_b64 s[58:59], s[56:57]
	s_xor_b64 s[56:57], exec, s[58:59]
	;; [unrolled: 6-line block ×3, first 2 shown]
	s_cbranch_execz .LBB14_1078
; %bb.1077:                             ;   in Loop: Header=BB14_17 Depth=1
	flat_load_dwordx2 v[14:15], v[14:15]
	s_waitcnt vmcnt(0) lgkmcnt(0)
	v_xor_b32_e32 v66, v14, v15
	v_ffbh_i32_e32 v64, v15
	v_ashrrev_i32_e32 v66, 31, v66
	v_add_u32_e32 v64, -1, v64
	v_add_u32_e32 v66, 32, v66
	v_min_u32_e32 v64, v64, v66
	v_lshlrev_b64 v[14:15], v64, v[14:15]
	v_min_u32_e32 v14, 1, v14
	v_or_b32_e32 v14, v15, v14
	v_cvt_f32_i32_e32 v14, v14
	v_sub_u32_e32 v15, 32, v64
	v_ldexp_f32 v64, v14, v15
                                        ; implicit-def: $vgpr14_vgpr15
.LBB14_1078:                            ;   in Loop: Header=BB14_17 Depth=1
	s_andn2_saveexec_b64 s[58:59], s[58:59]
	s_cbranch_execz .LBB14_1080
; %bb.1079:                             ;   in Loop: Header=BB14_17 Depth=1
	flat_load_dword v14, v[14:15]
	s_waitcnt vmcnt(0) lgkmcnt(0)
	v_cvt_f32_i32_e32 v64, v14
.LBB14_1080:                            ;   in Loop: Header=BB14_17 Depth=1
	s_or_b64 exec, exec, s[58:59]
                                        ; implicit-def: $vgpr14_vgpr15
.LBB14_1081:                            ;   in Loop: Header=BB14_17 Depth=1
	s_andn2_saveexec_b64 s[56:57], s[56:57]
	s_cbranch_execz .LBB14_1083
; %bb.1082:                             ;   in Loop: Header=BB14_17 Depth=1
	flat_load_sshort v14, v[14:15]
	s_waitcnt vmcnt(0) lgkmcnt(0)
	v_cvt_f32_i32_e32 v64, v14
.LBB14_1083:                            ;   in Loop: Header=BB14_17 Depth=1
	s_or_b64 exec, exec, s[56:57]
                                        ; implicit-def: $vgpr14_vgpr15
.LBB14_1084:                            ;   in Loop: Header=BB14_17 Depth=1
	s_andn2_saveexec_b64 s[54:55], s[54:55]
	s_cbranch_execz .LBB14_1090
; %bb.1085:                             ;   in Loop: Header=BB14_17 Depth=1
	v_cmp_gt_i16_sdwa s[56:57], v8, v16 src0_sel:BYTE_0 src1_sel:DWORD
                                        ; implicit-def: $vgpr64
	s_and_saveexec_b64 s[58:59], s[56:57]
	s_xor_b64 s[56:57], exec, s[58:59]
	s_cbranch_execz .LBB14_1087
; %bb.1086:                             ;   in Loop: Header=BB14_17 Depth=1
	flat_load_sbyte v14, v[14:15]
	s_waitcnt vmcnt(0) lgkmcnt(0)
	v_cvt_f32_i32_e32 v64, v14
                                        ; implicit-def: $vgpr14_vgpr15
.LBB14_1087:                            ;   in Loop: Header=BB14_17 Depth=1
	s_andn2_saveexec_b64 s[56:57], s[56:57]
	s_cbranch_execz .LBB14_1089
; %bb.1088:                             ;   in Loop: Header=BB14_17 Depth=1
	flat_load_ubyte v14, v[14:15]
	s_waitcnt vmcnt(0) lgkmcnt(0)
	v_cvt_f32_ubyte0_e32 v64, v14
.LBB14_1089:                            ;   in Loop: Header=BB14_17 Depth=1
	s_or_b64 exec, exec, s[56:57]
.LBB14_1090:                            ;   in Loop: Header=BB14_17 Depth=1
	s_or_b64 exec, exec, s[54:55]
.LBB14_1091:                            ;   in Loop: Header=BB14_17 Depth=1
	s_or_b64 exec, exec, s[52:53]
	s_andn2_b64 s[48:49], s[48:49], exec
	s_andn2_b64 vcc, vcc, exec
	s_or_b64 s[50:51], s[50:51], exec
	s_or_b64 exec, exec, s[46:47]
	s_mov_b64 s[46:47], 0
	s_and_saveexec_b64 s[52:53], s[50:51]
	s_cbranch_execnz .LBB14_972
	s_branch .LBB14_973
.LBB14_1092:                            ;   in Loop: Header=BB14_17 Depth=1
	v_cmp_gt_i16_sdwa vcc, v7, v19 src0_sel:BYTE_0 src1_sel:DWORD
	s_mov_b64 s[52:53], 0
                                        ; implicit-def: $sgpr54_sgpr55
                                        ; implicit-def: $sgpr44_sgpr45
                                        ; implicit-def: $vgpr66
	s_and_saveexec_b64 s[42:43], vcc
	s_xor_b64 s[42:43], exec, s[42:43]
	s_cbranch_execz .LBB14_1124
; %bb.1093:                             ;   in Loop: Header=BB14_17 Depth=1
	v_cmp_gt_i16_sdwa vcc, v7, v20 src0_sel:BYTE_0 src1_sel:DWORD
                                        ; implicit-def: $sgpr54_sgpr55
                                        ; implicit-def: $sgpr56_sgpr57
                                        ; implicit-def: $vgpr66
	s_and_saveexec_b64 s[44:45], vcc
	s_xor_b64 s[44:45], exec, s[44:45]
	s_cbranch_execz .LBB14_1109
; %bb.1094:                             ;   in Loop: Header=BB14_17 Depth=1
	v_cmp_gt_i16_sdwa s[52:53], v7, v21 src0_sel:BYTE_0 src1_sel:DWORD
	s_mov_b64 s[58:59], 0
                                        ; implicit-def: $vcc
                                        ; implicit-def: $sgpr54_sgpr55
                                        ; implicit-def: $vgpr66
	s_and_saveexec_b64 s[56:57], s[52:53]
	s_xor_b64 s[52:53], exec, s[56:57]
	s_cbranch_execz .LBB14_1104
; %bb.1095:                             ;   in Loop: Header=BB14_17 Depth=1
	v_cmp_gt_i16_sdwa vcc, v7, v22 src0_sel:BYTE_0 src1_sel:DWORD
	s_mov_b64 s[56:57], 0
                                        ; implicit-def: $sgpr54_sgpr55
                                        ; implicit-def: $sgpr58_sgpr59
                                        ; implicit-def: $vgpr66
	s_and_saveexec_b64 s[60:61], vcc
	s_xor_b64 vcc, exec, s[60:61]
	s_cbranch_execz .LBB14_1099
; %bb.1096:                             ;   in Loop: Header=BB14_17 Depth=1
	v_cmp_eq_u16_sdwa s[60:61], v7, v23 src0_sel:BYTE_0 src1_sel:DWORD
	s_mov_b64 s[54:55], 0
                                        ; implicit-def: $vgpr66
	s_and_saveexec_b64 s[58:59], s[60:61]
	s_cbranch_execz .LBB14_1098
; %bb.1097:                             ;   in Loop: Header=BB14_17 Depth=1
	flat_load_dword v14, v[14:15]
	s_mov_b64 s[56:57], exec
	s_waitcnt vmcnt(0) lgkmcnt(0)
	v_lshlrev_b32_e32 v66, 16, v14
.LBB14_1098:                            ;   in Loop: Header=BB14_17 Depth=1
	s_or_b64 exec, exec, s[58:59]
	s_mov_b64 s[58:59], -1
	s_and_b64 s[56:57], s[56:57], exec
                                        ; implicit-def: $vgpr14_vgpr15
.LBB14_1099:                            ;   in Loop: Header=BB14_17 Depth=1
	s_andn2_saveexec_b64 s[60:61], vcc
	s_cbranch_execz .LBB14_1103
; %bb.1100:                             ;   in Loop: Header=BB14_17 Depth=1
	v_cmp_eq_u16_sdwa s[64:65], v7, v24 src0_sel:BYTE_0 src1_sel:DWORD
	s_mov_b64 vcc, s[56:57]
                                        ; implicit-def: $vgpr66
	s_and_saveexec_b64 s[62:63], s[64:65]
	s_cbranch_execz .LBB14_1102
; %bb.1101:                             ;   in Loop: Header=BB14_17 Depth=1
	flat_load_ubyte v14, v[14:15]
	s_movk_i32 vcc_lo, 0xff
	s_waitcnt vmcnt(0) lgkmcnt(0)
	v_lshlrev_b32_e32 v15, 23, v14
	v_cmp_ne_u32_e32 vcc, vcc_lo, v14
	v_cndmask_b32_e32 v15, v25, v15, vcc
	v_cmp_ne_u32_e32 vcc, 0, v14
	v_cndmask_b32_e32 v66, v26, v15, vcc
	s_or_b64 vcc, s[56:57], exec
.LBB14_1102:                            ;   in Loop: Header=BB14_17 Depth=1
	s_or_b64 exec, exec, s[62:63]
	s_andn2_b64 s[56:57], s[56:57], exec
	s_and_b64 vcc, vcc, exec
	s_andn2_b64 s[54:55], s[54:55], exec
	s_or_b64 s[58:59], s[58:59], exec
	s_or_b64 s[56:57], s[56:57], vcc
.LBB14_1103:                            ;   in Loop: Header=BB14_17 Depth=1
	s_or_b64 exec, exec, s[60:61]
	s_and_b64 s[54:55], s[54:55], exec
	s_and_b64 vcc, s[58:59], exec
	s_and_b64 s[58:59], s[56:57], exec
                                        ; implicit-def: $vgpr14_vgpr15
.LBB14_1104:                            ;   in Loop: Header=BB14_17 Depth=1
	s_andn2_saveexec_b64 s[52:53], s[52:53]
	s_cbranch_execz .LBB14_1108
; %bb.1105:                             ;   in Loop: Header=BB14_17 Depth=1
	v_cmp_eq_u16_sdwa s[62:63], v7, v27 src0_sel:BYTE_0 src1_sel:DWORD
	s_mov_b64 s[60:61], s[58:59]
                                        ; implicit-def: $vgpr66
	s_and_saveexec_b64 s[56:57], s[62:63]
	s_cbranch_execz .LBB14_1107
; %bb.1106:                             ;   in Loop: Header=BB14_17 Depth=1
	flat_load_dwordx2 v[14:15], v[14:15]
	s_or_b64 s[60:61], s[58:59], exec
	s_waitcnt vmcnt(0) lgkmcnt(0)
	v_ffbh_u32_e32 v65, v15
	v_min_u32_e32 v65, 32, v65
	v_lshlrev_b64 v[14:15], v65, v[14:15]
	v_min_u32_e32 v14, 1, v14
	v_or_b32_e32 v14, v15, v14
	v_cvt_f32_u32_e32 v14, v14
	v_sub_u32_e32 v15, 32, v65
	v_ldexp_f32 v66, v14, v15
.LBB14_1107:                            ;   in Loop: Header=BB14_17 Depth=1
	s_or_b64 exec, exec, s[56:57]
	s_andn2_b64 s[56:57], s[58:59], exec
	s_and_b64 s[58:59], s[60:61], exec
	s_andn2_b64 s[54:55], s[54:55], exec
	s_or_b64 vcc, vcc, exec
	s_or_b64 s[58:59], s[56:57], s[58:59]
.LBB14_1108:                            ;   in Loop: Header=BB14_17 Depth=1
	s_or_b64 exec, exec, s[52:53]
	s_and_b64 s[56:57], s[54:55], exec
	s_and_b64 s[54:55], vcc, exec
	s_and_b64 s[52:53], s[58:59], exec
                                        ; implicit-def: $vgpr14_vgpr15
.LBB14_1109:                            ;   in Loop: Header=BB14_17 Depth=1
	s_andn2_saveexec_b64 s[44:45], s[44:45]
	s_cbranch_execz .LBB14_1123
; %bb.1110:                             ;   in Loop: Header=BB14_17 Depth=1
	v_cmp_gt_i16_sdwa vcc, v7, v28 src0_sel:BYTE_0 src1_sel:DWORD
                                        ; implicit-def: $vgpr66
	s_and_saveexec_b64 s[58:59], vcc
	s_xor_b64 vcc, exec, s[58:59]
	s_cbranch_execz .LBB14_1116
; %bb.1111:                             ;   in Loop: Header=BB14_17 Depth=1
	v_cmp_gt_i16_sdwa s[58:59], v7, v29 src0_sel:BYTE_0 src1_sel:DWORD
                                        ; implicit-def: $vgpr66
	s_and_saveexec_b64 s[60:61], s[58:59]
	s_xor_b64 s[58:59], exec, s[60:61]
	s_cbranch_execz .LBB14_1113
; %bb.1112:                             ;   in Loop: Header=BB14_17 Depth=1
	flat_load_dword v14, v[14:15]
	s_waitcnt vmcnt(0) lgkmcnt(0)
	v_cvt_f32_u32_e32 v66, v14
                                        ; implicit-def: $vgpr14_vgpr15
.LBB14_1113:                            ;   in Loop: Header=BB14_17 Depth=1
	s_andn2_saveexec_b64 s[58:59], s[58:59]
	s_cbranch_execz .LBB14_1115
; %bb.1114:                             ;   in Loop: Header=BB14_17 Depth=1
	flat_load_ushort v14, v[14:15]
	s_waitcnt vmcnt(0) lgkmcnt(0)
	v_cvt_f32_u32_e32 v66, v14
.LBB14_1115:                            ;   in Loop: Header=BB14_17 Depth=1
	s_or_b64 exec, exec, s[58:59]
                                        ; implicit-def: $vgpr14_vgpr15
.LBB14_1116:                            ;   in Loop: Header=BB14_17 Depth=1
	s_andn2_saveexec_b64 s[58:59], vcc
	s_cbranch_execz .LBB14_1122
; %bb.1117:                             ;   in Loop: Header=BB14_17 Depth=1
	flat_load_ubyte v14, v[14:15]
	s_movk_i32 vcc_lo, 0x7f
	s_mov_b64 s[60:61], 0
                                        ; implicit-def: $sgpr66
	s_waitcnt vmcnt(0) lgkmcnt(0)
	v_cmp_lt_i16_e32 vcc, vcc_lo, v14
	s_and_saveexec_b64 s[62:63], vcc
	s_xor_b64 s[62:63], exec, s[62:63]
	s_cbranch_execnz .LBB14_1896
; %bb.1118:                             ;   in Loop: Header=BB14_17 Depth=1
	s_or_saveexec_b64 s[62:63], s[62:63]
	v_mov_b32_e32 v66, s66
	s_xor_b64 exec, exec, s[62:63]
	s_cbranch_execnz .LBB14_1899
.LBB14_1119:                            ;   in Loop: Header=BB14_17 Depth=1
	s_or_b64 exec, exec, s[62:63]
	s_and_saveexec_b64 s[62:63], s[60:61]
	s_cbranch_execz .LBB14_1121
.LBB14_1120:                            ;   in Loop: Header=BB14_17 Depth=1
	v_lshlrev_b32_e32 v15, 24, v14
	v_and_b32_e32 v14, 0xffff, v14
	v_and_b32_e32 v65, 7, v14
	v_ffbh_u32_e32 v67, v65
	v_min_u32_e32 v67, 32, v67
	v_subrev_u32_e32 v68, 28, v67
	v_bfe_u32 v66, v14, 3, 4
	v_lshlrev_b32_e32 v14, v68, v14
	v_sub_u32_e32 v67, 29, v67
	v_and_b32_e32 v14, 7, v14
	v_cmp_eq_u32_e32 vcc, 0, v66
	v_cndmask_b32_e32 v66, v66, v67, vcc
	v_cndmask_b32_e32 v14, v65, v14, vcc
	v_lshlrev_b32_e32 v14, 20, v14
	v_and_b32_e32 v15, 0x80000000, v15
	v_lshl_add_u32 v65, v66, 23, v30
	v_or3_b32 v66, v15, v65, v14
.LBB14_1121:                            ;   in Loop: Header=BB14_17 Depth=1
	s_or_b64 exec, exec, s[62:63]
.LBB14_1122:                            ;   in Loop: Header=BB14_17 Depth=1
	s_or_b64 exec, exec, s[58:59]
	s_andn2_b64 s[56:57], s[56:57], exec
	s_andn2_b64 s[54:55], s[54:55], exec
	s_or_b64 s[52:53], s[52:53], exec
.LBB14_1123:                            ;   in Loop: Header=BB14_17 Depth=1
	s_or_b64 exec, exec, s[44:45]
	s_and_b64 s[44:45], s[56:57], exec
	s_and_b64 s[54:55], s[54:55], exec
	;; [unrolled: 1-line block ×3, first 2 shown]
                                        ; implicit-def: $vgpr14_vgpr15
.LBB14_1124:                            ;   in Loop: Header=BB14_17 Depth=1
	s_andn2_saveexec_b64 s[42:43], s[42:43]
	s_cbranch_execz .LBB14_1150
; %bb.1125:                             ;   in Loop: Header=BB14_17 Depth=1
	v_cmp_gt_i16_sdwa vcc, v7, v31 src0_sel:BYTE_0 src1_sel:DWORD
	s_mov_b64 s[58:59], s[52:53]
                                        ; implicit-def: $vgpr66
	s_and_saveexec_b64 s[56:57], vcc
	s_xor_b64 s[56:57], exec, s[56:57]
	s_cbranch_execz .LBB14_1139
; %bb.1126:                             ;   in Loop: Header=BB14_17 Depth=1
	v_cmp_gt_i16_sdwa vcc, v7, v32 src0_sel:BYTE_0 src1_sel:DWORD
                                        ; implicit-def: $vgpr66
	s_and_saveexec_b64 s[58:59], vcc
	s_xor_b64 s[58:59], exec, s[58:59]
	s_cbranch_execz .LBB14_1136
; %bb.1127:                             ;   in Loop: Header=BB14_17 Depth=1
	v_cmp_gt_i16_sdwa vcc, v7, v33 src0_sel:BYTE_0 src1_sel:DWORD
                                        ; implicit-def: $vgpr66
	s_and_saveexec_b64 s[60:61], vcc
	s_xor_b64 s[60:61], exec, s[60:61]
	s_cbranch_execz .LBB14_1133
; %bb.1128:                             ;   in Loop: Header=BB14_17 Depth=1
	flat_load_ubyte v14, v[14:15]
	s_movk_i32 vcc_lo, 0x7f
	s_mov_b64 s[62:63], 0
                                        ; implicit-def: $sgpr68
	s_waitcnt vmcnt(0) lgkmcnt(0)
	v_cmp_lt_i16_e32 vcc, vcc_lo, v14
	s_and_saveexec_b64 s[64:65], vcc
	s_xor_b64 s[64:65], exec, s[64:65]
	s_cbranch_execnz .LBB14_2115
; %bb.1129:                             ;   in Loop: Header=BB14_17 Depth=1
	s_or_saveexec_b64 s[64:65], s[64:65]
	v_mov_b32_e32 v66, s68
	s_xor_b64 exec, exec, s[64:65]
	s_cbranch_execnz .LBB14_2118
.LBB14_1130:                            ;   in Loop: Header=BB14_17 Depth=1
	s_or_b64 exec, exec, s[64:65]
	s_and_saveexec_b64 s[64:65], s[62:63]
	s_cbranch_execz .LBB14_1132
.LBB14_1131:                            ;   in Loop: Header=BB14_17 Depth=1
	v_lshlrev_b32_e32 v15, 24, v14
	v_and_b32_e32 v14, 0xffff, v14
	v_and_b32_e32 v65, 3, v14
	v_ffbh_u32_e32 v67, v65
	v_min_u32_e32 v67, 32, v67
	v_subrev_u32_e32 v68, 29, v67
	v_bfe_u32 v66, v14, 2, 5
	v_lshlrev_b32_e32 v14, v68, v14
	v_sub_u32_e32 v67, 30, v67
	v_and_b32_e32 v14, 3, v14
	v_cmp_eq_u32_e32 vcc, 0, v66
	v_cndmask_b32_e32 v66, v66, v67, vcc
	v_cndmask_b32_e32 v14, v65, v14, vcc
	v_lshlrev_b32_e32 v14, 21, v14
	v_and_b32_e32 v15, 0x80000000, v15
	v_lshl_add_u32 v65, v66, 23, v34
	v_or3_b32 v66, v15, v65, v14
.LBB14_1132:                            ;   in Loop: Header=BB14_17 Depth=1
	s_or_b64 exec, exec, s[64:65]
                                        ; implicit-def: $vgpr14_vgpr15
.LBB14_1133:                            ;   in Loop: Header=BB14_17 Depth=1
	s_andn2_saveexec_b64 s[60:61], s[60:61]
	s_cbranch_execz .LBB14_1135
; %bb.1134:                             ;   in Loop: Header=BB14_17 Depth=1
	flat_load_ubyte v14, v[14:15]
	s_mov_b32 vcc_lo, 0x7f800000
	s_waitcnt vmcnt(0) lgkmcnt(0)
	v_lshlrev_b32_e32 v14, 24, v14
	v_and_b32_e32 v15, 0x7f000000, v14
	v_ffbh_u32_e32 v65, v15
	v_min_u32_e32 v65, 32, v65
	v_sub_u32_e64 v65, v65, 4 clamp
	v_lshlrev_b32_e32 v67, v65, v15
	v_lshlrev_b32_e32 v65, 23, v65
	v_lshrrev_b32_e32 v67, 4, v67
	v_add_u32_e32 v66, 0x1000000, v15
	v_sub_u32_e32 v65, v67, v65
	v_ashrrev_i32_e32 v66, 8, v66
	v_add_u32_e32 v65, 0x3c000000, v65
	v_and_or_b32 v65, v66, vcc_lo, v65
	v_cmp_ne_u32_e32 vcc, 0, v15
	v_cndmask_b32_e32 v15, 0, v65, vcc
	s_brev_b32 vcc_lo, 1
	v_and_or_b32 v66, v14, vcc_lo, v15
.LBB14_1135:                            ;   in Loop: Header=BB14_17 Depth=1
	s_or_b64 exec, exec, s[60:61]
                                        ; implicit-def: $vgpr14_vgpr15
.LBB14_1136:                            ;   in Loop: Header=BB14_17 Depth=1
	s_andn2_saveexec_b64 s[58:59], s[58:59]
	s_cbranch_execz .LBB14_1138
; %bb.1137:                             ;   in Loop: Header=BB14_17 Depth=1
	flat_load_ubyte v14, v[14:15]
	s_movk_i32 vcc_lo, 0x7f00
	s_waitcnt vmcnt(0) lgkmcnt(0)
	v_lshlrev_b16_e32 v15, 8, v14
	v_lshlrev_b32_e32 v14, 25, v14
	v_lshrrev_b32_e32 v65, 4, v14
	v_and_or_b32 v66, v15, vcc_lo, 0.5
	v_or_b32_e32 v65, 0x70000000, v65
	s_brev_b32 vcc_lo, 16
	v_add_f32_e32 v66, -0.5, v66
	v_mul_f32_e32 v65, 0x7800000, v65
	v_cmp_gt_u32_e32 vcc, vcc_lo, v14
	v_cndmask_b32_e32 v14, v65, v66, vcc
	v_bfe_i32 v15, v15, 0, 16
	s_brev_b32 vcc_lo, 1
	v_and_or_b32 v66, v15, vcc_lo, v14
.LBB14_1138:                            ;   in Loop: Header=BB14_17 Depth=1
	s_or_b64 exec, exec, s[58:59]
	s_or_b64 s[58:59], s[52:53], exec
                                        ; implicit-def: $vgpr14_vgpr15
.LBB14_1139:                            ;   in Loop: Header=BB14_17 Depth=1
	s_or_saveexec_b64 s[56:57], s[56:57]
                                        ; implicit-def: $vcc
                                        ; implicit-def: $sgpr64_sgpr65
	s_xor_b64 exec, exec, s[56:57]
	s_cbranch_execz .LBB14_1149
; %bb.1140:                             ;   in Loop: Header=BB14_17 Depth=1
	v_cmp_gt_i16_sdwa vcc, v7, v35 src0_sel:BYTE_0 src1_sel:DWORD
	s_mov_b64 s[62:63], s[58:59]
                                        ; implicit-def: $sgpr64_sgpr65
                                        ; implicit-def: $sgpr60_sgpr61
                                        ; implicit-def: $vgpr66
	s_and_saveexec_b64 s[66:67], vcc
	s_xor_b64 vcc, exec, s[66:67]
	s_cbranch_execz .LBB14_1144
; %bb.1141:                             ;   in Loop: Header=BB14_17 Depth=1
	v_cmp_eq_u16_sdwa s[64:65], v7, v36 src0_sel:BYTE_0 src1_sel:DWORD
	s_mov_b64 s[62:63], s[58:59]
                                        ; implicit-def: $vgpr66
	s_and_saveexec_b64 s[60:61], s[64:65]
	s_cbranch_execz .LBB14_1143
; %bb.1142:                             ;   in Loop: Header=BB14_17 Depth=1
	flat_load_ushort v14, v[14:15]
	s_or_b64 s[62:63], s[58:59], exec
	s_waitcnt vmcnt(0) lgkmcnt(0)
	v_lshlrev_b32_e32 v66, 16, v14
.LBB14_1143:                            ;   in Loop: Header=BB14_17 Depth=1
	s_or_b64 exec, exec, s[60:61]
	s_andn2_b64 s[66:67], s[58:59], exec
	s_and_b64 s[62:63], s[62:63], exec
	s_mov_b64 s[60:61], -1
	s_mov_b64 s[64:65], 0
	s_or_b64 s[62:63], s[66:67], s[62:63]
                                        ; implicit-def: $vgpr14_vgpr15
.LBB14_1144:                            ;   in Loop: Header=BB14_17 Depth=1
	s_andn2_saveexec_b64 s[66:67], vcc
	s_cbranch_execz .LBB14_1148
; %bb.1145:                             ;   in Loop: Header=BB14_17 Depth=1
	v_cmp_eq_u16_sdwa s[70:71], v7, v37 src0_sel:BYTE_0 src1_sel:DWORD
	s_mov_b64 vcc, s[62:63]
                                        ; implicit-def: $vgpr66
	s_and_saveexec_b64 s[68:69], s[70:71]
	s_cbranch_execz .LBB14_1147
; %bb.1146:                             ;   in Loop: Header=BB14_17 Depth=1
	flat_load_ubyte v14, v[14:15]
	s_waitcnt vmcnt(0) lgkmcnt(0)
	v_cmp_ne_u16_e32 vcc, 0, v14
	v_cndmask_b32_e64 v66, 0, 1.0, vcc
	s_or_b64 vcc, s[62:63], exec
.LBB14_1147:                            ;   in Loop: Header=BB14_17 Depth=1
	s_or_b64 exec, exec, s[68:69]
	s_andn2_b64 s[62:63], s[62:63], exec
	s_and_b64 vcc, vcc, exec
	s_andn2_b64 s[64:65], s[64:65], exec
	s_or_b64 s[60:61], s[60:61], exec
	s_or_b64 s[62:63], s[62:63], vcc
.LBB14_1148:                            ;   in Loop: Header=BB14_17 Depth=1
	s_or_b64 exec, exec, s[66:67]
	s_and_b64 vcc, s[60:61], exec
	s_andn2_b64 s[58:59], s[58:59], exec
	s_and_b64 s[60:61], s[62:63], exec
	s_and_b64 s[64:65], s[64:65], exec
	s_or_b64 s[58:59], s[58:59], s[60:61]
.LBB14_1149:                            ;   in Loop: Header=BB14_17 Depth=1
	s_or_b64 exec, exec, s[56:57]
	s_andn2_b64 s[54:55], s[54:55], exec
	s_and_b64 vcc, vcc, exec
	s_andn2_b64 s[44:45], s[44:45], exec
	s_and_b64 s[56:57], s[64:65], exec
	s_or_b64 s[54:55], s[54:55], vcc
	s_andn2_b64 vcc, s[52:53], exec
	s_and_b64 s[52:53], s[58:59], exec
	s_or_b64 s[44:45], s[44:45], s[56:57]
	s_or_b64 s[52:53], vcc, s[52:53]
.LBB14_1150:                            ;   in Loop: Header=BB14_17 Depth=1
	s_or_b64 exec, exec, s[42:43]
	s_and_b64 s[44:45], s[44:45], exec
	s_and_b64 s[42:43], s[54:55], exec
	s_and_b64 vcc, s[52:53], exec
                                        ; implicit-def: $vgpr14_vgpr15
	s_andn2_saveexec_b64 s[50:51], s[50:51]
	s_cbranch_execz .LBB14_979
.LBB14_1151:                            ;   in Loop: Header=BB14_17 Depth=1
	v_cmp_gt_i16_sdwa s[52:53], v7, v38 src0_sel:BYTE_0 src1_sel:DWORD
                                        ; implicit-def: $vgpr66
	s_and_saveexec_b64 s[54:55], s[52:53]
	s_xor_b64 s[52:53], exec, s[54:55]
	s_cbranch_execz .LBB14_1173
; %bb.1152:                             ;   in Loop: Header=BB14_17 Depth=1
	v_cmp_gt_i16_sdwa s[54:55], v7, v39 src0_sel:BYTE_0 src1_sel:DWORD
                                        ; implicit-def: $vgpr66
	s_and_saveexec_b64 s[56:57], s[54:55]
	s_xor_b64 s[54:55], exec, s[56:57]
	s_cbranch_execz .LBB14_1162
; %bb.1153:                             ;   in Loop: Header=BB14_17 Depth=1
	;; [unrolled: 6-line block ×4, first 2 shown]
	flat_load_dwordx2 v[14:15], v[14:15]
	s_waitcnt vmcnt(0) lgkmcnt(0)
	v_cvt_f32_f64_e32 v66, v[14:15]
                                        ; implicit-def: $vgpr14_vgpr15
.LBB14_1156:                            ;   in Loop: Header=BB14_17 Depth=1
	s_andn2_saveexec_b64 s[58:59], s[58:59]
	s_cbranch_execz .LBB14_1158
; %bb.1157:                             ;   in Loop: Header=BB14_17 Depth=1
	flat_load_dword v66, v[14:15]
.LBB14_1158:                            ;   in Loop: Header=BB14_17 Depth=1
	s_or_b64 exec, exec, s[58:59]
                                        ; implicit-def: $vgpr14_vgpr15
.LBB14_1159:                            ;   in Loop: Header=BB14_17 Depth=1
	s_andn2_saveexec_b64 s[56:57], s[56:57]
	s_cbranch_execz .LBB14_1161
; %bb.1160:                             ;   in Loop: Header=BB14_17 Depth=1
	flat_load_dword v14, v[14:15]
	s_waitcnt vmcnt(0) lgkmcnt(0)
	v_cvt_f32_f16_e32 v66, v14
.LBB14_1161:                            ;   in Loop: Header=BB14_17 Depth=1
	s_or_b64 exec, exec, s[56:57]
                                        ; implicit-def: $vgpr14_vgpr15
.LBB14_1162:                            ;   in Loop: Header=BB14_17 Depth=1
	s_andn2_saveexec_b64 s[54:55], s[54:55]
	s_cbranch_execz .LBB14_1172
; %bb.1163:                             ;   in Loop: Header=BB14_17 Depth=1
	v_cmp_gt_i16_sdwa s[56:57], v7, v50 src0_sel:BYTE_0 src1_sel:DWORD
                                        ; implicit-def: $vgpr66
	s_and_saveexec_b64 s[58:59], s[56:57]
	s_xor_b64 s[56:57], exec, s[58:59]
	s_cbranch_execz .LBB14_1169
; %bb.1164:                             ;   in Loop: Header=BB14_17 Depth=1
	v_cmp_gt_i16_sdwa s[58:59], v7, v51 src0_sel:BYTE_0 src1_sel:DWORD
                                        ; implicit-def: $vgpr66
	s_and_saveexec_b64 s[60:61], s[58:59]
	s_xor_b64 s[58:59], exec, s[60:61]
	s_cbranch_execz .LBB14_1166
; %bb.1165:                             ;   in Loop: Header=BB14_17 Depth=1
	flat_load_dwordx2 v[14:15], v[14:15]
	s_waitcnt vmcnt(0) lgkmcnt(0)
	v_cvt_f32_f64_e32 v66, v[14:15]
                                        ; implicit-def: $vgpr14_vgpr15
.LBB14_1166:                            ;   in Loop: Header=BB14_17 Depth=1
	s_andn2_saveexec_b64 s[58:59], s[58:59]
	s_cbranch_execz .LBB14_1168
; %bb.1167:                             ;   in Loop: Header=BB14_17 Depth=1
	s_waitcnt vmcnt(0) lgkmcnt(0)
	flat_load_dword v66, v[14:15]
.LBB14_1168:                            ;   in Loop: Header=BB14_17 Depth=1
	s_or_b64 exec, exec, s[58:59]
                                        ; implicit-def: $vgpr14_vgpr15
.LBB14_1169:                            ;   in Loop: Header=BB14_17 Depth=1
	s_andn2_saveexec_b64 s[56:57], s[56:57]
	s_cbranch_execz .LBB14_1171
; %bb.1170:                             ;   in Loop: Header=BB14_17 Depth=1
	flat_load_ushort v14, v[14:15]
	s_waitcnt vmcnt(0) lgkmcnt(0)
	v_cvt_f32_f16_e32 v66, v14
.LBB14_1171:                            ;   in Loop: Header=BB14_17 Depth=1
	s_or_b64 exec, exec, s[56:57]
.LBB14_1172:                            ;   in Loop: Header=BB14_17 Depth=1
	s_or_b64 exec, exec, s[54:55]
                                        ; implicit-def: $vgpr14_vgpr15
.LBB14_1173:                            ;   in Loop: Header=BB14_17 Depth=1
	s_andn2_saveexec_b64 s[52:53], s[52:53]
	s_cbranch_execz .LBB14_1191
; %bb.1174:                             ;   in Loop: Header=BB14_17 Depth=1
	v_cmp_gt_i16_sdwa s[54:55], v7, v52 src0_sel:BYTE_0 src1_sel:DWORD
                                        ; implicit-def: $vgpr66
	s_and_saveexec_b64 s[56:57], s[54:55]
	s_xor_b64 s[54:55], exec, s[56:57]
	s_cbranch_execz .LBB14_1184
; %bb.1175:                             ;   in Loop: Header=BB14_17 Depth=1
	v_cmp_gt_i16_sdwa s[56:57], v7, v53 src0_sel:BYTE_0 src1_sel:DWORD
                                        ; implicit-def: $vgpr66
	s_and_saveexec_b64 s[58:59], s[56:57]
	s_xor_b64 s[56:57], exec, s[58:59]
	;; [unrolled: 6-line block ×3, first 2 shown]
	s_cbranch_execz .LBB14_1178
; %bb.1177:                             ;   in Loop: Header=BB14_17 Depth=1
	flat_load_dwordx2 v[14:15], v[14:15]
	s_waitcnt vmcnt(0) lgkmcnt(0)
	v_xor_b32_e32 v66, v14, v15
	v_ffbh_i32_e32 v65, v15
	v_ashrrev_i32_e32 v66, 31, v66
	v_add_u32_e32 v65, -1, v65
	v_add_u32_e32 v66, 32, v66
	v_min_u32_e32 v65, v65, v66
	v_lshlrev_b64 v[14:15], v65, v[14:15]
	v_min_u32_e32 v14, 1, v14
	v_or_b32_e32 v14, v15, v14
	v_cvt_f32_i32_e32 v14, v14
	v_sub_u32_e32 v15, 32, v65
	v_ldexp_f32 v66, v14, v15
                                        ; implicit-def: $vgpr14_vgpr15
.LBB14_1178:                            ;   in Loop: Header=BB14_17 Depth=1
	s_andn2_saveexec_b64 s[58:59], s[58:59]
	s_cbranch_execz .LBB14_1180
; %bb.1179:                             ;   in Loop: Header=BB14_17 Depth=1
	flat_load_dword v14, v[14:15]
	s_waitcnt vmcnt(0) lgkmcnt(0)
	v_cvt_f32_i32_e32 v66, v14
.LBB14_1180:                            ;   in Loop: Header=BB14_17 Depth=1
	s_or_b64 exec, exec, s[58:59]
                                        ; implicit-def: $vgpr14_vgpr15
.LBB14_1181:                            ;   in Loop: Header=BB14_17 Depth=1
	s_andn2_saveexec_b64 s[56:57], s[56:57]
	s_cbranch_execz .LBB14_1183
; %bb.1182:                             ;   in Loop: Header=BB14_17 Depth=1
	flat_load_sshort v14, v[14:15]
	s_waitcnt vmcnt(0) lgkmcnt(0)
	v_cvt_f32_i32_e32 v66, v14
.LBB14_1183:                            ;   in Loop: Header=BB14_17 Depth=1
	s_or_b64 exec, exec, s[56:57]
                                        ; implicit-def: $vgpr14_vgpr15
.LBB14_1184:                            ;   in Loop: Header=BB14_17 Depth=1
	s_andn2_saveexec_b64 s[54:55], s[54:55]
	s_cbranch_execz .LBB14_1190
; %bb.1185:                             ;   in Loop: Header=BB14_17 Depth=1
	v_cmp_gt_i16_sdwa s[56:57], v7, v16 src0_sel:BYTE_0 src1_sel:DWORD
                                        ; implicit-def: $vgpr66
	s_and_saveexec_b64 s[58:59], s[56:57]
	s_xor_b64 s[56:57], exec, s[58:59]
	s_cbranch_execz .LBB14_1187
; %bb.1186:                             ;   in Loop: Header=BB14_17 Depth=1
	flat_load_sbyte v14, v[14:15]
	s_waitcnt vmcnt(0) lgkmcnt(0)
	v_cvt_f32_i32_e32 v66, v14
                                        ; implicit-def: $vgpr14_vgpr15
.LBB14_1187:                            ;   in Loop: Header=BB14_17 Depth=1
	s_andn2_saveexec_b64 s[56:57], s[56:57]
	s_cbranch_execz .LBB14_1189
; %bb.1188:                             ;   in Loop: Header=BB14_17 Depth=1
	flat_load_ubyte v14, v[14:15]
	s_waitcnt vmcnt(0) lgkmcnt(0)
	v_cvt_f32_ubyte0_e32 v66, v14
.LBB14_1189:                            ;   in Loop: Header=BB14_17 Depth=1
	s_or_b64 exec, exec, s[56:57]
.LBB14_1190:                            ;   in Loop: Header=BB14_17 Depth=1
	s_or_b64 exec, exec, s[54:55]
.LBB14_1191:                            ;   in Loop: Header=BB14_17 Depth=1
	s_or_b64 exec, exec, s[52:53]
	s_andn2_b64 s[44:45], s[44:45], exec
	s_andn2_b64 s[42:43], s[42:43], exec
	s_or_b64 vcc, vcc, exec
	s_or_b64 exec, exec, s[50:51]
	s_mov_b64 s[52:53], 0
	s_and_saveexec_b64 s[50:51], vcc
	s_cbranch_execz .LBB14_1197
.LBB14_1192:                            ;   in Loop: Header=BB14_17 Depth=1
	v_mul_lo_u32 v14, v64, v10
	v_readlane_b32 s52, v44, 0
	v_add_co_u32_e32 v14, vcc, v4, v14
	v_add_u32_e32 v65, s52, v17
	v_addc_co_u32_e32 v15, vcc, 0, v5, vcc
	v_cmp_gt_i16_sdwa s[52:53], v8, v18 src0_sel:BYTE_0 src1_sel:DWORD
	s_mov_b64 s[56:57], 0
	s_waitcnt vmcnt(0) lgkmcnt(0)
	buffer_store_dword v66, v65, s[0:3], 0 offen offset:44
                                        ; implicit-def: $vcc
                                        ; implicit-def: $sgpr54_sgpr55
                                        ; implicit-def: $vgpr64
	s_and_saveexec_b64 s[58:59], s[52:53]
	s_xor_b64 s[52:53], exec, s[58:59]
	s_cbranch_execnz .LBB14_1219
; %bb.1193:                             ;   in Loop: Header=BB14_17 Depth=1
	s_andn2_saveexec_b64 s[52:53], s[52:53]
	s_cbranch_execnz .LBB14_1278
.LBB14_1194:                            ;   in Loop: Header=BB14_17 Depth=1
	s_or_b64 exec, exec, s[52:53]
	s_mov_b64 s[52:53], 0
	s_and_saveexec_b64 s[58:59], s[56:57]
	s_cbranch_execz .LBB14_1196
.LBB14_1195:                            ;   in Loop: Header=BB14_17 Depth=1
	s_mov_b64 s[52:53], exec
	v_add_u32_e32 v55, 0x200, v55
	s_andn2_b64 s[54:55], s[54:55], exec
	s_andn2_b64 vcc, vcc, exec
	s_waitcnt vmcnt(0) lgkmcnt(0)
	buffer_store_dword v64, v65, s[0:3], 0 offen offset:40
.LBB14_1196:                            ;   in Loop: Header=BB14_17 Depth=1
	s_or_b64 exec, exec, s[58:59]
	s_andn2_b64 s[44:45], s[44:45], exec
	s_and_b64 s[54:55], s[54:55], exec
	s_andn2_b64 s[42:43], s[42:43], exec
	s_and_b64 vcc, vcc, exec
	s_or_b64 s[44:45], s[44:45], s[54:55]
	s_or_b64 s[42:43], s[42:43], vcc
	s_and_b64 s[52:53], s[52:53], exec
.LBB14_1197:                            ;   in Loop: Header=BB14_17 Depth=1
	s_or_b64 exec, exec, s[50:51]
	s_and_b64 s[44:45], s[44:45], exec
	s_and_b64 s[42:43], s[42:43], exec
	s_orn2_b64 s[50:51], s[52:53], exec
.LBB14_1198:                            ;   in Loop: Header=BB14_17 Depth=1
	s_or_b64 exec, exec, s[46:47]
	s_and_saveexec_b64 s[46:47], s[50:51]
	s_cbranch_execz .LBB14_11
; %bb.1199:                             ;   in Loop: Header=BB14_17 Depth=1
	v_cmp_lt_i32_e32 vcc, v55, v6
	s_mov_b64 s[54:55], -1
	s_mov_b64 s[56:57], -1
                                        ; implicit-def: $sgpr48_sgpr49
                                        ; implicit-def: $sgpr50_sgpr51
	s_and_saveexec_b64 s[52:53], vcc
	s_cbranch_execz .LBB14_1425
; %bb.1200:                             ;   in Loop: Header=BB14_17 Depth=1
	v_readlane_b32 vcc_lo, v44, 1
	s_waitcnt vmcnt(0) lgkmcnt(0)
	v_add_u32_e32 v64, vcc_lo, v55
	v_mul_lo_u32 v14, v64, v9
	v_add_co_u32_e32 v14, vcc, v2, v14
	v_addc_co_u32_e32 v15, vcc, 0, v3, vcc
	v_cmp_gt_i16_sdwa s[56:57], v7, v18 src0_sel:BYTE_0 src1_sel:DWORD
	s_mov_b64 vcc, 0
                                        ; implicit-def: $sgpr48_sgpr49
                                        ; implicit-def: $sgpr50_sgpr51
                                        ; implicit-def: $vgpr66
	s_and_saveexec_b64 s[58:59], s[56:57]
	s_xor_b64 s[56:57], exec, s[58:59]
	s_cbranch_execnz .LBB14_1319
; %bb.1201:                             ;   in Loop: Header=BB14_17 Depth=1
	s_andn2_saveexec_b64 s[56:57], s[56:57]
	s_cbranch_execnz .LBB14_1378
.LBB14_1202:                            ;   in Loop: Header=BB14_17 Depth=1
	s_or_b64 exec, exec, s[56:57]
	s_mov_b64 s[58:59], 0
	s_and_saveexec_b64 s[56:57], vcc
	s_cbranch_execnz .LBB14_1419
	s_branch .LBB14_1424
.LBB14_1203:                            ;   in Loop: Header=BB14_17 Depth=1
	s_movk_i32 vcc_lo, 0x80
	v_cmp_eq_u16_e32 vcc, vcc_lo, v14
	s_mov_b64 s[42:43], -1
                                        ; implicit-def: $sgpr48
	s_and_saveexec_b64 s[46:47], vcc
; %bb.1204:                             ;   in Loop: Header=BB14_17 Depth=1
	s_mov_b32 s48, 0x7f800001
	s_xor_b64 s[42:43], exec, -1
; %bb.1205:                             ;   in Loop: Header=BB14_17 Depth=1
	s_or_b64 exec, exec, s[46:47]
	s_and_b64 s[42:43], s[42:43], exec
	s_or_saveexec_b64 s[44:45], s[44:45]
	v_mov_b32_e32 v64, s48
	s_xor_b64 exec, exec, s[44:45]
	s_cbranch_execz .LBB14_170
.LBB14_1206:                            ;   in Loop: Header=BB14_17 Depth=1
	v_cmp_ne_u16_e32 vcc, 0, v14
	s_andn2_b64 s[42:43], s[42:43], exec
	s_and_b64 vcc, vcc, exec
	v_mov_b32_e32 v64, 0
	s_or_b64 s[42:43], s[42:43], vcc
	s_or_b64 exec, exec, s[44:45]
	s_and_saveexec_b64 s[44:45], s[42:43]
	s_cbranch_execnz .LBB14_171
	s_branch .LBB14_172
.LBB14_1207:                            ;   in Loop: Header=BB14_17 Depth=1
	s_movk_i32 vcc_lo, 0x80
	v_cmp_eq_u16_e32 vcc, vcc_lo, v14
	s_mov_b64 s[38:39], -1
                                        ; implicit-def: $sgpr44
	s_and_saveexec_b64 s[42:43], vcc
; %bb.1208:                             ;   in Loop: Header=BB14_17 Depth=1
	s_mov_b32 s44, 0x7f800001
	s_xor_b64 s[38:39], exec, -1
; %bb.1209:                             ;   in Loop: Header=BB14_17 Depth=1
	s_or_b64 exec, exec, s[42:43]
	s_and_b64 s[38:39], s[38:39], exec
	s_or_saveexec_b64 s[40:41], s[40:41]
	v_mov_b32_e32 v66, s44
	s_xor_b64 exec, exec, s[40:41]
	s_cbranch_execz .LBB14_270
.LBB14_1210:                            ;   in Loop: Header=BB14_17 Depth=1
	v_cmp_ne_u16_e32 vcc, 0, v14
	s_andn2_b64 s[38:39], s[38:39], exec
	s_and_b64 vcc, vcc, exec
	v_mov_b32_e32 v66, 0
	s_or_b64 s[38:39], s[38:39], vcc
	s_or_b64 exec, exec, s[40:41]
	s_and_saveexec_b64 s[40:41], s[38:39]
	s_cbranch_execnz .LBB14_271
	s_branch .LBB14_272
.LBB14_1211:                            ;   in Loop: Header=BB14_17 Depth=1
	s_movk_i32 vcc_lo, 0x80
	v_cmp_eq_u16_e32 vcc, vcc_lo, v14
	s_mov_b64 s[42:43], -1
                                        ; implicit-def: $sgpr48
	s_and_saveexec_b64 s[46:47], vcc
; %bb.1212:                             ;   in Loop: Header=BB14_17 Depth=1
	s_mov_b32 s48, 0x7f800001
	s_xor_b64 s[42:43], exec, -1
; %bb.1213:                             ;   in Loop: Header=BB14_17 Depth=1
	s_or_b64 exec, exec, s[46:47]
	s_and_b64 s[42:43], s[42:43], exec
	s_or_saveexec_b64 s[44:45], s[44:45]
	v_mov_b32_e32 v64, s48
	s_xor_b64 exec, exec, s[44:45]
	s_cbranch_execz .LBB14_370
.LBB14_1214:                            ;   in Loop: Header=BB14_17 Depth=1
	v_cmp_ne_u16_e32 vcc, 0, v14
	s_andn2_b64 s[42:43], s[42:43], exec
	s_and_b64 vcc, vcc, exec
	v_mov_b32_e32 v64, 0
	s_or_b64 s[42:43], s[42:43], vcc
	s_or_b64 exec, exec, s[44:45]
	s_and_saveexec_b64 s[44:45], s[42:43]
	s_cbranch_execnz .LBB14_371
	s_branch .LBB14_372
.LBB14_1215:                            ;   in Loop: Header=BB14_17 Depth=1
	s_movk_i32 vcc_lo, 0x80
	v_cmp_eq_u16_e32 vcc, vcc_lo, v14
	s_mov_b64 s[42:43], -1
                                        ; implicit-def: $sgpr48
	s_and_saveexec_b64 s[46:47], vcc
; %bb.1216:                             ;   in Loop: Header=BB14_17 Depth=1
	s_mov_b32 s48, 0x7f800001
	s_xor_b64 s[42:43], exec, -1
; %bb.1217:                             ;   in Loop: Header=BB14_17 Depth=1
	s_or_b64 exec, exec, s[46:47]
	s_and_b64 s[42:43], s[42:43], exec
	s_or_saveexec_b64 s[44:45], s[44:45]
	v_mov_b32_e32 v66, s48
	s_xor_b64 exec, exec, s[44:45]
	s_cbranch_execz .LBB14_470
.LBB14_1218:                            ;   in Loop: Header=BB14_17 Depth=1
	v_cmp_ne_u16_e32 vcc, 0, v14
	s_andn2_b64 s[42:43], s[42:43], exec
	s_and_b64 vcc, vcc, exec
	v_mov_b32_e32 v66, 0
	s_or_b64 s[42:43], s[42:43], vcc
	s_or_b64 exec, exec, s[44:45]
	s_and_saveexec_b64 s[44:45], s[42:43]
	s_cbranch_execnz .LBB14_471
	s_branch .LBB14_472
.LBB14_1219:                            ;   in Loop: Header=BB14_17 Depth=1
	v_cmp_gt_i16_sdwa vcc, v8, v19 src0_sel:BYTE_0 src1_sel:DWORD
                                        ; implicit-def: $sgpr58_sgpr59
                                        ; implicit-def: $sgpr60_sgpr61
                                        ; implicit-def: $vgpr64
	s_and_saveexec_b64 s[54:55], vcc
	s_xor_b64 s[54:55], exec, s[54:55]
	s_cbranch_execz .LBB14_1251
; %bb.1220:                             ;   in Loop: Header=BB14_17 Depth=1
	v_cmp_gt_i16_sdwa vcc, v8, v20 src0_sel:BYTE_0 src1_sel:DWORD
                                        ; implicit-def: $sgpr58_sgpr59
                                        ; implicit-def: $sgpr62_sgpr63
                                        ; implicit-def: $vgpr64
	s_and_saveexec_b64 s[60:61], vcc
	s_xor_b64 s[60:61], exec, s[60:61]
	s_cbranch_execz .LBB14_1236
; %bb.1221:                             ;   in Loop: Header=BB14_17 Depth=1
	v_cmp_gt_i16_sdwa s[56:57], v8, v21 src0_sel:BYTE_0 src1_sel:DWORD
	s_mov_b64 s[64:65], 0
                                        ; implicit-def: $vcc
                                        ; implicit-def: $sgpr62_sgpr63
                                        ; implicit-def: $vgpr64
	s_and_saveexec_b64 s[58:59], s[56:57]
	s_xor_b64 s[56:57], exec, s[58:59]
	s_cbranch_execz .LBB14_1231
; %bb.1222:                             ;   in Loop: Header=BB14_17 Depth=1
	v_cmp_gt_i16_sdwa vcc, v8, v22 src0_sel:BYTE_0 src1_sel:DWORD
                                        ; implicit-def: $sgpr62_sgpr63
                                        ; implicit-def: $sgpr58_sgpr59
                                        ; implicit-def: $vgpr64
	s_and_saveexec_b64 s[66:67], vcc
	s_xor_b64 vcc, exec, s[66:67]
	s_cbranch_execz .LBB14_1226
; %bb.1223:                             ;   in Loop: Header=BB14_17 Depth=1
	v_cmp_eq_u16_sdwa s[66:67], v8, v23 src0_sel:BYTE_0 src1_sel:DWORD
	s_mov_b64 s[58:59], 0
                                        ; implicit-def: $vgpr64
	s_and_saveexec_b64 s[62:63], s[66:67]
	s_cbranch_execz .LBB14_1225
; %bb.1224:                             ;   in Loop: Header=BB14_17 Depth=1
	flat_load_dword v14, v[14:15]
	s_mov_b64 s[64:65], exec
	s_waitcnt vmcnt(0) lgkmcnt(0)
	v_lshlrev_b32_e32 v64, 16, v14
.LBB14_1225:                            ;   in Loop: Header=BB14_17 Depth=1
	s_or_b64 exec, exec, s[62:63]
	s_mov_b64 s[62:63], -1
	s_and_b64 s[64:65], s[64:65], exec
                                        ; implicit-def: $vgpr14_vgpr15
.LBB14_1226:                            ;   in Loop: Header=BB14_17 Depth=1
	s_andn2_saveexec_b64 s[66:67], vcc
	s_cbranch_execz .LBB14_1230
; %bb.1227:                             ;   in Loop: Header=BB14_17 Depth=1
	v_cmp_eq_u16_sdwa s[70:71], v8, v24 src0_sel:BYTE_0 src1_sel:DWORD
	s_mov_b64 vcc, s[64:65]
                                        ; implicit-def: $vgpr64
	s_and_saveexec_b64 s[68:69], s[70:71]
	s_cbranch_execz .LBB14_1229
; %bb.1228:                             ;   in Loop: Header=BB14_17 Depth=1
	flat_load_ubyte v14, v[14:15]
	s_movk_i32 vcc_lo, 0xff
	s_waitcnt vmcnt(0) lgkmcnt(0)
	v_lshlrev_b32_e32 v15, 23, v14
	v_cmp_ne_u32_e32 vcc, vcc_lo, v14
	v_cndmask_b32_e32 v15, v25, v15, vcc
	v_cmp_ne_u32_e32 vcc, 0, v14
	v_cndmask_b32_e32 v64, v26, v15, vcc
	s_or_b64 vcc, s[64:65], exec
.LBB14_1229:                            ;   in Loop: Header=BB14_17 Depth=1
	s_or_b64 exec, exec, s[68:69]
	s_andn2_b64 s[64:65], s[64:65], exec
	s_and_b64 vcc, vcc, exec
	s_or_b64 s[62:63], s[62:63], exec
	s_andn2_b64 s[58:59], s[58:59], exec
	s_or_b64 s[64:65], s[64:65], vcc
.LBB14_1230:                            ;   in Loop: Header=BB14_17 Depth=1
	s_or_b64 exec, exec, s[66:67]
	s_and_b64 s[62:63], s[62:63], exec
	s_and_b64 vcc, s[58:59], exec
	s_and_b64 s[64:65], s[64:65], exec
                                        ; implicit-def: $vgpr14_vgpr15
.LBB14_1231:                            ;   in Loop: Header=BB14_17 Depth=1
	s_andn2_saveexec_b64 s[56:57], s[56:57]
	s_cbranch_execz .LBB14_1235
; %bb.1232:                             ;   in Loop: Header=BB14_17 Depth=1
	v_cmp_eq_u16_sdwa s[68:69], v8, v27 src0_sel:BYTE_0 src1_sel:DWORD
	s_mov_b64 s[66:67], s[64:65]
                                        ; implicit-def: $vgpr64
	s_and_saveexec_b64 s[58:59], s[68:69]
	s_cbranch_execz .LBB14_1234
; %bb.1233:                             ;   in Loop: Header=BB14_17 Depth=1
	flat_load_dwordx2 v[14:15], v[14:15]
	s_or_b64 s[66:67], s[64:65], exec
	s_waitcnt vmcnt(0) lgkmcnt(0)
	v_ffbh_u32_e32 v64, v15
	v_min_u32_e32 v64, 32, v64
	v_lshlrev_b64 v[14:15], v64, v[14:15]
	v_min_u32_e32 v14, 1, v14
	v_or_b32_e32 v14, v15, v14
	v_cvt_f32_u32_e32 v14, v14
	v_sub_u32_e32 v15, 32, v64
	v_ldexp_f32 v64, v14, v15
.LBB14_1234:                            ;   in Loop: Header=BB14_17 Depth=1
	s_or_b64 exec, exec, s[58:59]
	s_andn2_b64 s[58:59], s[64:65], exec
	s_and_b64 s[64:65], s[66:67], exec
	s_or_b64 s[62:63], s[62:63], exec
	s_andn2_b64 vcc, vcc, exec
	s_or_b64 s[64:65], s[58:59], s[64:65]
.LBB14_1235:                            ;   in Loop: Header=BB14_17 Depth=1
	s_or_b64 exec, exec, s[56:57]
	s_and_b64 s[62:63], s[62:63], exec
	s_and_b64 s[58:59], vcc, exec
	s_and_b64 s[56:57], s[64:65], exec
                                        ; implicit-def: $vgpr14_vgpr15
.LBB14_1236:                            ;   in Loop: Header=BB14_17 Depth=1
	s_andn2_saveexec_b64 s[60:61], s[60:61]
	s_cbranch_execz .LBB14_1250
; %bb.1237:                             ;   in Loop: Header=BB14_17 Depth=1
	v_cmp_gt_i16_sdwa vcc, v8, v28 src0_sel:BYTE_0 src1_sel:DWORD
                                        ; implicit-def: $vgpr64
	s_and_saveexec_b64 s[64:65], vcc
	s_xor_b64 vcc, exec, s[64:65]
	s_cbranch_execz .LBB14_1243
; %bb.1238:                             ;   in Loop: Header=BB14_17 Depth=1
	v_cmp_gt_i16_sdwa s[64:65], v8, v29 src0_sel:BYTE_0 src1_sel:DWORD
                                        ; implicit-def: $vgpr64
	s_and_saveexec_b64 s[66:67], s[64:65]
	s_xor_b64 s[64:65], exec, s[66:67]
	s_cbranch_execz .LBB14_1240
; %bb.1239:                             ;   in Loop: Header=BB14_17 Depth=1
	flat_load_dword v14, v[14:15]
	s_waitcnt vmcnt(0) lgkmcnt(0)
	v_cvt_f32_u32_e32 v64, v14
                                        ; implicit-def: $vgpr14_vgpr15
.LBB14_1240:                            ;   in Loop: Header=BB14_17 Depth=1
	s_andn2_saveexec_b64 s[64:65], s[64:65]
	s_cbranch_execz .LBB14_1242
; %bb.1241:                             ;   in Loop: Header=BB14_17 Depth=1
	flat_load_ushort v14, v[14:15]
	s_waitcnt vmcnt(0) lgkmcnt(0)
	v_cvt_f32_u32_e32 v64, v14
.LBB14_1242:                            ;   in Loop: Header=BB14_17 Depth=1
	s_or_b64 exec, exec, s[64:65]
                                        ; implicit-def: $vgpr14_vgpr15
.LBB14_1243:                            ;   in Loop: Header=BB14_17 Depth=1
	s_andn2_saveexec_b64 s[64:65], vcc
	s_cbranch_execz .LBB14_1249
; %bb.1244:                             ;   in Loop: Header=BB14_17 Depth=1
	flat_load_ubyte v14, v[14:15]
	s_movk_i32 vcc_lo, 0x7f
	s_mov_b64 s[66:67], 0
                                        ; implicit-def: $sgpr72
	s_waitcnt vmcnt(0) lgkmcnt(0)
	v_cmp_lt_i16_e32 vcc, vcc_lo, v14
	s_and_saveexec_b64 s[68:69], vcc
	s_xor_b64 s[68:69], exec, s[68:69]
	s_cbranch_execnz .LBB14_2119
; %bb.1245:                             ;   in Loop: Header=BB14_17 Depth=1
	s_or_saveexec_b64 s[68:69], s[68:69]
	v_mov_b32_e32 v64, s72
	s_xor_b64 exec, exec, s[68:69]
	s_cbranch_execnz .LBB14_2122
.LBB14_1246:                            ;   in Loop: Header=BB14_17 Depth=1
	s_or_b64 exec, exec, s[68:69]
	s_and_saveexec_b64 s[68:69], s[66:67]
	s_cbranch_execz .LBB14_1248
.LBB14_1247:                            ;   in Loop: Header=BB14_17 Depth=1
	v_lshlrev_b32_e32 v15, 24, v14
	v_and_b32_e32 v14, 0xffff, v14
	v_and_b32_e32 v64, 7, v14
	v_ffbh_u32_e32 v67, v64
	v_min_u32_e32 v67, 32, v67
	v_subrev_u32_e32 v68, 28, v67
	v_bfe_u32 v66, v14, 3, 4
	v_lshlrev_b32_e32 v14, v68, v14
	v_sub_u32_e32 v67, 29, v67
	v_and_b32_e32 v14, 7, v14
	v_cmp_eq_u32_e32 vcc, 0, v66
	v_cndmask_b32_e32 v66, v66, v67, vcc
	v_cndmask_b32_e32 v14, v64, v14, vcc
	v_lshlrev_b32_e32 v14, 20, v14
	v_and_b32_e32 v15, 0x80000000, v15
	v_lshl_add_u32 v64, v66, 23, v30
	v_or3_b32 v64, v15, v64, v14
.LBB14_1248:                            ;   in Loop: Header=BB14_17 Depth=1
	s_or_b64 exec, exec, s[68:69]
.LBB14_1249:                            ;   in Loop: Header=BB14_17 Depth=1
	s_or_b64 exec, exec, s[64:65]
	s_andn2_b64 s[62:63], s[62:63], exec
	s_andn2_b64 s[58:59], s[58:59], exec
	s_or_b64 s[56:57], s[56:57], exec
.LBB14_1250:                            ;   in Loop: Header=BB14_17 Depth=1
	s_or_b64 exec, exec, s[60:61]
	s_and_b64 s[60:61], s[62:63], exec
	s_and_b64 s[58:59], s[58:59], exec
	;; [unrolled: 1-line block ×3, first 2 shown]
                                        ; implicit-def: $vgpr14_vgpr15
.LBB14_1251:                            ;   in Loop: Header=BB14_17 Depth=1
	s_andn2_saveexec_b64 s[54:55], s[54:55]
	s_cbranch_execz .LBB14_1277
; %bb.1252:                             ;   in Loop: Header=BB14_17 Depth=1
	v_cmp_gt_i16_sdwa vcc, v8, v31 src0_sel:BYTE_0 src1_sel:DWORD
	s_mov_b64 s[64:65], s[56:57]
                                        ; implicit-def: $vgpr64
	s_and_saveexec_b64 s[62:63], vcc
	s_xor_b64 s[62:63], exec, s[62:63]
	s_cbranch_execz .LBB14_1266
; %bb.1253:                             ;   in Loop: Header=BB14_17 Depth=1
	v_cmp_gt_i16_sdwa vcc, v8, v32 src0_sel:BYTE_0 src1_sel:DWORD
                                        ; implicit-def: $vgpr64
	s_and_saveexec_b64 s[64:65], vcc
	s_xor_b64 s[64:65], exec, s[64:65]
	s_cbranch_execz .LBB14_1263
; %bb.1254:                             ;   in Loop: Header=BB14_17 Depth=1
	v_cmp_gt_i16_sdwa vcc, v8, v33 src0_sel:BYTE_0 src1_sel:DWORD
                                        ; implicit-def: $vgpr64
	s_and_saveexec_b64 s[66:67], vcc
	s_xor_b64 s[66:67], exec, s[66:67]
	s_cbranch_execz .LBB14_1260
; %bb.1255:                             ;   in Loop: Header=BB14_17 Depth=1
	flat_load_ubyte v14, v[14:15]
	s_movk_i32 vcc_lo, 0x7f
	s_mov_b64 s[68:69], 0
                                        ; implicit-def: $sgpr74
	s_waitcnt vmcnt(0) lgkmcnt(0)
	v_cmp_lt_i16_e32 vcc, vcc_lo, v14
	s_and_saveexec_b64 s[70:71], vcc
	s_xor_b64 s[70:71], exec, s[70:71]
	s_cbranch_execnz .LBB14_2338
; %bb.1256:                             ;   in Loop: Header=BB14_17 Depth=1
	s_or_saveexec_b64 s[70:71], s[70:71]
	v_mov_b32_e32 v64, s74
	s_xor_b64 exec, exec, s[70:71]
	s_cbranch_execnz .LBB14_2341
.LBB14_1257:                            ;   in Loop: Header=BB14_17 Depth=1
	s_or_b64 exec, exec, s[70:71]
	s_and_saveexec_b64 s[70:71], s[68:69]
	s_cbranch_execz .LBB14_1259
.LBB14_1258:                            ;   in Loop: Header=BB14_17 Depth=1
	v_lshlrev_b32_e32 v15, 24, v14
	v_and_b32_e32 v14, 0xffff, v14
	v_and_b32_e32 v64, 3, v14
	v_ffbh_u32_e32 v67, v64
	v_min_u32_e32 v67, 32, v67
	v_subrev_u32_e32 v68, 29, v67
	v_bfe_u32 v66, v14, 2, 5
	v_lshlrev_b32_e32 v14, v68, v14
	v_sub_u32_e32 v67, 30, v67
	v_and_b32_e32 v14, 3, v14
	v_cmp_eq_u32_e32 vcc, 0, v66
	v_cndmask_b32_e32 v66, v66, v67, vcc
	v_cndmask_b32_e32 v14, v64, v14, vcc
	v_lshlrev_b32_e32 v14, 21, v14
	v_and_b32_e32 v15, 0x80000000, v15
	v_lshl_add_u32 v64, v66, 23, v34
	v_or3_b32 v64, v15, v64, v14
.LBB14_1259:                            ;   in Loop: Header=BB14_17 Depth=1
	s_or_b64 exec, exec, s[70:71]
                                        ; implicit-def: $vgpr14_vgpr15
.LBB14_1260:                            ;   in Loop: Header=BB14_17 Depth=1
	s_andn2_saveexec_b64 s[66:67], s[66:67]
	s_cbranch_execz .LBB14_1262
; %bb.1261:                             ;   in Loop: Header=BB14_17 Depth=1
	flat_load_ubyte v14, v[14:15]
	s_mov_b32 vcc_lo, 0x7f800000
	s_waitcnt vmcnt(0) lgkmcnt(0)
	v_lshlrev_b32_e32 v14, 24, v14
	v_and_b32_e32 v15, 0x7f000000, v14
	v_ffbh_u32_e32 v64, v15
	v_min_u32_e32 v64, 32, v64
	v_sub_u32_e64 v64, v64, 4 clamp
	v_lshlrev_b32_e32 v67, v64, v15
	v_lshlrev_b32_e32 v64, 23, v64
	v_lshrrev_b32_e32 v67, 4, v67
	v_add_u32_e32 v66, 0x1000000, v15
	v_sub_u32_e32 v64, v67, v64
	v_ashrrev_i32_e32 v66, 8, v66
	v_add_u32_e32 v64, 0x3c000000, v64
	v_and_or_b32 v64, v66, vcc_lo, v64
	v_cmp_ne_u32_e32 vcc, 0, v15
	v_cndmask_b32_e32 v15, 0, v64, vcc
	s_brev_b32 vcc_lo, 1
	v_and_or_b32 v64, v14, vcc_lo, v15
.LBB14_1262:                            ;   in Loop: Header=BB14_17 Depth=1
	s_or_b64 exec, exec, s[66:67]
                                        ; implicit-def: $vgpr14_vgpr15
.LBB14_1263:                            ;   in Loop: Header=BB14_17 Depth=1
	s_andn2_saveexec_b64 s[64:65], s[64:65]
	s_cbranch_execz .LBB14_1265
; %bb.1264:                             ;   in Loop: Header=BB14_17 Depth=1
	flat_load_ubyte v14, v[14:15]
	s_movk_i32 vcc_lo, 0x7f00
	s_waitcnt vmcnt(0) lgkmcnt(0)
	v_lshlrev_b16_e32 v15, 8, v14
	v_lshlrev_b32_e32 v14, 25, v14
	v_lshrrev_b32_e32 v64, 4, v14
	v_and_or_b32 v66, v15, vcc_lo, 0.5
	v_or_b32_e32 v64, 0x70000000, v64
	s_brev_b32 vcc_lo, 16
	v_add_f32_e32 v66, -0.5, v66
	v_mul_f32_e32 v64, 0x7800000, v64
	v_cmp_gt_u32_e32 vcc, vcc_lo, v14
	v_cndmask_b32_e32 v14, v64, v66, vcc
	v_bfe_i32 v15, v15, 0, 16
	s_brev_b32 vcc_lo, 1
	v_and_or_b32 v64, v15, vcc_lo, v14
.LBB14_1265:                            ;   in Loop: Header=BB14_17 Depth=1
	s_or_b64 exec, exec, s[64:65]
	s_or_b64 s[64:65], s[56:57], exec
                                        ; implicit-def: $vgpr14_vgpr15
.LBB14_1266:                            ;   in Loop: Header=BB14_17 Depth=1
	s_or_saveexec_b64 s[62:63], s[62:63]
                                        ; implicit-def: $vcc
                                        ; implicit-def: $sgpr70_sgpr71
	s_xor_b64 exec, exec, s[62:63]
	s_cbranch_execz .LBB14_1276
; %bb.1267:                             ;   in Loop: Header=BB14_17 Depth=1
	v_cmp_gt_i16_sdwa vcc, v8, v35 src0_sel:BYTE_0 src1_sel:DWORD
	s_mov_b64 s[68:69], s[64:65]
                                        ; implicit-def: $sgpr70_sgpr71
                                        ; implicit-def: $sgpr66_sgpr67
                                        ; implicit-def: $vgpr64
	s_and_saveexec_b64 s[72:73], vcc
	s_xor_b64 vcc, exec, s[72:73]
	s_cbranch_execz .LBB14_1271
; %bb.1268:                             ;   in Loop: Header=BB14_17 Depth=1
	v_cmp_eq_u16_sdwa s[70:71], v8, v36 src0_sel:BYTE_0 src1_sel:DWORD
	s_mov_b64 s[68:69], s[64:65]
                                        ; implicit-def: $vgpr64
	s_and_saveexec_b64 s[66:67], s[70:71]
	s_cbranch_execz .LBB14_1270
; %bb.1269:                             ;   in Loop: Header=BB14_17 Depth=1
	flat_load_ushort v14, v[14:15]
	s_or_b64 s[68:69], s[64:65], exec
	s_waitcnt vmcnt(0) lgkmcnt(0)
	v_lshlrev_b32_e32 v64, 16, v14
.LBB14_1270:                            ;   in Loop: Header=BB14_17 Depth=1
	s_or_b64 exec, exec, s[66:67]
	s_andn2_b64 s[72:73], s[64:65], exec
	s_and_b64 s[68:69], s[68:69], exec
	s_mov_b64 s[66:67], 0
	s_mov_b64 s[70:71], -1
	s_or_b64 s[68:69], s[72:73], s[68:69]
                                        ; implicit-def: $vgpr14_vgpr15
.LBB14_1271:                            ;   in Loop: Header=BB14_17 Depth=1
	s_andn2_saveexec_b64 s[72:73], vcc
	s_cbranch_execz .LBB14_1275
; %bb.1272:                             ;   in Loop: Header=BB14_17 Depth=1
	v_cmp_eq_u16_sdwa s[76:77], v8, v37 src0_sel:BYTE_0 src1_sel:DWORD
	s_mov_b64 vcc, s[68:69]
                                        ; implicit-def: $vgpr64
	s_and_saveexec_b64 s[74:75], s[76:77]
	s_cbranch_execz .LBB14_1274
; %bb.1273:                             ;   in Loop: Header=BB14_17 Depth=1
	flat_load_ubyte v14, v[14:15]
	s_waitcnt vmcnt(0) lgkmcnt(0)
	v_cmp_ne_u16_e32 vcc, 0, v14
	v_cndmask_b32_e64 v64, 0, 1.0, vcc
	s_or_b64 vcc, s[68:69], exec
.LBB14_1274:                            ;   in Loop: Header=BB14_17 Depth=1
	s_or_b64 exec, exec, s[74:75]
	s_andn2_b64 s[68:69], s[68:69], exec
	s_and_b64 vcc, vcc, exec
	s_or_b64 s[70:71], s[70:71], exec
	s_andn2_b64 s[66:67], s[66:67], exec
	s_or_b64 s[68:69], s[68:69], vcc
.LBB14_1275:                            ;   in Loop: Header=BB14_17 Depth=1
	s_or_b64 exec, exec, s[72:73]
	s_and_b64 vcc, s[66:67], exec
	s_andn2_b64 s[64:65], s[64:65], exec
	s_and_b64 s[66:67], s[68:69], exec
	s_and_b64 s[70:71], s[70:71], exec
	s_or_b64 s[64:65], s[64:65], s[66:67]
.LBB14_1276:                            ;   in Loop: Header=BB14_17 Depth=1
	s_or_b64 exec, exec, s[62:63]
	s_andn2_b64 s[58:59], s[58:59], exec
	s_and_b64 vcc, vcc, exec
	s_andn2_b64 s[60:61], s[60:61], exec
	s_and_b64 s[62:63], s[70:71], exec
	s_or_b64 s[58:59], s[58:59], vcc
	s_andn2_b64 vcc, s[56:57], exec
	s_and_b64 s[56:57], s[64:65], exec
	s_or_b64 s[60:61], s[60:61], s[62:63]
	s_or_b64 s[56:57], vcc, s[56:57]
.LBB14_1277:                            ;   in Loop: Header=BB14_17 Depth=1
	s_or_b64 exec, exec, s[54:55]
	s_and_b64 s[54:55], s[60:61], exec
	s_and_b64 vcc, s[58:59], exec
	s_and_b64 s[56:57], s[56:57], exec
                                        ; implicit-def: $vgpr14_vgpr15
	s_andn2_saveexec_b64 s[52:53], s[52:53]
	s_cbranch_execz .LBB14_1194
.LBB14_1278:                            ;   in Loop: Header=BB14_17 Depth=1
	v_cmp_gt_i16_sdwa s[58:59], v8, v38 src0_sel:BYTE_0 src1_sel:DWORD
                                        ; implicit-def: $vgpr64
	s_and_saveexec_b64 s[60:61], s[58:59]
	s_xor_b64 s[58:59], exec, s[60:61]
	s_cbranch_execz .LBB14_1300
; %bb.1279:                             ;   in Loop: Header=BB14_17 Depth=1
	v_cmp_gt_i16_sdwa s[60:61], v8, v39 src0_sel:BYTE_0 src1_sel:DWORD
                                        ; implicit-def: $vgpr64
	s_and_saveexec_b64 s[62:63], s[60:61]
	s_xor_b64 s[60:61], exec, s[62:63]
	s_cbranch_execz .LBB14_1289
; %bb.1280:                             ;   in Loop: Header=BB14_17 Depth=1
	;; [unrolled: 6-line block ×4, first 2 shown]
	flat_load_dwordx2 v[14:15], v[14:15]
	s_waitcnt vmcnt(0) lgkmcnt(0)
	v_cvt_f32_f64_e32 v64, v[14:15]
                                        ; implicit-def: $vgpr14_vgpr15
.LBB14_1283:                            ;   in Loop: Header=BB14_17 Depth=1
	s_andn2_saveexec_b64 s[64:65], s[64:65]
	s_cbranch_execz .LBB14_1285
; %bb.1284:                             ;   in Loop: Header=BB14_17 Depth=1
	flat_load_dword v64, v[14:15]
.LBB14_1285:                            ;   in Loop: Header=BB14_17 Depth=1
	s_or_b64 exec, exec, s[64:65]
                                        ; implicit-def: $vgpr14_vgpr15
.LBB14_1286:                            ;   in Loop: Header=BB14_17 Depth=1
	s_andn2_saveexec_b64 s[62:63], s[62:63]
	s_cbranch_execz .LBB14_1288
; %bb.1287:                             ;   in Loop: Header=BB14_17 Depth=1
	flat_load_dword v14, v[14:15]
	s_waitcnt vmcnt(0) lgkmcnt(0)
	v_cvt_f32_f16_e32 v64, v14
.LBB14_1288:                            ;   in Loop: Header=BB14_17 Depth=1
	s_or_b64 exec, exec, s[62:63]
                                        ; implicit-def: $vgpr14_vgpr15
.LBB14_1289:                            ;   in Loop: Header=BB14_17 Depth=1
	s_andn2_saveexec_b64 s[60:61], s[60:61]
	s_cbranch_execz .LBB14_1299
; %bb.1290:                             ;   in Loop: Header=BB14_17 Depth=1
	v_cmp_gt_i16_sdwa s[62:63], v8, v50 src0_sel:BYTE_0 src1_sel:DWORD
                                        ; implicit-def: $vgpr64
	s_and_saveexec_b64 s[64:65], s[62:63]
	s_xor_b64 s[62:63], exec, s[64:65]
	s_cbranch_execz .LBB14_1296
; %bb.1291:                             ;   in Loop: Header=BB14_17 Depth=1
	v_cmp_gt_i16_sdwa s[64:65], v8, v51 src0_sel:BYTE_0 src1_sel:DWORD
                                        ; implicit-def: $vgpr64
	s_and_saveexec_b64 s[66:67], s[64:65]
	s_xor_b64 s[64:65], exec, s[66:67]
	s_cbranch_execz .LBB14_1293
; %bb.1292:                             ;   in Loop: Header=BB14_17 Depth=1
	flat_load_dwordx2 v[14:15], v[14:15]
	s_waitcnt vmcnt(0) lgkmcnt(0)
	v_cvt_f32_f64_e32 v64, v[14:15]
                                        ; implicit-def: $vgpr14_vgpr15
.LBB14_1293:                            ;   in Loop: Header=BB14_17 Depth=1
	s_andn2_saveexec_b64 s[64:65], s[64:65]
	s_cbranch_execz .LBB14_1295
; %bb.1294:                             ;   in Loop: Header=BB14_17 Depth=1
	s_waitcnt vmcnt(0) lgkmcnt(0)
	flat_load_dword v64, v[14:15]
.LBB14_1295:                            ;   in Loop: Header=BB14_17 Depth=1
	s_or_b64 exec, exec, s[64:65]
                                        ; implicit-def: $vgpr14_vgpr15
.LBB14_1296:                            ;   in Loop: Header=BB14_17 Depth=1
	s_andn2_saveexec_b64 s[62:63], s[62:63]
	s_cbranch_execz .LBB14_1298
; %bb.1297:                             ;   in Loop: Header=BB14_17 Depth=1
	flat_load_ushort v14, v[14:15]
	s_waitcnt vmcnt(0) lgkmcnt(0)
	v_cvt_f32_f16_e32 v64, v14
.LBB14_1298:                            ;   in Loop: Header=BB14_17 Depth=1
	s_or_b64 exec, exec, s[62:63]
.LBB14_1299:                            ;   in Loop: Header=BB14_17 Depth=1
	s_or_b64 exec, exec, s[60:61]
                                        ; implicit-def: $vgpr14_vgpr15
.LBB14_1300:                            ;   in Loop: Header=BB14_17 Depth=1
	s_andn2_saveexec_b64 s[58:59], s[58:59]
	s_cbranch_execz .LBB14_1318
; %bb.1301:                             ;   in Loop: Header=BB14_17 Depth=1
	v_cmp_gt_i16_sdwa s[60:61], v8, v52 src0_sel:BYTE_0 src1_sel:DWORD
                                        ; implicit-def: $vgpr64
	s_and_saveexec_b64 s[62:63], s[60:61]
	s_xor_b64 s[60:61], exec, s[62:63]
	s_cbranch_execz .LBB14_1311
; %bb.1302:                             ;   in Loop: Header=BB14_17 Depth=1
	v_cmp_gt_i16_sdwa s[62:63], v8, v53 src0_sel:BYTE_0 src1_sel:DWORD
                                        ; implicit-def: $vgpr64
	s_and_saveexec_b64 s[64:65], s[62:63]
	s_xor_b64 s[62:63], exec, s[64:65]
	;; [unrolled: 6-line block ×3, first 2 shown]
	s_cbranch_execz .LBB14_1305
; %bb.1304:                             ;   in Loop: Header=BB14_17 Depth=1
	flat_load_dwordx2 v[14:15], v[14:15]
	s_waitcnt vmcnt(0) lgkmcnt(0)
	v_xor_b32_e32 v66, v14, v15
	v_ffbh_i32_e32 v64, v15
	v_ashrrev_i32_e32 v66, 31, v66
	v_add_u32_e32 v64, -1, v64
	v_add_u32_e32 v66, 32, v66
	v_min_u32_e32 v64, v64, v66
	v_lshlrev_b64 v[14:15], v64, v[14:15]
	v_min_u32_e32 v14, 1, v14
	v_or_b32_e32 v14, v15, v14
	v_cvt_f32_i32_e32 v14, v14
	v_sub_u32_e32 v15, 32, v64
	v_ldexp_f32 v64, v14, v15
                                        ; implicit-def: $vgpr14_vgpr15
.LBB14_1305:                            ;   in Loop: Header=BB14_17 Depth=1
	s_andn2_saveexec_b64 s[64:65], s[64:65]
	s_cbranch_execz .LBB14_1307
; %bb.1306:                             ;   in Loop: Header=BB14_17 Depth=1
	flat_load_dword v14, v[14:15]
	s_waitcnt vmcnt(0) lgkmcnt(0)
	v_cvt_f32_i32_e32 v64, v14
.LBB14_1307:                            ;   in Loop: Header=BB14_17 Depth=1
	s_or_b64 exec, exec, s[64:65]
                                        ; implicit-def: $vgpr14_vgpr15
.LBB14_1308:                            ;   in Loop: Header=BB14_17 Depth=1
	s_andn2_saveexec_b64 s[62:63], s[62:63]
	s_cbranch_execz .LBB14_1310
; %bb.1309:                             ;   in Loop: Header=BB14_17 Depth=1
	flat_load_sshort v14, v[14:15]
	s_waitcnt vmcnt(0) lgkmcnt(0)
	v_cvt_f32_i32_e32 v64, v14
.LBB14_1310:                            ;   in Loop: Header=BB14_17 Depth=1
	s_or_b64 exec, exec, s[62:63]
                                        ; implicit-def: $vgpr14_vgpr15
.LBB14_1311:                            ;   in Loop: Header=BB14_17 Depth=1
	s_andn2_saveexec_b64 s[60:61], s[60:61]
	s_cbranch_execz .LBB14_1317
; %bb.1312:                             ;   in Loop: Header=BB14_17 Depth=1
	v_cmp_gt_i16_sdwa s[62:63], v8, v16 src0_sel:BYTE_0 src1_sel:DWORD
                                        ; implicit-def: $vgpr64
	s_and_saveexec_b64 s[64:65], s[62:63]
	s_xor_b64 s[62:63], exec, s[64:65]
	s_cbranch_execz .LBB14_1314
; %bb.1313:                             ;   in Loop: Header=BB14_17 Depth=1
	flat_load_sbyte v14, v[14:15]
	s_waitcnt vmcnt(0) lgkmcnt(0)
	v_cvt_f32_i32_e32 v64, v14
                                        ; implicit-def: $vgpr14_vgpr15
.LBB14_1314:                            ;   in Loop: Header=BB14_17 Depth=1
	s_andn2_saveexec_b64 s[62:63], s[62:63]
	s_cbranch_execz .LBB14_1316
; %bb.1315:                             ;   in Loop: Header=BB14_17 Depth=1
	flat_load_ubyte v14, v[14:15]
	s_waitcnt vmcnt(0) lgkmcnt(0)
	v_cvt_f32_ubyte0_e32 v64, v14
.LBB14_1316:                            ;   in Loop: Header=BB14_17 Depth=1
	s_or_b64 exec, exec, s[62:63]
.LBB14_1317:                            ;   in Loop: Header=BB14_17 Depth=1
	s_or_b64 exec, exec, s[60:61]
.LBB14_1318:                            ;   in Loop: Header=BB14_17 Depth=1
	s_or_b64 exec, exec, s[58:59]
	s_andn2_b64 s[54:55], s[54:55], exec
	s_andn2_b64 vcc, vcc, exec
	s_or_b64 s[56:57], s[56:57], exec
	s_or_b64 exec, exec, s[52:53]
	s_mov_b64 s[52:53], 0
	s_and_saveexec_b64 s[58:59], s[56:57]
	s_cbranch_execnz .LBB14_1195
	s_branch .LBB14_1196
.LBB14_1319:                            ;   in Loop: Header=BB14_17 Depth=1
	v_cmp_gt_i16_sdwa vcc, v7, v19 src0_sel:BYTE_0 src1_sel:DWORD
	s_mov_b64 s[58:59], 0
                                        ; implicit-def: $sgpr60_sgpr61
                                        ; implicit-def: $sgpr50_sgpr51
                                        ; implicit-def: $vgpr66
	s_and_saveexec_b64 s[48:49], vcc
	s_xor_b64 s[48:49], exec, s[48:49]
	s_cbranch_execz .LBB14_1351
; %bb.1320:                             ;   in Loop: Header=BB14_17 Depth=1
	v_cmp_gt_i16_sdwa vcc, v7, v20 src0_sel:BYTE_0 src1_sel:DWORD
                                        ; implicit-def: $sgpr60_sgpr61
                                        ; implicit-def: $sgpr62_sgpr63
                                        ; implicit-def: $vgpr66
	s_and_saveexec_b64 s[50:51], vcc
	s_xor_b64 s[50:51], exec, s[50:51]
	s_cbranch_execz .LBB14_1336
; %bb.1321:                             ;   in Loop: Header=BB14_17 Depth=1
	v_cmp_gt_i16_sdwa s[58:59], v7, v21 src0_sel:BYTE_0 src1_sel:DWORD
	s_mov_b64 s[64:65], 0
                                        ; implicit-def: $vcc
                                        ; implicit-def: $sgpr60_sgpr61
                                        ; implicit-def: $vgpr66
	s_and_saveexec_b64 s[62:63], s[58:59]
	s_xor_b64 s[58:59], exec, s[62:63]
	s_cbranch_execz .LBB14_1331
; %bb.1322:                             ;   in Loop: Header=BB14_17 Depth=1
	v_cmp_gt_i16_sdwa vcc, v7, v22 src0_sel:BYTE_0 src1_sel:DWORD
	s_mov_b64 s[62:63], 0
                                        ; implicit-def: $sgpr60_sgpr61
                                        ; implicit-def: $sgpr64_sgpr65
                                        ; implicit-def: $vgpr66
	s_and_saveexec_b64 s[66:67], vcc
	s_xor_b64 vcc, exec, s[66:67]
	s_cbranch_execz .LBB14_1326
; %bb.1323:                             ;   in Loop: Header=BB14_17 Depth=1
	v_cmp_eq_u16_sdwa s[66:67], v7, v23 src0_sel:BYTE_0 src1_sel:DWORD
	s_mov_b64 s[60:61], 0
                                        ; implicit-def: $vgpr66
	s_and_saveexec_b64 s[64:65], s[66:67]
	s_cbranch_execz .LBB14_1325
; %bb.1324:                             ;   in Loop: Header=BB14_17 Depth=1
	flat_load_dword v14, v[14:15]
	s_mov_b64 s[62:63], exec
	s_waitcnt vmcnt(0) lgkmcnt(0)
	v_lshlrev_b32_e32 v66, 16, v14
.LBB14_1325:                            ;   in Loop: Header=BB14_17 Depth=1
	s_or_b64 exec, exec, s[64:65]
	s_mov_b64 s[64:65], -1
	s_and_b64 s[62:63], s[62:63], exec
                                        ; implicit-def: $vgpr14_vgpr15
.LBB14_1326:                            ;   in Loop: Header=BB14_17 Depth=1
	s_andn2_saveexec_b64 s[66:67], vcc
	s_cbranch_execz .LBB14_1330
; %bb.1327:                             ;   in Loop: Header=BB14_17 Depth=1
	v_cmp_eq_u16_sdwa s[70:71], v7, v24 src0_sel:BYTE_0 src1_sel:DWORD
	s_mov_b64 vcc, s[62:63]
                                        ; implicit-def: $vgpr66
	s_and_saveexec_b64 s[68:69], s[70:71]
	s_cbranch_execz .LBB14_1329
; %bb.1328:                             ;   in Loop: Header=BB14_17 Depth=1
	flat_load_ubyte v14, v[14:15]
	s_movk_i32 vcc_lo, 0xff
	s_waitcnt vmcnt(0) lgkmcnt(0)
	v_lshlrev_b32_e32 v15, 23, v14
	v_cmp_ne_u32_e32 vcc, vcc_lo, v14
	v_cndmask_b32_e32 v15, v25, v15, vcc
	v_cmp_ne_u32_e32 vcc, 0, v14
	v_cndmask_b32_e32 v66, v26, v15, vcc
	s_or_b64 vcc, s[62:63], exec
.LBB14_1329:                            ;   in Loop: Header=BB14_17 Depth=1
	s_or_b64 exec, exec, s[68:69]
	s_andn2_b64 s[62:63], s[62:63], exec
	s_and_b64 vcc, vcc, exec
	s_andn2_b64 s[60:61], s[60:61], exec
	s_or_b64 s[64:65], s[64:65], exec
	s_or_b64 s[62:63], s[62:63], vcc
.LBB14_1330:                            ;   in Loop: Header=BB14_17 Depth=1
	s_or_b64 exec, exec, s[66:67]
	s_and_b64 s[60:61], s[60:61], exec
	s_and_b64 vcc, s[64:65], exec
	s_and_b64 s[64:65], s[62:63], exec
                                        ; implicit-def: $vgpr14_vgpr15
.LBB14_1331:                            ;   in Loop: Header=BB14_17 Depth=1
	s_andn2_saveexec_b64 s[58:59], s[58:59]
	s_cbranch_execz .LBB14_1335
; %bb.1332:                             ;   in Loop: Header=BB14_17 Depth=1
	v_cmp_eq_u16_sdwa s[68:69], v7, v27 src0_sel:BYTE_0 src1_sel:DWORD
	s_mov_b64 s[66:67], s[64:65]
                                        ; implicit-def: $vgpr66
	s_and_saveexec_b64 s[62:63], s[68:69]
	s_cbranch_execz .LBB14_1334
; %bb.1333:                             ;   in Loop: Header=BB14_17 Depth=1
	flat_load_dwordx2 v[14:15], v[14:15]
	s_or_b64 s[66:67], s[64:65], exec
	s_waitcnt vmcnt(0) lgkmcnt(0)
	v_ffbh_u32_e32 v65, v15
	v_min_u32_e32 v65, 32, v65
	v_lshlrev_b64 v[14:15], v65, v[14:15]
	v_min_u32_e32 v14, 1, v14
	v_or_b32_e32 v14, v15, v14
	v_cvt_f32_u32_e32 v14, v14
	v_sub_u32_e32 v15, 32, v65
	v_ldexp_f32 v66, v14, v15
.LBB14_1334:                            ;   in Loop: Header=BB14_17 Depth=1
	s_or_b64 exec, exec, s[62:63]
	s_andn2_b64 s[62:63], s[64:65], exec
	s_and_b64 s[64:65], s[66:67], exec
	s_andn2_b64 s[60:61], s[60:61], exec
	s_or_b64 vcc, vcc, exec
	s_or_b64 s[64:65], s[62:63], s[64:65]
.LBB14_1335:                            ;   in Loop: Header=BB14_17 Depth=1
	s_or_b64 exec, exec, s[58:59]
	s_and_b64 s[62:63], s[60:61], exec
	s_and_b64 s[60:61], vcc, exec
	s_and_b64 s[58:59], s[64:65], exec
                                        ; implicit-def: $vgpr14_vgpr15
.LBB14_1336:                            ;   in Loop: Header=BB14_17 Depth=1
	s_andn2_saveexec_b64 s[50:51], s[50:51]
	s_cbranch_execz .LBB14_1350
; %bb.1337:                             ;   in Loop: Header=BB14_17 Depth=1
	v_cmp_gt_i16_sdwa vcc, v7, v28 src0_sel:BYTE_0 src1_sel:DWORD
                                        ; implicit-def: $vgpr66
	s_and_saveexec_b64 s[64:65], vcc
	s_xor_b64 vcc, exec, s[64:65]
	s_cbranch_execz .LBB14_1343
; %bb.1338:                             ;   in Loop: Header=BB14_17 Depth=1
	v_cmp_gt_i16_sdwa s[64:65], v7, v29 src0_sel:BYTE_0 src1_sel:DWORD
                                        ; implicit-def: $vgpr66
	s_and_saveexec_b64 s[66:67], s[64:65]
	s_xor_b64 s[64:65], exec, s[66:67]
	s_cbranch_execz .LBB14_1340
; %bb.1339:                             ;   in Loop: Header=BB14_17 Depth=1
	flat_load_dword v14, v[14:15]
	s_waitcnt vmcnt(0) lgkmcnt(0)
	v_cvt_f32_u32_e32 v66, v14
                                        ; implicit-def: $vgpr14_vgpr15
.LBB14_1340:                            ;   in Loop: Header=BB14_17 Depth=1
	s_andn2_saveexec_b64 s[64:65], s[64:65]
	s_cbranch_execz .LBB14_1342
; %bb.1341:                             ;   in Loop: Header=BB14_17 Depth=1
	flat_load_ushort v14, v[14:15]
	s_waitcnt vmcnt(0) lgkmcnt(0)
	v_cvt_f32_u32_e32 v66, v14
.LBB14_1342:                            ;   in Loop: Header=BB14_17 Depth=1
	s_or_b64 exec, exec, s[64:65]
                                        ; implicit-def: $vgpr14_vgpr15
.LBB14_1343:                            ;   in Loop: Header=BB14_17 Depth=1
	s_andn2_saveexec_b64 s[64:65], vcc
	s_cbranch_execz .LBB14_1349
; %bb.1344:                             ;   in Loop: Header=BB14_17 Depth=1
	flat_load_ubyte v14, v[14:15]
	s_movk_i32 vcc_lo, 0x7f
	s_mov_b64 s[66:67], 0
                                        ; implicit-def: $sgpr72
	s_waitcnt vmcnt(0) lgkmcnt(0)
	v_cmp_lt_i16_e32 vcc, vcc_lo, v14
	s_and_saveexec_b64 s[68:69], vcc
	s_xor_b64 s[68:69], exec, s[68:69]
	s_cbranch_execnz .LBB14_2123
; %bb.1345:                             ;   in Loop: Header=BB14_17 Depth=1
	s_or_saveexec_b64 s[68:69], s[68:69]
	v_mov_b32_e32 v66, s72
	s_xor_b64 exec, exec, s[68:69]
	s_cbranch_execnz .LBB14_2126
.LBB14_1346:                            ;   in Loop: Header=BB14_17 Depth=1
	s_or_b64 exec, exec, s[68:69]
	s_and_saveexec_b64 s[68:69], s[66:67]
	s_cbranch_execz .LBB14_1348
.LBB14_1347:                            ;   in Loop: Header=BB14_17 Depth=1
	v_lshlrev_b32_e32 v15, 24, v14
	v_and_b32_e32 v14, 0xffff, v14
	v_and_b32_e32 v65, 7, v14
	v_ffbh_u32_e32 v67, v65
	v_min_u32_e32 v67, 32, v67
	v_subrev_u32_e32 v68, 28, v67
	v_bfe_u32 v66, v14, 3, 4
	v_lshlrev_b32_e32 v14, v68, v14
	v_sub_u32_e32 v67, 29, v67
	v_and_b32_e32 v14, 7, v14
	v_cmp_eq_u32_e32 vcc, 0, v66
	v_cndmask_b32_e32 v66, v66, v67, vcc
	v_cndmask_b32_e32 v14, v65, v14, vcc
	v_lshlrev_b32_e32 v14, 20, v14
	v_and_b32_e32 v15, 0x80000000, v15
	v_lshl_add_u32 v65, v66, 23, v30
	v_or3_b32 v66, v15, v65, v14
.LBB14_1348:                            ;   in Loop: Header=BB14_17 Depth=1
	s_or_b64 exec, exec, s[68:69]
.LBB14_1349:                            ;   in Loop: Header=BB14_17 Depth=1
	s_or_b64 exec, exec, s[64:65]
	s_andn2_b64 s[62:63], s[62:63], exec
	s_andn2_b64 s[60:61], s[60:61], exec
	s_or_b64 s[58:59], s[58:59], exec
.LBB14_1350:                            ;   in Loop: Header=BB14_17 Depth=1
	s_or_b64 exec, exec, s[50:51]
	s_and_b64 s[50:51], s[62:63], exec
	s_and_b64 s[60:61], s[60:61], exec
	;; [unrolled: 1-line block ×3, first 2 shown]
                                        ; implicit-def: $vgpr14_vgpr15
.LBB14_1351:                            ;   in Loop: Header=BB14_17 Depth=1
	s_andn2_saveexec_b64 s[48:49], s[48:49]
	s_cbranch_execz .LBB14_1377
; %bb.1352:                             ;   in Loop: Header=BB14_17 Depth=1
	v_cmp_gt_i16_sdwa vcc, v7, v31 src0_sel:BYTE_0 src1_sel:DWORD
	s_mov_b64 s[64:65], s[58:59]
                                        ; implicit-def: $vgpr66
	s_and_saveexec_b64 s[62:63], vcc
	s_xor_b64 s[62:63], exec, s[62:63]
	s_cbranch_execz .LBB14_1366
; %bb.1353:                             ;   in Loop: Header=BB14_17 Depth=1
	v_cmp_gt_i16_sdwa vcc, v7, v32 src0_sel:BYTE_0 src1_sel:DWORD
                                        ; implicit-def: $vgpr66
	s_and_saveexec_b64 s[64:65], vcc
	s_xor_b64 s[64:65], exec, s[64:65]
	s_cbranch_execz .LBB14_1363
; %bb.1354:                             ;   in Loop: Header=BB14_17 Depth=1
	v_cmp_gt_i16_sdwa vcc, v7, v33 src0_sel:BYTE_0 src1_sel:DWORD
                                        ; implicit-def: $vgpr66
	s_and_saveexec_b64 s[66:67], vcc
	s_xor_b64 s[66:67], exec, s[66:67]
	s_cbranch_execz .LBB14_1360
; %bb.1355:                             ;   in Loop: Header=BB14_17 Depth=1
	flat_load_ubyte v14, v[14:15]
	s_movk_i32 vcc_lo, 0x7f
	s_mov_b64 s[68:69], 0
                                        ; implicit-def: $sgpr74
	s_waitcnt vmcnt(0) lgkmcnt(0)
	v_cmp_lt_i16_e32 vcc, vcc_lo, v14
	s_and_saveexec_b64 s[70:71], vcc
	s_xor_b64 s[70:71], exec, s[70:71]
	s_cbranch_execnz .LBB14_2342
; %bb.1356:                             ;   in Loop: Header=BB14_17 Depth=1
	s_or_saveexec_b64 s[70:71], s[70:71]
	v_mov_b32_e32 v66, s74
	s_xor_b64 exec, exec, s[70:71]
	s_cbranch_execnz .LBB14_2345
.LBB14_1357:                            ;   in Loop: Header=BB14_17 Depth=1
	s_or_b64 exec, exec, s[70:71]
	s_and_saveexec_b64 s[70:71], s[68:69]
	s_cbranch_execz .LBB14_1359
.LBB14_1358:                            ;   in Loop: Header=BB14_17 Depth=1
	v_lshlrev_b32_e32 v15, 24, v14
	v_and_b32_e32 v14, 0xffff, v14
	v_and_b32_e32 v65, 3, v14
	v_ffbh_u32_e32 v67, v65
	v_min_u32_e32 v67, 32, v67
	v_subrev_u32_e32 v68, 29, v67
	v_bfe_u32 v66, v14, 2, 5
	v_lshlrev_b32_e32 v14, v68, v14
	v_sub_u32_e32 v67, 30, v67
	v_and_b32_e32 v14, 3, v14
	v_cmp_eq_u32_e32 vcc, 0, v66
	v_cndmask_b32_e32 v66, v66, v67, vcc
	v_cndmask_b32_e32 v14, v65, v14, vcc
	v_lshlrev_b32_e32 v14, 21, v14
	v_and_b32_e32 v15, 0x80000000, v15
	v_lshl_add_u32 v65, v66, 23, v34
	v_or3_b32 v66, v15, v65, v14
.LBB14_1359:                            ;   in Loop: Header=BB14_17 Depth=1
	s_or_b64 exec, exec, s[70:71]
                                        ; implicit-def: $vgpr14_vgpr15
.LBB14_1360:                            ;   in Loop: Header=BB14_17 Depth=1
	s_andn2_saveexec_b64 s[66:67], s[66:67]
	s_cbranch_execz .LBB14_1362
; %bb.1361:                             ;   in Loop: Header=BB14_17 Depth=1
	flat_load_ubyte v14, v[14:15]
	s_mov_b32 vcc_lo, 0x7f800000
	s_waitcnt vmcnt(0) lgkmcnt(0)
	v_lshlrev_b32_e32 v14, 24, v14
	v_and_b32_e32 v15, 0x7f000000, v14
	v_ffbh_u32_e32 v65, v15
	v_min_u32_e32 v65, 32, v65
	v_sub_u32_e64 v65, v65, 4 clamp
	v_lshlrev_b32_e32 v67, v65, v15
	v_lshlrev_b32_e32 v65, 23, v65
	v_lshrrev_b32_e32 v67, 4, v67
	v_add_u32_e32 v66, 0x1000000, v15
	v_sub_u32_e32 v65, v67, v65
	v_ashrrev_i32_e32 v66, 8, v66
	v_add_u32_e32 v65, 0x3c000000, v65
	v_and_or_b32 v65, v66, vcc_lo, v65
	v_cmp_ne_u32_e32 vcc, 0, v15
	v_cndmask_b32_e32 v15, 0, v65, vcc
	s_brev_b32 vcc_lo, 1
	v_and_or_b32 v66, v14, vcc_lo, v15
.LBB14_1362:                            ;   in Loop: Header=BB14_17 Depth=1
	s_or_b64 exec, exec, s[66:67]
                                        ; implicit-def: $vgpr14_vgpr15
.LBB14_1363:                            ;   in Loop: Header=BB14_17 Depth=1
	s_andn2_saveexec_b64 s[64:65], s[64:65]
	s_cbranch_execz .LBB14_1365
; %bb.1364:                             ;   in Loop: Header=BB14_17 Depth=1
	flat_load_ubyte v14, v[14:15]
	s_movk_i32 vcc_lo, 0x7f00
	s_waitcnt vmcnt(0) lgkmcnt(0)
	v_lshlrev_b16_e32 v15, 8, v14
	v_lshlrev_b32_e32 v14, 25, v14
	v_lshrrev_b32_e32 v65, 4, v14
	v_and_or_b32 v66, v15, vcc_lo, 0.5
	v_or_b32_e32 v65, 0x70000000, v65
	s_brev_b32 vcc_lo, 16
	v_add_f32_e32 v66, -0.5, v66
	v_mul_f32_e32 v65, 0x7800000, v65
	v_cmp_gt_u32_e32 vcc, vcc_lo, v14
	v_cndmask_b32_e32 v14, v65, v66, vcc
	v_bfe_i32 v15, v15, 0, 16
	s_brev_b32 vcc_lo, 1
	v_and_or_b32 v66, v15, vcc_lo, v14
.LBB14_1365:                            ;   in Loop: Header=BB14_17 Depth=1
	s_or_b64 exec, exec, s[64:65]
	s_or_b64 s[64:65], s[58:59], exec
                                        ; implicit-def: $vgpr14_vgpr15
.LBB14_1366:                            ;   in Loop: Header=BB14_17 Depth=1
	s_or_saveexec_b64 s[62:63], s[62:63]
                                        ; implicit-def: $vcc
                                        ; implicit-def: $sgpr70_sgpr71
	s_xor_b64 exec, exec, s[62:63]
	s_cbranch_execz .LBB14_1376
; %bb.1367:                             ;   in Loop: Header=BB14_17 Depth=1
	v_cmp_gt_i16_sdwa vcc, v7, v35 src0_sel:BYTE_0 src1_sel:DWORD
	s_mov_b64 s[68:69], s[64:65]
                                        ; implicit-def: $sgpr70_sgpr71
                                        ; implicit-def: $sgpr66_sgpr67
                                        ; implicit-def: $vgpr66
	s_and_saveexec_b64 s[72:73], vcc
	s_xor_b64 vcc, exec, s[72:73]
	s_cbranch_execz .LBB14_1371
; %bb.1368:                             ;   in Loop: Header=BB14_17 Depth=1
	v_cmp_eq_u16_sdwa s[70:71], v7, v36 src0_sel:BYTE_0 src1_sel:DWORD
	s_mov_b64 s[68:69], s[64:65]
                                        ; implicit-def: $vgpr66
	s_and_saveexec_b64 s[66:67], s[70:71]
	s_cbranch_execz .LBB14_1370
; %bb.1369:                             ;   in Loop: Header=BB14_17 Depth=1
	flat_load_ushort v14, v[14:15]
	s_or_b64 s[68:69], s[64:65], exec
	s_waitcnt vmcnt(0) lgkmcnt(0)
	v_lshlrev_b32_e32 v66, 16, v14
.LBB14_1370:                            ;   in Loop: Header=BB14_17 Depth=1
	s_or_b64 exec, exec, s[66:67]
	s_andn2_b64 s[72:73], s[64:65], exec
	s_and_b64 s[68:69], s[68:69], exec
	s_mov_b64 s[66:67], -1
	s_mov_b64 s[70:71], 0
	s_or_b64 s[68:69], s[72:73], s[68:69]
                                        ; implicit-def: $vgpr14_vgpr15
.LBB14_1371:                            ;   in Loop: Header=BB14_17 Depth=1
	s_andn2_saveexec_b64 s[72:73], vcc
	s_cbranch_execz .LBB14_1375
; %bb.1372:                             ;   in Loop: Header=BB14_17 Depth=1
	v_cmp_eq_u16_sdwa s[76:77], v7, v37 src0_sel:BYTE_0 src1_sel:DWORD
	s_mov_b64 vcc, s[68:69]
                                        ; implicit-def: $vgpr66
	s_and_saveexec_b64 s[74:75], s[76:77]
	s_cbranch_execz .LBB14_1374
; %bb.1373:                             ;   in Loop: Header=BB14_17 Depth=1
	flat_load_ubyte v14, v[14:15]
	s_waitcnt vmcnt(0) lgkmcnt(0)
	v_cmp_ne_u16_e32 vcc, 0, v14
	v_cndmask_b32_e64 v66, 0, 1.0, vcc
	s_or_b64 vcc, s[68:69], exec
.LBB14_1374:                            ;   in Loop: Header=BB14_17 Depth=1
	s_or_b64 exec, exec, s[74:75]
	s_andn2_b64 s[68:69], s[68:69], exec
	s_and_b64 vcc, vcc, exec
	s_andn2_b64 s[70:71], s[70:71], exec
	s_or_b64 s[66:67], s[66:67], exec
	s_or_b64 s[68:69], s[68:69], vcc
.LBB14_1375:                            ;   in Loop: Header=BB14_17 Depth=1
	s_or_b64 exec, exec, s[72:73]
	s_and_b64 vcc, s[66:67], exec
	s_andn2_b64 s[64:65], s[64:65], exec
	s_and_b64 s[66:67], s[68:69], exec
	s_and_b64 s[70:71], s[70:71], exec
	s_or_b64 s[64:65], s[64:65], s[66:67]
.LBB14_1376:                            ;   in Loop: Header=BB14_17 Depth=1
	s_or_b64 exec, exec, s[62:63]
	s_andn2_b64 s[60:61], s[60:61], exec
	s_and_b64 vcc, vcc, exec
	s_andn2_b64 s[50:51], s[50:51], exec
	s_and_b64 s[62:63], s[70:71], exec
	s_or_b64 s[60:61], s[60:61], vcc
	s_andn2_b64 vcc, s[58:59], exec
	s_and_b64 s[58:59], s[64:65], exec
	s_or_b64 s[50:51], s[50:51], s[62:63]
	s_or_b64 s[58:59], vcc, s[58:59]
.LBB14_1377:                            ;   in Loop: Header=BB14_17 Depth=1
	s_or_b64 exec, exec, s[48:49]
	s_and_b64 s[50:51], s[50:51], exec
	s_and_b64 s[48:49], s[60:61], exec
	s_and_b64 vcc, s[58:59], exec
                                        ; implicit-def: $vgpr14_vgpr15
	s_andn2_saveexec_b64 s[56:57], s[56:57]
	s_cbranch_execz .LBB14_1202
.LBB14_1378:                            ;   in Loop: Header=BB14_17 Depth=1
	v_cmp_gt_i16_sdwa s[58:59], v7, v38 src0_sel:BYTE_0 src1_sel:DWORD
                                        ; implicit-def: $vgpr66
	s_and_saveexec_b64 s[60:61], s[58:59]
	s_xor_b64 s[58:59], exec, s[60:61]
	s_cbranch_execz .LBB14_1400
; %bb.1379:                             ;   in Loop: Header=BB14_17 Depth=1
	v_cmp_gt_i16_sdwa s[60:61], v7, v39 src0_sel:BYTE_0 src1_sel:DWORD
                                        ; implicit-def: $vgpr66
	s_and_saveexec_b64 s[62:63], s[60:61]
	s_xor_b64 s[60:61], exec, s[62:63]
	s_cbranch_execz .LBB14_1389
; %bb.1380:                             ;   in Loop: Header=BB14_17 Depth=1
	;; [unrolled: 6-line block ×4, first 2 shown]
	flat_load_dwordx2 v[14:15], v[14:15]
	s_waitcnt vmcnt(0) lgkmcnt(0)
	v_cvt_f32_f64_e32 v66, v[14:15]
                                        ; implicit-def: $vgpr14_vgpr15
.LBB14_1383:                            ;   in Loop: Header=BB14_17 Depth=1
	s_andn2_saveexec_b64 s[64:65], s[64:65]
	s_cbranch_execz .LBB14_1385
; %bb.1384:                             ;   in Loop: Header=BB14_17 Depth=1
	flat_load_dword v66, v[14:15]
.LBB14_1385:                            ;   in Loop: Header=BB14_17 Depth=1
	s_or_b64 exec, exec, s[64:65]
                                        ; implicit-def: $vgpr14_vgpr15
.LBB14_1386:                            ;   in Loop: Header=BB14_17 Depth=1
	s_andn2_saveexec_b64 s[62:63], s[62:63]
	s_cbranch_execz .LBB14_1388
; %bb.1387:                             ;   in Loop: Header=BB14_17 Depth=1
	flat_load_dword v14, v[14:15]
	s_waitcnt vmcnt(0) lgkmcnt(0)
	v_cvt_f32_f16_e32 v66, v14
.LBB14_1388:                            ;   in Loop: Header=BB14_17 Depth=1
	s_or_b64 exec, exec, s[62:63]
                                        ; implicit-def: $vgpr14_vgpr15
.LBB14_1389:                            ;   in Loop: Header=BB14_17 Depth=1
	s_andn2_saveexec_b64 s[60:61], s[60:61]
	s_cbranch_execz .LBB14_1399
; %bb.1390:                             ;   in Loop: Header=BB14_17 Depth=1
	v_cmp_gt_i16_sdwa s[62:63], v7, v50 src0_sel:BYTE_0 src1_sel:DWORD
                                        ; implicit-def: $vgpr66
	s_and_saveexec_b64 s[64:65], s[62:63]
	s_xor_b64 s[62:63], exec, s[64:65]
	s_cbranch_execz .LBB14_1396
; %bb.1391:                             ;   in Loop: Header=BB14_17 Depth=1
	v_cmp_gt_i16_sdwa s[64:65], v7, v51 src0_sel:BYTE_0 src1_sel:DWORD
                                        ; implicit-def: $vgpr66
	s_and_saveexec_b64 s[66:67], s[64:65]
	s_xor_b64 s[64:65], exec, s[66:67]
	s_cbranch_execz .LBB14_1393
; %bb.1392:                             ;   in Loop: Header=BB14_17 Depth=1
	flat_load_dwordx2 v[14:15], v[14:15]
	s_waitcnt vmcnt(0) lgkmcnt(0)
	v_cvt_f32_f64_e32 v66, v[14:15]
                                        ; implicit-def: $vgpr14_vgpr15
.LBB14_1393:                            ;   in Loop: Header=BB14_17 Depth=1
	s_andn2_saveexec_b64 s[64:65], s[64:65]
	s_cbranch_execz .LBB14_1395
; %bb.1394:                             ;   in Loop: Header=BB14_17 Depth=1
	s_waitcnt vmcnt(0) lgkmcnt(0)
	flat_load_dword v66, v[14:15]
.LBB14_1395:                            ;   in Loop: Header=BB14_17 Depth=1
	s_or_b64 exec, exec, s[64:65]
                                        ; implicit-def: $vgpr14_vgpr15
.LBB14_1396:                            ;   in Loop: Header=BB14_17 Depth=1
	s_andn2_saveexec_b64 s[62:63], s[62:63]
	s_cbranch_execz .LBB14_1398
; %bb.1397:                             ;   in Loop: Header=BB14_17 Depth=1
	flat_load_ushort v14, v[14:15]
	s_waitcnt vmcnt(0) lgkmcnt(0)
	v_cvt_f32_f16_e32 v66, v14
.LBB14_1398:                            ;   in Loop: Header=BB14_17 Depth=1
	s_or_b64 exec, exec, s[62:63]
.LBB14_1399:                            ;   in Loop: Header=BB14_17 Depth=1
	s_or_b64 exec, exec, s[60:61]
                                        ; implicit-def: $vgpr14_vgpr15
.LBB14_1400:                            ;   in Loop: Header=BB14_17 Depth=1
	s_andn2_saveexec_b64 s[58:59], s[58:59]
	s_cbranch_execz .LBB14_1418
; %bb.1401:                             ;   in Loop: Header=BB14_17 Depth=1
	v_cmp_gt_i16_sdwa s[60:61], v7, v52 src0_sel:BYTE_0 src1_sel:DWORD
                                        ; implicit-def: $vgpr66
	s_and_saveexec_b64 s[62:63], s[60:61]
	s_xor_b64 s[60:61], exec, s[62:63]
	s_cbranch_execz .LBB14_1411
; %bb.1402:                             ;   in Loop: Header=BB14_17 Depth=1
	v_cmp_gt_i16_sdwa s[62:63], v7, v53 src0_sel:BYTE_0 src1_sel:DWORD
                                        ; implicit-def: $vgpr66
	s_and_saveexec_b64 s[64:65], s[62:63]
	s_xor_b64 s[62:63], exec, s[64:65]
	;; [unrolled: 6-line block ×3, first 2 shown]
	s_cbranch_execz .LBB14_1405
; %bb.1404:                             ;   in Loop: Header=BB14_17 Depth=1
	flat_load_dwordx2 v[14:15], v[14:15]
	s_waitcnt vmcnt(0) lgkmcnt(0)
	v_xor_b32_e32 v66, v14, v15
	v_ffbh_i32_e32 v65, v15
	v_ashrrev_i32_e32 v66, 31, v66
	v_add_u32_e32 v65, -1, v65
	v_add_u32_e32 v66, 32, v66
	v_min_u32_e32 v65, v65, v66
	v_lshlrev_b64 v[14:15], v65, v[14:15]
	v_min_u32_e32 v14, 1, v14
	v_or_b32_e32 v14, v15, v14
	v_cvt_f32_i32_e32 v14, v14
	v_sub_u32_e32 v15, 32, v65
	v_ldexp_f32 v66, v14, v15
                                        ; implicit-def: $vgpr14_vgpr15
.LBB14_1405:                            ;   in Loop: Header=BB14_17 Depth=1
	s_andn2_saveexec_b64 s[64:65], s[64:65]
	s_cbranch_execz .LBB14_1407
; %bb.1406:                             ;   in Loop: Header=BB14_17 Depth=1
	flat_load_dword v14, v[14:15]
	s_waitcnt vmcnt(0) lgkmcnt(0)
	v_cvt_f32_i32_e32 v66, v14
.LBB14_1407:                            ;   in Loop: Header=BB14_17 Depth=1
	s_or_b64 exec, exec, s[64:65]
                                        ; implicit-def: $vgpr14_vgpr15
.LBB14_1408:                            ;   in Loop: Header=BB14_17 Depth=1
	s_andn2_saveexec_b64 s[62:63], s[62:63]
	s_cbranch_execz .LBB14_1410
; %bb.1409:                             ;   in Loop: Header=BB14_17 Depth=1
	flat_load_sshort v14, v[14:15]
	s_waitcnt vmcnt(0) lgkmcnt(0)
	v_cvt_f32_i32_e32 v66, v14
.LBB14_1410:                            ;   in Loop: Header=BB14_17 Depth=1
	s_or_b64 exec, exec, s[62:63]
                                        ; implicit-def: $vgpr14_vgpr15
.LBB14_1411:                            ;   in Loop: Header=BB14_17 Depth=1
	s_andn2_saveexec_b64 s[60:61], s[60:61]
	s_cbranch_execz .LBB14_1417
; %bb.1412:                             ;   in Loop: Header=BB14_17 Depth=1
	v_cmp_gt_i16_sdwa s[62:63], v7, v16 src0_sel:BYTE_0 src1_sel:DWORD
                                        ; implicit-def: $vgpr66
	s_and_saveexec_b64 s[64:65], s[62:63]
	s_xor_b64 s[62:63], exec, s[64:65]
	s_cbranch_execz .LBB14_1414
; %bb.1413:                             ;   in Loop: Header=BB14_17 Depth=1
	flat_load_sbyte v14, v[14:15]
	s_waitcnt vmcnt(0) lgkmcnt(0)
	v_cvt_f32_i32_e32 v66, v14
                                        ; implicit-def: $vgpr14_vgpr15
.LBB14_1414:                            ;   in Loop: Header=BB14_17 Depth=1
	s_andn2_saveexec_b64 s[62:63], s[62:63]
	s_cbranch_execz .LBB14_1416
; %bb.1415:                             ;   in Loop: Header=BB14_17 Depth=1
	flat_load_ubyte v14, v[14:15]
	s_waitcnt vmcnt(0) lgkmcnt(0)
	v_cvt_f32_ubyte0_e32 v66, v14
.LBB14_1416:                            ;   in Loop: Header=BB14_17 Depth=1
	s_or_b64 exec, exec, s[62:63]
.LBB14_1417:                            ;   in Loop: Header=BB14_17 Depth=1
	s_or_b64 exec, exec, s[60:61]
.LBB14_1418:                            ;   in Loop: Header=BB14_17 Depth=1
	s_or_b64 exec, exec, s[58:59]
	s_andn2_b64 s[50:51], s[50:51], exec
	s_andn2_b64 s[48:49], s[48:49], exec
	s_or_b64 vcc, vcc, exec
	s_or_b64 exec, exec, s[56:57]
	s_mov_b64 s[58:59], 0
	s_and_saveexec_b64 s[56:57], vcc
	s_cbranch_execz .LBB14_1424
.LBB14_1419:                            ;   in Loop: Header=BB14_17 Depth=1
	v_mul_lo_u32 v14, v64, v10
	v_readlane_b32 s58, v44, 0
	v_add_co_u32_e32 v14, vcc, v4, v14
	v_add_u32_e32 v65, s58, v17
	v_addc_co_u32_e32 v15, vcc, 0, v5, vcc
	v_cmp_gt_i16_sdwa s[58:59], v8, v18 src0_sel:BYTE_0 src1_sel:DWORD
	s_mov_b64 s[62:63], 0
	s_waitcnt vmcnt(0) lgkmcnt(0)
	buffer_store_dword v66, v65, s[0:3], 0 offen offset:52
                                        ; implicit-def: $vcc
                                        ; implicit-def: $sgpr60_sgpr61
                                        ; implicit-def: $vgpr64
	s_and_saveexec_b64 s[64:65], s[58:59]
	s_xor_b64 s[58:59], exec, s[64:65]
	s_cbranch_execnz .LBB14_1446
; %bb.1420:                             ;   in Loop: Header=BB14_17 Depth=1
	s_andn2_saveexec_b64 s[58:59], s[58:59]
	s_cbranch_execnz .LBB14_1505
.LBB14_1421:                            ;   in Loop: Header=BB14_17 Depth=1
	s_or_b64 exec, exec, s[58:59]
	s_mov_b64 s[58:59], 0
	s_and_saveexec_b64 s[64:65], s[62:63]
	s_cbranch_execz .LBB14_1423
.LBB14_1422:                            ;   in Loop: Header=BB14_17 Depth=1
	s_mov_b64 s[58:59], exec
	v_add_u32_e32 v55, 0x200, v55
	s_andn2_b64 s[60:61], s[60:61], exec
	s_andn2_b64 vcc, vcc, exec
	s_waitcnt vmcnt(0) lgkmcnt(0)
	buffer_store_dword v64, v65, s[0:3], 0 offen offset:48
.LBB14_1423:                            ;   in Loop: Header=BB14_17 Depth=1
	s_or_b64 exec, exec, s[64:65]
	s_andn2_b64 s[50:51], s[50:51], exec
	s_and_b64 s[60:61], s[60:61], exec
	s_andn2_b64 s[48:49], s[48:49], exec
	s_and_b64 vcc, vcc, exec
	s_or_b64 s[50:51], s[50:51], s[60:61]
	s_or_b64 s[48:49], s[48:49], vcc
	s_and_b64 s[58:59], s[58:59], exec
.LBB14_1424:                            ;   in Loop: Header=BB14_17 Depth=1
	s_or_b64 exec, exec, s[56:57]
	s_and_b64 s[50:51], s[50:51], exec
	s_and_b64 s[48:49], s[48:49], exec
	s_orn2_b64 s[56:57], s[58:59], exec
.LBB14_1425:                            ;   in Loop: Header=BB14_17 Depth=1
	s_or_b64 exec, exec, s[52:53]
	s_and_saveexec_b64 s[52:53], s[56:57]
	s_cbranch_execz .LBB14_10
; %bb.1426:                             ;   in Loop: Header=BB14_17 Depth=1
	v_cmp_lt_i32_e32 vcc, v55, v6
	s_mov_b64 s[60:61], -1
	s_mov_b64 s[62:63], -1
                                        ; implicit-def: $sgpr54_sgpr55
                                        ; implicit-def: $sgpr56_sgpr57
	s_and_saveexec_b64 s[58:59], vcc
	s_cbranch_execz .LBB14_1652
; %bb.1427:                             ;   in Loop: Header=BB14_17 Depth=1
	v_readlane_b32 vcc_lo, v44, 1
	s_waitcnt vmcnt(0) lgkmcnt(0)
	v_add_u32_e32 v64, vcc_lo, v55
	v_mul_lo_u32 v14, v64, v9
	v_add_co_u32_e32 v14, vcc, v2, v14
	v_addc_co_u32_e32 v15, vcc, 0, v3, vcc
	v_cmp_gt_i16_sdwa s[62:63], v7, v18 src0_sel:BYTE_0 src1_sel:DWORD
	s_mov_b64 vcc, 0
                                        ; implicit-def: $sgpr54_sgpr55
                                        ; implicit-def: $sgpr56_sgpr57
                                        ; implicit-def: $vgpr66
	s_and_saveexec_b64 s[64:65], s[62:63]
	s_xor_b64 s[62:63], exec, s[64:65]
	s_cbranch_execnz .LBB14_1546
; %bb.1428:                             ;   in Loop: Header=BB14_17 Depth=1
	s_andn2_saveexec_b64 s[62:63], s[62:63]
	s_cbranch_execnz .LBB14_1605
.LBB14_1429:                            ;   in Loop: Header=BB14_17 Depth=1
	s_or_b64 exec, exec, s[62:63]
	s_mov_b64 s[64:65], 0
	s_and_saveexec_b64 s[62:63], vcc
	s_cbranch_execnz .LBB14_1646
	s_branch .LBB14_1651
.LBB14_1430:                            ;   in Loop: Header=BB14_17 Depth=1
	s_movk_i32 vcc_lo, 0x80
	v_cmp_eq_u16_e32 vcc, vcc_lo, v14
	s_mov_b64 s[44:45], -1
                                        ; implicit-def: $sgpr50
	s_and_saveexec_b64 s[48:49], vcc
; %bb.1431:                             ;   in Loop: Header=BB14_17 Depth=1
	s_mov_b32 s50, 0x7f800001
	s_xor_b64 s[44:45], exec, -1
; %bb.1432:                             ;   in Loop: Header=BB14_17 Depth=1
	s_or_b64 exec, exec, s[48:49]
	s_and_b64 s[44:45], s[44:45], exec
	s_or_saveexec_b64 s[46:47], s[46:47]
	v_mov_b32_e32 v64, s50
	s_xor_b64 exec, exec, s[46:47]
	s_cbranch_execz .LBB14_381
.LBB14_1433:                            ;   in Loop: Header=BB14_17 Depth=1
	v_cmp_ne_u16_e32 vcc, 0, v14
	s_andn2_b64 s[44:45], s[44:45], exec
	s_and_b64 vcc, vcc, exec
	v_mov_b32_e32 v64, 0
	s_or_b64 s[44:45], s[44:45], vcc
	s_or_b64 exec, exec, s[46:47]
	s_and_saveexec_b64 s[46:47], s[44:45]
	s_cbranch_execnz .LBB14_382
	s_branch .LBB14_383
.LBB14_1434:                            ;   in Loop: Header=BB14_17 Depth=1
	s_movk_i32 vcc_lo, 0x80
	v_cmp_eq_u16_e32 vcc, vcc_lo, v14
	s_mov_b64 s[44:45], -1
                                        ; implicit-def: $sgpr50
	s_and_saveexec_b64 s[48:49], vcc
; %bb.1435:                             ;   in Loop: Header=BB14_17 Depth=1
	s_mov_b32 s50, 0x7f800001
	s_xor_b64 s[44:45], exec, -1
; %bb.1436:                             ;   in Loop: Header=BB14_17 Depth=1
	s_or_b64 exec, exec, s[48:49]
	s_and_b64 s[44:45], s[44:45], exec
	s_or_saveexec_b64 s[46:47], s[46:47]
	v_mov_b32_e32 v66, s50
	s_xor_b64 exec, exec, s[46:47]
	s_cbranch_execz .LBB14_481
.LBB14_1437:                            ;   in Loop: Header=BB14_17 Depth=1
	v_cmp_ne_u16_e32 vcc, 0, v14
	s_andn2_b64 s[44:45], s[44:45], exec
	s_and_b64 vcc, vcc, exec
	v_mov_b32_e32 v66, 0
	s_or_b64 s[44:45], s[44:45], vcc
	s_or_b64 exec, exec, s[46:47]
	s_and_saveexec_b64 s[46:47], s[44:45]
	s_cbranch_execnz .LBB14_482
	s_branch .LBB14_483
.LBB14_1438:                            ;   in Loop: Header=BB14_17 Depth=1
	s_movk_i32 vcc_lo, 0x80
	v_cmp_eq_u16_e32 vcc, vcc_lo, v14
	s_mov_b64 s[48:49], -1
                                        ; implicit-def: $sgpr54
	s_and_saveexec_b64 s[52:53], vcc
; %bb.1439:                             ;   in Loop: Header=BB14_17 Depth=1
	s_mov_b32 s54, 0x7f800001
	s_xor_b64 s[48:49], exec, -1
; %bb.1440:                             ;   in Loop: Header=BB14_17 Depth=1
	s_or_b64 exec, exec, s[52:53]
	s_and_b64 s[48:49], s[48:49], exec
	s_or_saveexec_b64 s[50:51], s[50:51]
	v_mov_b32_e32 v64, s54
	s_xor_b64 exec, exec, s[50:51]
	s_cbranch_execz .LBB14_581
.LBB14_1441:                            ;   in Loop: Header=BB14_17 Depth=1
	v_cmp_ne_u16_e32 vcc, 0, v14
	s_andn2_b64 s[48:49], s[48:49], exec
	s_and_b64 vcc, vcc, exec
	v_mov_b32_e32 v64, 0
	s_or_b64 s[48:49], s[48:49], vcc
	s_or_b64 exec, exec, s[50:51]
	s_and_saveexec_b64 s[50:51], s[48:49]
	s_cbranch_execnz .LBB14_582
	s_branch .LBB14_583
.LBB14_1442:                            ;   in Loop: Header=BB14_17 Depth=1
	s_movk_i32 vcc_lo, 0x80
	v_cmp_eq_u16_e32 vcc, vcc_lo, v14
	s_mov_b64 s[48:49], -1
                                        ; implicit-def: $sgpr54
	s_and_saveexec_b64 s[52:53], vcc
; %bb.1443:                             ;   in Loop: Header=BB14_17 Depth=1
	s_mov_b32 s54, 0x7f800001
	s_xor_b64 s[48:49], exec, -1
; %bb.1444:                             ;   in Loop: Header=BB14_17 Depth=1
	s_or_b64 exec, exec, s[52:53]
	s_and_b64 s[48:49], s[48:49], exec
	s_or_saveexec_b64 s[50:51], s[50:51]
	v_mov_b32_e32 v66, s54
	s_xor_b64 exec, exec, s[50:51]
	s_cbranch_execz .LBB14_681
.LBB14_1445:                            ;   in Loop: Header=BB14_17 Depth=1
	v_cmp_ne_u16_e32 vcc, 0, v14
	s_andn2_b64 s[48:49], s[48:49], exec
	s_and_b64 vcc, vcc, exec
	v_mov_b32_e32 v66, 0
	s_or_b64 s[48:49], s[48:49], vcc
	s_or_b64 exec, exec, s[50:51]
	s_and_saveexec_b64 s[50:51], s[48:49]
	s_cbranch_execnz .LBB14_682
	s_branch .LBB14_683
.LBB14_1446:                            ;   in Loop: Header=BB14_17 Depth=1
	v_cmp_gt_i16_sdwa vcc, v8, v19 src0_sel:BYTE_0 src1_sel:DWORD
                                        ; implicit-def: $sgpr64_sgpr65
                                        ; implicit-def: $sgpr66_sgpr67
                                        ; implicit-def: $vgpr64
	s_and_saveexec_b64 s[60:61], vcc
	s_xor_b64 s[60:61], exec, s[60:61]
	s_cbranch_execz .LBB14_1478
; %bb.1447:                             ;   in Loop: Header=BB14_17 Depth=1
	v_cmp_gt_i16_sdwa vcc, v8, v20 src0_sel:BYTE_0 src1_sel:DWORD
                                        ; implicit-def: $sgpr64_sgpr65
                                        ; implicit-def: $sgpr68_sgpr69
                                        ; implicit-def: $vgpr64
	s_and_saveexec_b64 s[66:67], vcc
	s_xor_b64 s[66:67], exec, s[66:67]
	s_cbranch_execz .LBB14_1463
; %bb.1448:                             ;   in Loop: Header=BB14_17 Depth=1
	v_cmp_gt_i16_sdwa s[62:63], v8, v21 src0_sel:BYTE_0 src1_sel:DWORD
	s_mov_b64 s[70:71], 0
                                        ; implicit-def: $vcc
                                        ; implicit-def: $sgpr68_sgpr69
                                        ; implicit-def: $vgpr64
	s_and_saveexec_b64 s[64:65], s[62:63]
	s_xor_b64 s[62:63], exec, s[64:65]
	s_cbranch_execz .LBB14_1458
; %bb.1449:                             ;   in Loop: Header=BB14_17 Depth=1
	v_cmp_gt_i16_sdwa vcc, v8, v22 src0_sel:BYTE_0 src1_sel:DWORD
                                        ; implicit-def: $sgpr68_sgpr69
                                        ; implicit-def: $sgpr64_sgpr65
                                        ; implicit-def: $vgpr64
	s_and_saveexec_b64 s[72:73], vcc
	s_xor_b64 vcc, exec, s[72:73]
	s_cbranch_execz .LBB14_1453
; %bb.1450:                             ;   in Loop: Header=BB14_17 Depth=1
	v_cmp_eq_u16_sdwa s[72:73], v8, v23 src0_sel:BYTE_0 src1_sel:DWORD
	s_mov_b64 s[64:65], 0
                                        ; implicit-def: $vgpr64
	s_and_saveexec_b64 s[68:69], s[72:73]
	s_cbranch_execz .LBB14_1452
; %bb.1451:                             ;   in Loop: Header=BB14_17 Depth=1
	flat_load_dword v14, v[14:15]
	s_mov_b64 s[70:71], exec
	s_waitcnt vmcnt(0) lgkmcnt(0)
	v_lshlrev_b32_e32 v64, 16, v14
.LBB14_1452:                            ;   in Loop: Header=BB14_17 Depth=1
	s_or_b64 exec, exec, s[68:69]
	s_mov_b64 s[68:69], -1
	s_and_b64 s[70:71], s[70:71], exec
                                        ; implicit-def: $vgpr14_vgpr15
.LBB14_1453:                            ;   in Loop: Header=BB14_17 Depth=1
	s_andn2_saveexec_b64 s[72:73], vcc
	s_cbranch_execz .LBB14_1457
; %bb.1454:                             ;   in Loop: Header=BB14_17 Depth=1
	v_cmp_eq_u16_sdwa s[76:77], v8, v24 src0_sel:BYTE_0 src1_sel:DWORD
	s_mov_b64 vcc, s[70:71]
                                        ; implicit-def: $vgpr64
	s_and_saveexec_b64 s[74:75], s[76:77]
	s_cbranch_execz .LBB14_1456
; %bb.1455:                             ;   in Loop: Header=BB14_17 Depth=1
	flat_load_ubyte v14, v[14:15]
	s_movk_i32 vcc_lo, 0xff
	s_waitcnt vmcnt(0) lgkmcnt(0)
	v_lshlrev_b32_e32 v15, 23, v14
	v_cmp_ne_u32_e32 vcc, vcc_lo, v14
	v_cndmask_b32_e32 v15, v25, v15, vcc
	v_cmp_ne_u32_e32 vcc, 0, v14
	v_cndmask_b32_e32 v64, v26, v15, vcc
	s_or_b64 vcc, s[70:71], exec
.LBB14_1456:                            ;   in Loop: Header=BB14_17 Depth=1
	s_or_b64 exec, exec, s[74:75]
	s_andn2_b64 s[70:71], s[70:71], exec
	s_and_b64 vcc, vcc, exec
	s_or_b64 s[68:69], s[68:69], exec
	s_andn2_b64 s[64:65], s[64:65], exec
	s_or_b64 s[70:71], s[70:71], vcc
.LBB14_1457:                            ;   in Loop: Header=BB14_17 Depth=1
	s_or_b64 exec, exec, s[72:73]
	s_and_b64 s[68:69], s[68:69], exec
	s_and_b64 vcc, s[64:65], exec
	s_and_b64 s[70:71], s[70:71], exec
                                        ; implicit-def: $vgpr14_vgpr15
.LBB14_1458:                            ;   in Loop: Header=BB14_17 Depth=1
	s_andn2_saveexec_b64 s[62:63], s[62:63]
	s_cbranch_execz .LBB14_1462
; %bb.1459:                             ;   in Loop: Header=BB14_17 Depth=1
	v_cmp_eq_u16_sdwa s[74:75], v8, v27 src0_sel:BYTE_0 src1_sel:DWORD
	s_mov_b64 s[72:73], s[70:71]
                                        ; implicit-def: $vgpr64
	s_and_saveexec_b64 s[64:65], s[74:75]
	s_cbranch_execz .LBB14_1461
; %bb.1460:                             ;   in Loop: Header=BB14_17 Depth=1
	flat_load_dwordx2 v[14:15], v[14:15]
	s_or_b64 s[72:73], s[70:71], exec
	s_waitcnt vmcnt(0) lgkmcnt(0)
	v_ffbh_u32_e32 v64, v15
	v_min_u32_e32 v64, 32, v64
	v_lshlrev_b64 v[14:15], v64, v[14:15]
	v_min_u32_e32 v14, 1, v14
	v_or_b32_e32 v14, v15, v14
	v_cvt_f32_u32_e32 v14, v14
	v_sub_u32_e32 v15, 32, v64
	v_ldexp_f32 v64, v14, v15
.LBB14_1461:                            ;   in Loop: Header=BB14_17 Depth=1
	s_or_b64 exec, exec, s[64:65]
	s_andn2_b64 s[64:65], s[70:71], exec
	s_and_b64 s[70:71], s[72:73], exec
	s_or_b64 s[68:69], s[68:69], exec
	s_andn2_b64 vcc, vcc, exec
	s_or_b64 s[70:71], s[64:65], s[70:71]
.LBB14_1462:                            ;   in Loop: Header=BB14_17 Depth=1
	s_or_b64 exec, exec, s[62:63]
	s_and_b64 s[68:69], s[68:69], exec
	s_and_b64 s[64:65], vcc, exec
	s_and_b64 s[62:63], s[70:71], exec
                                        ; implicit-def: $vgpr14_vgpr15
.LBB14_1463:                            ;   in Loop: Header=BB14_17 Depth=1
	s_andn2_saveexec_b64 s[66:67], s[66:67]
	s_cbranch_execz .LBB14_1477
; %bb.1464:                             ;   in Loop: Header=BB14_17 Depth=1
	v_cmp_gt_i16_sdwa vcc, v8, v28 src0_sel:BYTE_0 src1_sel:DWORD
                                        ; implicit-def: $vgpr64
	s_and_saveexec_b64 s[70:71], vcc
	s_xor_b64 vcc, exec, s[70:71]
	s_cbranch_execz .LBB14_1470
; %bb.1465:                             ;   in Loop: Header=BB14_17 Depth=1
	v_cmp_gt_i16_sdwa s[70:71], v8, v29 src0_sel:BYTE_0 src1_sel:DWORD
                                        ; implicit-def: $vgpr64
	s_and_saveexec_b64 s[72:73], s[70:71]
	s_xor_b64 s[70:71], exec, s[72:73]
	s_cbranch_execz .LBB14_1467
; %bb.1466:                             ;   in Loop: Header=BB14_17 Depth=1
	flat_load_dword v14, v[14:15]
	s_waitcnt vmcnt(0) lgkmcnt(0)
	v_cvt_f32_u32_e32 v64, v14
                                        ; implicit-def: $vgpr14_vgpr15
.LBB14_1467:                            ;   in Loop: Header=BB14_17 Depth=1
	s_andn2_saveexec_b64 s[70:71], s[70:71]
	s_cbranch_execz .LBB14_1469
; %bb.1468:                             ;   in Loop: Header=BB14_17 Depth=1
	flat_load_ushort v14, v[14:15]
	s_waitcnt vmcnt(0) lgkmcnt(0)
	v_cvt_f32_u32_e32 v64, v14
.LBB14_1469:                            ;   in Loop: Header=BB14_17 Depth=1
	s_or_b64 exec, exec, s[70:71]
                                        ; implicit-def: $vgpr14_vgpr15
.LBB14_1470:                            ;   in Loop: Header=BB14_17 Depth=1
	s_andn2_saveexec_b64 s[70:71], vcc
	s_cbranch_execz .LBB14_1476
; %bb.1471:                             ;   in Loop: Header=BB14_17 Depth=1
	flat_load_ubyte v14, v[14:15]
	s_movk_i32 vcc_lo, 0x7f
	s_mov_b64 s[72:73], 0
                                        ; implicit-def: $sgpr78
	s_waitcnt vmcnt(0) lgkmcnt(0)
	v_cmp_lt_i16_e32 vcc, vcc_lo, v14
	s_and_saveexec_b64 s[74:75], vcc
	s_xor_b64 s[74:75], exec, s[74:75]
	s_cbranch_execnz .LBB14_2346
; %bb.1472:                             ;   in Loop: Header=BB14_17 Depth=1
	s_or_saveexec_b64 s[74:75], s[74:75]
	v_mov_b32_e32 v64, s78
	s_xor_b64 exec, exec, s[74:75]
	s_cbranch_execnz .LBB14_2349
.LBB14_1473:                            ;   in Loop: Header=BB14_17 Depth=1
	s_or_b64 exec, exec, s[74:75]
	s_and_saveexec_b64 s[74:75], s[72:73]
	s_cbranch_execz .LBB14_1475
.LBB14_1474:                            ;   in Loop: Header=BB14_17 Depth=1
	v_lshlrev_b32_e32 v15, 24, v14
	v_and_b32_e32 v14, 0xffff, v14
	v_and_b32_e32 v64, 7, v14
	v_ffbh_u32_e32 v67, v64
	v_min_u32_e32 v67, 32, v67
	v_subrev_u32_e32 v68, 28, v67
	v_bfe_u32 v66, v14, 3, 4
	v_lshlrev_b32_e32 v14, v68, v14
	v_sub_u32_e32 v67, 29, v67
	v_and_b32_e32 v14, 7, v14
	v_cmp_eq_u32_e32 vcc, 0, v66
	v_cndmask_b32_e32 v66, v66, v67, vcc
	v_cndmask_b32_e32 v14, v64, v14, vcc
	v_lshlrev_b32_e32 v14, 20, v14
	v_and_b32_e32 v15, 0x80000000, v15
	v_lshl_add_u32 v64, v66, 23, v30
	v_or3_b32 v64, v15, v64, v14
.LBB14_1475:                            ;   in Loop: Header=BB14_17 Depth=1
	s_or_b64 exec, exec, s[74:75]
.LBB14_1476:                            ;   in Loop: Header=BB14_17 Depth=1
	s_or_b64 exec, exec, s[70:71]
	s_andn2_b64 s[68:69], s[68:69], exec
	s_andn2_b64 s[64:65], s[64:65], exec
	s_or_b64 s[62:63], s[62:63], exec
.LBB14_1477:                            ;   in Loop: Header=BB14_17 Depth=1
	s_or_b64 exec, exec, s[66:67]
	s_and_b64 s[66:67], s[68:69], exec
	s_and_b64 s[64:65], s[64:65], exec
	;; [unrolled: 1-line block ×3, first 2 shown]
                                        ; implicit-def: $vgpr14_vgpr15
.LBB14_1478:                            ;   in Loop: Header=BB14_17 Depth=1
	s_andn2_saveexec_b64 s[60:61], s[60:61]
	s_cbranch_execz .LBB14_1504
; %bb.1479:                             ;   in Loop: Header=BB14_17 Depth=1
	v_cmp_gt_i16_sdwa vcc, v8, v31 src0_sel:BYTE_0 src1_sel:DWORD
	s_mov_b64 s[70:71], s[62:63]
                                        ; implicit-def: $vgpr64
	s_and_saveexec_b64 s[68:69], vcc
	s_xor_b64 s[68:69], exec, s[68:69]
	s_cbranch_execz .LBB14_1493
; %bb.1480:                             ;   in Loop: Header=BB14_17 Depth=1
	v_cmp_gt_i16_sdwa vcc, v8, v32 src0_sel:BYTE_0 src1_sel:DWORD
                                        ; implicit-def: $vgpr64
	s_and_saveexec_b64 s[70:71], vcc
	s_xor_b64 s[70:71], exec, s[70:71]
	s_cbranch_execz .LBB14_1490
; %bb.1481:                             ;   in Loop: Header=BB14_17 Depth=1
	v_cmp_gt_i16_sdwa vcc, v8, v33 src0_sel:BYTE_0 src1_sel:DWORD
                                        ; implicit-def: $vgpr64
	s_and_saveexec_b64 s[72:73], vcc
	s_xor_b64 s[72:73], exec, s[72:73]
	s_cbranch_execz .LBB14_1487
; %bb.1482:                             ;   in Loop: Header=BB14_17 Depth=1
	flat_load_ubyte v14, v[14:15]
	s_movk_i32 vcc_lo, 0x7f
	s_mov_b64 s[74:75], 0
                                        ; implicit-def: $sgpr80
	s_waitcnt vmcnt(0) lgkmcnt(0)
	v_cmp_lt_i16_e32 vcc, vcc_lo, v14
	s_and_saveexec_b64 s[76:77], vcc
	s_xor_b64 s[76:77], exec, s[76:77]
	s_cbranch_execnz .LBB14_2565
; %bb.1483:                             ;   in Loop: Header=BB14_17 Depth=1
	s_or_saveexec_b64 s[76:77], s[76:77]
	v_mov_b32_e32 v64, s80
	s_xor_b64 exec, exec, s[76:77]
	s_cbranch_execnz .LBB14_2568
.LBB14_1484:                            ;   in Loop: Header=BB14_17 Depth=1
	s_or_b64 exec, exec, s[76:77]
	s_and_saveexec_b64 s[76:77], s[74:75]
	s_cbranch_execz .LBB14_1486
.LBB14_1485:                            ;   in Loop: Header=BB14_17 Depth=1
	v_lshlrev_b32_e32 v15, 24, v14
	v_and_b32_e32 v14, 0xffff, v14
	v_and_b32_e32 v64, 3, v14
	v_ffbh_u32_e32 v67, v64
	v_min_u32_e32 v67, 32, v67
	v_subrev_u32_e32 v68, 29, v67
	v_bfe_u32 v66, v14, 2, 5
	v_lshlrev_b32_e32 v14, v68, v14
	v_sub_u32_e32 v67, 30, v67
	v_and_b32_e32 v14, 3, v14
	v_cmp_eq_u32_e32 vcc, 0, v66
	v_cndmask_b32_e32 v66, v66, v67, vcc
	v_cndmask_b32_e32 v14, v64, v14, vcc
	v_lshlrev_b32_e32 v14, 21, v14
	v_and_b32_e32 v15, 0x80000000, v15
	v_lshl_add_u32 v64, v66, 23, v34
	v_or3_b32 v64, v15, v64, v14
.LBB14_1486:                            ;   in Loop: Header=BB14_17 Depth=1
	s_or_b64 exec, exec, s[76:77]
                                        ; implicit-def: $vgpr14_vgpr15
.LBB14_1487:                            ;   in Loop: Header=BB14_17 Depth=1
	s_andn2_saveexec_b64 s[72:73], s[72:73]
	s_cbranch_execz .LBB14_1489
; %bb.1488:                             ;   in Loop: Header=BB14_17 Depth=1
	flat_load_ubyte v14, v[14:15]
	s_mov_b32 vcc_lo, 0x7f800000
	s_waitcnt vmcnt(0) lgkmcnt(0)
	v_lshlrev_b32_e32 v14, 24, v14
	v_and_b32_e32 v15, 0x7f000000, v14
	v_ffbh_u32_e32 v64, v15
	v_min_u32_e32 v64, 32, v64
	v_sub_u32_e64 v64, v64, 4 clamp
	v_lshlrev_b32_e32 v67, v64, v15
	v_lshlrev_b32_e32 v64, 23, v64
	v_lshrrev_b32_e32 v67, 4, v67
	v_add_u32_e32 v66, 0x1000000, v15
	v_sub_u32_e32 v64, v67, v64
	v_ashrrev_i32_e32 v66, 8, v66
	v_add_u32_e32 v64, 0x3c000000, v64
	v_and_or_b32 v64, v66, vcc_lo, v64
	v_cmp_ne_u32_e32 vcc, 0, v15
	v_cndmask_b32_e32 v15, 0, v64, vcc
	s_brev_b32 vcc_lo, 1
	v_and_or_b32 v64, v14, vcc_lo, v15
.LBB14_1489:                            ;   in Loop: Header=BB14_17 Depth=1
	s_or_b64 exec, exec, s[72:73]
                                        ; implicit-def: $vgpr14_vgpr15
.LBB14_1490:                            ;   in Loop: Header=BB14_17 Depth=1
	s_andn2_saveexec_b64 s[70:71], s[70:71]
	s_cbranch_execz .LBB14_1492
; %bb.1491:                             ;   in Loop: Header=BB14_17 Depth=1
	flat_load_ubyte v14, v[14:15]
	s_movk_i32 vcc_lo, 0x7f00
	s_waitcnt vmcnt(0) lgkmcnt(0)
	v_lshlrev_b16_e32 v15, 8, v14
	v_lshlrev_b32_e32 v14, 25, v14
	v_lshrrev_b32_e32 v64, 4, v14
	v_and_or_b32 v66, v15, vcc_lo, 0.5
	v_or_b32_e32 v64, 0x70000000, v64
	s_brev_b32 vcc_lo, 16
	v_add_f32_e32 v66, -0.5, v66
	v_mul_f32_e32 v64, 0x7800000, v64
	v_cmp_gt_u32_e32 vcc, vcc_lo, v14
	v_cndmask_b32_e32 v14, v64, v66, vcc
	v_bfe_i32 v15, v15, 0, 16
	s_brev_b32 vcc_lo, 1
	v_and_or_b32 v64, v15, vcc_lo, v14
.LBB14_1492:                            ;   in Loop: Header=BB14_17 Depth=1
	s_or_b64 exec, exec, s[70:71]
	s_or_b64 s[70:71], s[62:63], exec
                                        ; implicit-def: $vgpr14_vgpr15
.LBB14_1493:                            ;   in Loop: Header=BB14_17 Depth=1
	s_or_saveexec_b64 s[68:69], s[68:69]
                                        ; implicit-def: $vcc
                                        ; implicit-def: $sgpr76_sgpr77
	s_xor_b64 exec, exec, s[68:69]
	s_cbranch_execz .LBB14_1503
; %bb.1494:                             ;   in Loop: Header=BB14_17 Depth=1
	v_cmp_gt_i16_sdwa vcc, v8, v35 src0_sel:BYTE_0 src1_sel:DWORD
	s_mov_b64 s[74:75], s[70:71]
                                        ; implicit-def: $sgpr76_sgpr77
                                        ; implicit-def: $sgpr72_sgpr73
                                        ; implicit-def: $vgpr64
	s_and_saveexec_b64 s[78:79], vcc
	s_xor_b64 vcc, exec, s[78:79]
	s_cbranch_execz .LBB14_1498
; %bb.1495:                             ;   in Loop: Header=BB14_17 Depth=1
	v_cmp_eq_u16_sdwa s[76:77], v8, v36 src0_sel:BYTE_0 src1_sel:DWORD
	s_mov_b64 s[74:75], s[70:71]
                                        ; implicit-def: $vgpr64
	s_and_saveexec_b64 s[72:73], s[76:77]
	s_cbranch_execz .LBB14_1497
; %bb.1496:                             ;   in Loop: Header=BB14_17 Depth=1
	flat_load_ushort v14, v[14:15]
	s_or_b64 s[74:75], s[70:71], exec
	s_waitcnt vmcnt(0) lgkmcnt(0)
	v_lshlrev_b32_e32 v64, 16, v14
.LBB14_1497:                            ;   in Loop: Header=BB14_17 Depth=1
	s_or_b64 exec, exec, s[72:73]
	s_andn2_b64 s[78:79], s[70:71], exec
	s_and_b64 s[74:75], s[74:75], exec
	s_mov_b64 s[72:73], 0
	s_mov_b64 s[76:77], -1
	s_or_b64 s[74:75], s[78:79], s[74:75]
                                        ; implicit-def: $vgpr14_vgpr15
.LBB14_1498:                            ;   in Loop: Header=BB14_17 Depth=1
	s_andn2_saveexec_b64 s[78:79], vcc
	s_cbranch_execz .LBB14_1502
; %bb.1499:                             ;   in Loop: Header=BB14_17 Depth=1
	v_cmp_eq_u16_sdwa s[82:83], v8, v37 src0_sel:BYTE_0 src1_sel:DWORD
	s_mov_b64 vcc, s[74:75]
                                        ; implicit-def: $vgpr64
	s_and_saveexec_b64 s[80:81], s[82:83]
	s_cbranch_execz .LBB14_1501
; %bb.1500:                             ;   in Loop: Header=BB14_17 Depth=1
	flat_load_ubyte v14, v[14:15]
	s_waitcnt vmcnt(0) lgkmcnt(0)
	v_cmp_ne_u16_e32 vcc, 0, v14
	v_cndmask_b32_e64 v64, 0, 1.0, vcc
	s_or_b64 vcc, s[74:75], exec
.LBB14_1501:                            ;   in Loop: Header=BB14_17 Depth=1
	s_or_b64 exec, exec, s[80:81]
	s_andn2_b64 s[74:75], s[74:75], exec
	s_and_b64 vcc, vcc, exec
	s_or_b64 s[76:77], s[76:77], exec
	s_andn2_b64 s[72:73], s[72:73], exec
	s_or_b64 s[74:75], s[74:75], vcc
.LBB14_1502:                            ;   in Loop: Header=BB14_17 Depth=1
	s_or_b64 exec, exec, s[78:79]
	s_and_b64 vcc, s[72:73], exec
	s_andn2_b64 s[70:71], s[70:71], exec
	s_and_b64 s[72:73], s[74:75], exec
	s_and_b64 s[76:77], s[76:77], exec
	s_or_b64 s[70:71], s[70:71], s[72:73]
.LBB14_1503:                            ;   in Loop: Header=BB14_17 Depth=1
	s_or_b64 exec, exec, s[68:69]
	s_andn2_b64 s[64:65], s[64:65], exec
	s_and_b64 vcc, vcc, exec
	s_andn2_b64 s[66:67], s[66:67], exec
	s_and_b64 s[68:69], s[76:77], exec
	s_or_b64 s[64:65], s[64:65], vcc
	s_andn2_b64 vcc, s[62:63], exec
	s_and_b64 s[62:63], s[70:71], exec
	s_or_b64 s[66:67], s[66:67], s[68:69]
	s_or_b64 s[62:63], vcc, s[62:63]
.LBB14_1504:                            ;   in Loop: Header=BB14_17 Depth=1
	s_or_b64 exec, exec, s[60:61]
	s_and_b64 s[60:61], s[66:67], exec
	s_and_b64 vcc, s[64:65], exec
	s_and_b64 s[62:63], s[62:63], exec
                                        ; implicit-def: $vgpr14_vgpr15
	s_andn2_saveexec_b64 s[58:59], s[58:59]
	s_cbranch_execz .LBB14_1421
.LBB14_1505:                            ;   in Loop: Header=BB14_17 Depth=1
	v_cmp_gt_i16_sdwa s[64:65], v8, v38 src0_sel:BYTE_0 src1_sel:DWORD
                                        ; implicit-def: $vgpr64
	s_and_saveexec_b64 s[66:67], s[64:65]
	s_xor_b64 s[64:65], exec, s[66:67]
	s_cbranch_execz .LBB14_1527
; %bb.1506:                             ;   in Loop: Header=BB14_17 Depth=1
	v_cmp_gt_i16_sdwa s[66:67], v8, v39 src0_sel:BYTE_0 src1_sel:DWORD
                                        ; implicit-def: $vgpr64
	s_and_saveexec_b64 s[68:69], s[66:67]
	s_xor_b64 s[66:67], exec, s[68:69]
	s_cbranch_execz .LBB14_1516
; %bb.1507:                             ;   in Loop: Header=BB14_17 Depth=1
	;; [unrolled: 6-line block ×4, first 2 shown]
	flat_load_dwordx2 v[14:15], v[14:15]
	s_waitcnt vmcnt(0) lgkmcnt(0)
	v_cvt_f32_f64_e32 v64, v[14:15]
                                        ; implicit-def: $vgpr14_vgpr15
.LBB14_1510:                            ;   in Loop: Header=BB14_17 Depth=1
	s_andn2_saveexec_b64 s[70:71], s[70:71]
	s_cbranch_execz .LBB14_1512
; %bb.1511:                             ;   in Loop: Header=BB14_17 Depth=1
	flat_load_dword v64, v[14:15]
.LBB14_1512:                            ;   in Loop: Header=BB14_17 Depth=1
	s_or_b64 exec, exec, s[70:71]
                                        ; implicit-def: $vgpr14_vgpr15
.LBB14_1513:                            ;   in Loop: Header=BB14_17 Depth=1
	s_andn2_saveexec_b64 s[68:69], s[68:69]
	s_cbranch_execz .LBB14_1515
; %bb.1514:                             ;   in Loop: Header=BB14_17 Depth=1
	flat_load_dword v14, v[14:15]
	s_waitcnt vmcnt(0) lgkmcnt(0)
	v_cvt_f32_f16_e32 v64, v14
.LBB14_1515:                            ;   in Loop: Header=BB14_17 Depth=1
	s_or_b64 exec, exec, s[68:69]
                                        ; implicit-def: $vgpr14_vgpr15
.LBB14_1516:                            ;   in Loop: Header=BB14_17 Depth=1
	s_andn2_saveexec_b64 s[66:67], s[66:67]
	s_cbranch_execz .LBB14_1526
; %bb.1517:                             ;   in Loop: Header=BB14_17 Depth=1
	v_cmp_gt_i16_sdwa s[68:69], v8, v50 src0_sel:BYTE_0 src1_sel:DWORD
                                        ; implicit-def: $vgpr64
	s_and_saveexec_b64 s[70:71], s[68:69]
	s_xor_b64 s[68:69], exec, s[70:71]
	s_cbranch_execz .LBB14_1523
; %bb.1518:                             ;   in Loop: Header=BB14_17 Depth=1
	v_cmp_gt_i16_sdwa s[70:71], v8, v51 src0_sel:BYTE_0 src1_sel:DWORD
                                        ; implicit-def: $vgpr64
	s_and_saveexec_b64 s[72:73], s[70:71]
	s_xor_b64 s[70:71], exec, s[72:73]
	s_cbranch_execz .LBB14_1520
; %bb.1519:                             ;   in Loop: Header=BB14_17 Depth=1
	flat_load_dwordx2 v[14:15], v[14:15]
	s_waitcnt vmcnt(0) lgkmcnt(0)
	v_cvt_f32_f64_e32 v64, v[14:15]
                                        ; implicit-def: $vgpr14_vgpr15
.LBB14_1520:                            ;   in Loop: Header=BB14_17 Depth=1
	s_andn2_saveexec_b64 s[70:71], s[70:71]
	s_cbranch_execz .LBB14_1522
; %bb.1521:                             ;   in Loop: Header=BB14_17 Depth=1
	s_waitcnt vmcnt(0) lgkmcnt(0)
	flat_load_dword v64, v[14:15]
.LBB14_1522:                            ;   in Loop: Header=BB14_17 Depth=1
	s_or_b64 exec, exec, s[70:71]
                                        ; implicit-def: $vgpr14_vgpr15
.LBB14_1523:                            ;   in Loop: Header=BB14_17 Depth=1
	s_andn2_saveexec_b64 s[68:69], s[68:69]
	s_cbranch_execz .LBB14_1525
; %bb.1524:                             ;   in Loop: Header=BB14_17 Depth=1
	flat_load_ushort v14, v[14:15]
	s_waitcnt vmcnt(0) lgkmcnt(0)
	v_cvt_f32_f16_e32 v64, v14
.LBB14_1525:                            ;   in Loop: Header=BB14_17 Depth=1
	s_or_b64 exec, exec, s[68:69]
.LBB14_1526:                            ;   in Loop: Header=BB14_17 Depth=1
	s_or_b64 exec, exec, s[66:67]
                                        ; implicit-def: $vgpr14_vgpr15
.LBB14_1527:                            ;   in Loop: Header=BB14_17 Depth=1
	s_andn2_saveexec_b64 s[64:65], s[64:65]
	s_cbranch_execz .LBB14_1545
; %bb.1528:                             ;   in Loop: Header=BB14_17 Depth=1
	v_cmp_gt_i16_sdwa s[66:67], v8, v52 src0_sel:BYTE_0 src1_sel:DWORD
                                        ; implicit-def: $vgpr64
	s_and_saveexec_b64 s[68:69], s[66:67]
	s_xor_b64 s[66:67], exec, s[68:69]
	s_cbranch_execz .LBB14_1538
; %bb.1529:                             ;   in Loop: Header=BB14_17 Depth=1
	v_cmp_gt_i16_sdwa s[68:69], v8, v53 src0_sel:BYTE_0 src1_sel:DWORD
                                        ; implicit-def: $vgpr64
	s_and_saveexec_b64 s[70:71], s[68:69]
	s_xor_b64 s[68:69], exec, s[70:71]
	;; [unrolled: 6-line block ×3, first 2 shown]
	s_cbranch_execz .LBB14_1532
; %bb.1531:                             ;   in Loop: Header=BB14_17 Depth=1
	flat_load_dwordx2 v[14:15], v[14:15]
	s_waitcnt vmcnt(0) lgkmcnt(0)
	v_xor_b32_e32 v66, v14, v15
	v_ffbh_i32_e32 v64, v15
	v_ashrrev_i32_e32 v66, 31, v66
	v_add_u32_e32 v64, -1, v64
	v_add_u32_e32 v66, 32, v66
	v_min_u32_e32 v64, v64, v66
	v_lshlrev_b64 v[14:15], v64, v[14:15]
	v_min_u32_e32 v14, 1, v14
	v_or_b32_e32 v14, v15, v14
	v_cvt_f32_i32_e32 v14, v14
	v_sub_u32_e32 v15, 32, v64
	v_ldexp_f32 v64, v14, v15
                                        ; implicit-def: $vgpr14_vgpr15
.LBB14_1532:                            ;   in Loop: Header=BB14_17 Depth=1
	s_andn2_saveexec_b64 s[70:71], s[70:71]
	s_cbranch_execz .LBB14_1534
; %bb.1533:                             ;   in Loop: Header=BB14_17 Depth=1
	flat_load_dword v14, v[14:15]
	s_waitcnt vmcnt(0) lgkmcnt(0)
	v_cvt_f32_i32_e32 v64, v14
.LBB14_1534:                            ;   in Loop: Header=BB14_17 Depth=1
	s_or_b64 exec, exec, s[70:71]
                                        ; implicit-def: $vgpr14_vgpr15
.LBB14_1535:                            ;   in Loop: Header=BB14_17 Depth=1
	s_andn2_saveexec_b64 s[68:69], s[68:69]
	s_cbranch_execz .LBB14_1537
; %bb.1536:                             ;   in Loop: Header=BB14_17 Depth=1
	flat_load_sshort v14, v[14:15]
	s_waitcnt vmcnt(0) lgkmcnt(0)
	v_cvt_f32_i32_e32 v64, v14
.LBB14_1537:                            ;   in Loop: Header=BB14_17 Depth=1
	s_or_b64 exec, exec, s[68:69]
                                        ; implicit-def: $vgpr14_vgpr15
.LBB14_1538:                            ;   in Loop: Header=BB14_17 Depth=1
	s_andn2_saveexec_b64 s[66:67], s[66:67]
	s_cbranch_execz .LBB14_1544
; %bb.1539:                             ;   in Loop: Header=BB14_17 Depth=1
	v_cmp_gt_i16_sdwa s[68:69], v8, v16 src0_sel:BYTE_0 src1_sel:DWORD
                                        ; implicit-def: $vgpr64
	s_and_saveexec_b64 s[70:71], s[68:69]
	s_xor_b64 s[68:69], exec, s[70:71]
	s_cbranch_execz .LBB14_1541
; %bb.1540:                             ;   in Loop: Header=BB14_17 Depth=1
	flat_load_sbyte v14, v[14:15]
	s_waitcnt vmcnt(0) lgkmcnt(0)
	v_cvt_f32_i32_e32 v64, v14
                                        ; implicit-def: $vgpr14_vgpr15
.LBB14_1541:                            ;   in Loop: Header=BB14_17 Depth=1
	s_andn2_saveexec_b64 s[68:69], s[68:69]
	s_cbranch_execz .LBB14_1543
; %bb.1542:                             ;   in Loop: Header=BB14_17 Depth=1
	flat_load_ubyte v14, v[14:15]
	s_waitcnt vmcnt(0) lgkmcnt(0)
	v_cvt_f32_ubyte0_e32 v64, v14
.LBB14_1543:                            ;   in Loop: Header=BB14_17 Depth=1
	s_or_b64 exec, exec, s[68:69]
.LBB14_1544:                            ;   in Loop: Header=BB14_17 Depth=1
	s_or_b64 exec, exec, s[66:67]
.LBB14_1545:                            ;   in Loop: Header=BB14_17 Depth=1
	s_or_b64 exec, exec, s[64:65]
	s_andn2_b64 s[60:61], s[60:61], exec
	s_andn2_b64 vcc, vcc, exec
	s_or_b64 s[62:63], s[62:63], exec
	s_or_b64 exec, exec, s[58:59]
	s_mov_b64 s[58:59], 0
	s_and_saveexec_b64 s[64:65], s[62:63]
	s_cbranch_execnz .LBB14_1422
	s_branch .LBB14_1423
.LBB14_1546:                            ;   in Loop: Header=BB14_17 Depth=1
	v_cmp_gt_i16_sdwa vcc, v7, v19 src0_sel:BYTE_0 src1_sel:DWORD
	s_mov_b64 s[64:65], 0
                                        ; implicit-def: $sgpr66_sgpr67
                                        ; implicit-def: $sgpr56_sgpr57
                                        ; implicit-def: $vgpr66
	s_and_saveexec_b64 s[54:55], vcc
	s_xor_b64 s[54:55], exec, s[54:55]
	s_cbranch_execz .LBB14_1578
; %bb.1547:                             ;   in Loop: Header=BB14_17 Depth=1
	v_cmp_gt_i16_sdwa vcc, v7, v20 src0_sel:BYTE_0 src1_sel:DWORD
                                        ; implicit-def: $sgpr66_sgpr67
                                        ; implicit-def: $sgpr68_sgpr69
                                        ; implicit-def: $vgpr66
	s_and_saveexec_b64 s[56:57], vcc
	s_xor_b64 s[56:57], exec, s[56:57]
	s_cbranch_execz .LBB14_1563
; %bb.1548:                             ;   in Loop: Header=BB14_17 Depth=1
	v_cmp_gt_i16_sdwa s[64:65], v7, v21 src0_sel:BYTE_0 src1_sel:DWORD
	s_mov_b64 s[70:71], 0
                                        ; implicit-def: $vcc
                                        ; implicit-def: $sgpr66_sgpr67
                                        ; implicit-def: $vgpr66
	s_and_saveexec_b64 s[68:69], s[64:65]
	s_xor_b64 s[64:65], exec, s[68:69]
	s_cbranch_execz .LBB14_1558
; %bb.1549:                             ;   in Loop: Header=BB14_17 Depth=1
	v_cmp_gt_i16_sdwa vcc, v7, v22 src0_sel:BYTE_0 src1_sel:DWORD
	s_mov_b64 s[68:69], 0
                                        ; implicit-def: $sgpr66_sgpr67
                                        ; implicit-def: $sgpr70_sgpr71
                                        ; implicit-def: $vgpr66
	s_and_saveexec_b64 s[72:73], vcc
	s_xor_b64 vcc, exec, s[72:73]
	s_cbranch_execz .LBB14_1553
; %bb.1550:                             ;   in Loop: Header=BB14_17 Depth=1
	v_cmp_eq_u16_sdwa s[72:73], v7, v23 src0_sel:BYTE_0 src1_sel:DWORD
	s_mov_b64 s[66:67], 0
                                        ; implicit-def: $vgpr66
	s_and_saveexec_b64 s[70:71], s[72:73]
	s_cbranch_execz .LBB14_1552
; %bb.1551:                             ;   in Loop: Header=BB14_17 Depth=1
	flat_load_dword v14, v[14:15]
	s_mov_b64 s[68:69], exec
	s_waitcnt vmcnt(0) lgkmcnt(0)
	v_lshlrev_b32_e32 v66, 16, v14
.LBB14_1552:                            ;   in Loop: Header=BB14_17 Depth=1
	s_or_b64 exec, exec, s[70:71]
	s_mov_b64 s[70:71], -1
	s_and_b64 s[68:69], s[68:69], exec
                                        ; implicit-def: $vgpr14_vgpr15
.LBB14_1553:                            ;   in Loop: Header=BB14_17 Depth=1
	s_andn2_saveexec_b64 s[72:73], vcc
	s_cbranch_execz .LBB14_1557
; %bb.1554:                             ;   in Loop: Header=BB14_17 Depth=1
	v_cmp_eq_u16_sdwa s[76:77], v7, v24 src0_sel:BYTE_0 src1_sel:DWORD
	s_mov_b64 vcc, s[68:69]
                                        ; implicit-def: $vgpr66
	s_and_saveexec_b64 s[74:75], s[76:77]
	s_cbranch_execz .LBB14_1556
; %bb.1555:                             ;   in Loop: Header=BB14_17 Depth=1
	flat_load_ubyte v14, v[14:15]
	s_movk_i32 vcc_lo, 0xff
	s_waitcnt vmcnt(0) lgkmcnt(0)
	v_lshlrev_b32_e32 v15, 23, v14
	v_cmp_ne_u32_e32 vcc, vcc_lo, v14
	v_cndmask_b32_e32 v15, v25, v15, vcc
	v_cmp_ne_u32_e32 vcc, 0, v14
	v_cndmask_b32_e32 v66, v26, v15, vcc
	s_or_b64 vcc, s[68:69], exec
.LBB14_1556:                            ;   in Loop: Header=BB14_17 Depth=1
	s_or_b64 exec, exec, s[74:75]
	s_andn2_b64 s[68:69], s[68:69], exec
	s_and_b64 vcc, vcc, exec
	s_andn2_b64 s[66:67], s[66:67], exec
	s_or_b64 s[70:71], s[70:71], exec
	s_or_b64 s[68:69], s[68:69], vcc
.LBB14_1557:                            ;   in Loop: Header=BB14_17 Depth=1
	s_or_b64 exec, exec, s[72:73]
	s_and_b64 s[66:67], s[66:67], exec
	s_and_b64 vcc, s[70:71], exec
	s_and_b64 s[70:71], s[68:69], exec
                                        ; implicit-def: $vgpr14_vgpr15
.LBB14_1558:                            ;   in Loop: Header=BB14_17 Depth=1
	s_andn2_saveexec_b64 s[64:65], s[64:65]
	s_cbranch_execz .LBB14_1562
; %bb.1559:                             ;   in Loop: Header=BB14_17 Depth=1
	v_cmp_eq_u16_sdwa s[74:75], v7, v27 src0_sel:BYTE_0 src1_sel:DWORD
	s_mov_b64 s[72:73], s[70:71]
                                        ; implicit-def: $vgpr66
	s_and_saveexec_b64 s[68:69], s[74:75]
	s_cbranch_execz .LBB14_1561
; %bb.1560:                             ;   in Loop: Header=BB14_17 Depth=1
	flat_load_dwordx2 v[14:15], v[14:15]
	s_or_b64 s[72:73], s[70:71], exec
	s_waitcnt vmcnt(0) lgkmcnt(0)
	v_ffbh_u32_e32 v65, v15
	v_min_u32_e32 v65, 32, v65
	v_lshlrev_b64 v[14:15], v65, v[14:15]
	v_min_u32_e32 v14, 1, v14
	v_or_b32_e32 v14, v15, v14
	v_cvt_f32_u32_e32 v14, v14
	v_sub_u32_e32 v15, 32, v65
	v_ldexp_f32 v66, v14, v15
.LBB14_1561:                            ;   in Loop: Header=BB14_17 Depth=1
	s_or_b64 exec, exec, s[68:69]
	s_andn2_b64 s[68:69], s[70:71], exec
	s_and_b64 s[70:71], s[72:73], exec
	s_andn2_b64 s[66:67], s[66:67], exec
	s_or_b64 vcc, vcc, exec
	s_or_b64 s[70:71], s[68:69], s[70:71]
.LBB14_1562:                            ;   in Loop: Header=BB14_17 Depth=1
	s_or_b64 exec, exec, s[64:65]
	s_and_b64 s[68:69], s[66:67], exec
	s_and_b64 s[66:67], vcc, exec
	s_and_b64 s[64:65], s[70:71], exec
                                        ; implicit-def: $vgpr14_vgpr15
.LBB14_1563:                            ;   in Loop: Header=BB14_17 Depth=1
	s_andn2_saveexec_b64 s[56:57], s[56:57]
	s_cbranch_execz .LBB14_1577
; %bb.1564:                             ;   in Loop: Header=BB14_17 Depth=1
	v_cmp_gt_i16_sdwa vcc, v7, v28 src0_sel:BYTE_0 src1_sel:DWORD
                                        ; implicit-def: $vgpr66
	s_and_saveexec_b64 s[70:71], vcc
	s_xor_b64 vcc, exec, s[70:71]
	s_cbranch_execz .LBB14_1570
; %bb.1565:                             ;   in Loop: Header=BB14_17 Depth=1
	v_cmp_gt_i16_sdwa s[70:71], v7, v29 src0_sel:BYTE_0 src1_sel:DWORD
                                        ; implicit-def: $vgpr66
	s_and_saveexec_b64 s[72:73], s[70:71]
	s_xor_b64 s[70:71], exec, s[72:73]
	s_cbranch_execz .LBB14_1567
; %bb.1566:                             ;   in Loop: Header=BB14_17 Depth=1
	flat_load_dword v14, v[14:15]
	s_waitcnt vmcnt(0) lgkmcnt(0)
	v_cvt_f32_u32_e32 v66, v14
                                        ; implicit-def: $vgpr14_vgpr15
.LBB14_1567:                            ;   in Loop: Header=BB14_17 Depth=1
	s_andn2_saveexec_b64 s[70:71], s[70:71]
	s_cbranch_execz .LBB14_1569
; %bb.1568:                             ;   in Loop: Header=BB14_17 Depth=1
	flat_load_ushort v14, v[14:15]
	s_waitcnt vmcnt(0) lgkmcnt(0)
	v_cvt_f32_u32_e32 v66, v14
.LBB14_1569:                            ;   in Loop: Header=BB14_17 Depth=1
	s_or_b64 exec, exec, s[70:71]
                                        ; implicit-def: $vgpr14_vgpr15
.LBB14_1570:                            ;   in Loop: Header=BB14_17 Depth=1
	s_andn2_saveexec_b64 s[70:71], vcc
	s_cbranch_execz .LBB14_1576
; %bb.1571:                             ;   in Loop: Header=BB14_17 Depth=1
	flat_load_ubyte v14, v[14:15]
	s_movk_i32 vcc_lo, 0x7f
	s_mov_b64 s[72:73], 0
                                        ; implicit-def: $sgpr78
	s_waitcnt vmcnt(0) lgkmcnt(0)
	v_cmp_lt_i16_e32 vcc, vcc_lo, v14
	s_and_saveexec_b64 s[74:75], vcc
	s_xor_b64 s[74:75], exec, s[74:75]
	s_cbranch_execnz .LBB14_2350
; %bb.1572:                             ;   in Loop: Header=BB14_17 Depth=1
	s_or_saveexec_b64 s[74:75], s[74:75]
	v_mov_b32_e32 v66, s78
	s_xor_b64 exec, exec, s[74:75]
	s_cbranch_execnz .LBB14_2353
.LBB14_1573:                            ;   in Loop: Header=BB14_17 Depth=1
	s_or_b64 exec, exec, s[74:75]
	s_and_saveexec_b64 s[74:75], s[72:73]
	s_cbranch_execz .LBB14_1575
.LBB14_1574:                            ;   in Loop: Header=BB14_17 Depth=1
	v_lshlrev_b32_e32 v15, 24, v14
	v_and_b32_e32 v14, 0xffff, v14
	v_and_b32_e32 v65, 7, v14
	v_ffbh_u32_e32 v67, v65
	v_min_u32_e32 v67, 32, v67
	v_subrev_u32_e32 v68, 28, v67
	v_bfe_u32 v66, v14, 3, 4
	v_lshlrev_b32_e32 v14, v68, v14
	v_sub_u32_e32 v67, 29, v67
	v_and_b32_e32 v14, 7, v14
	v_cmp_eq_u32_e32 vcc, 0, v66
	v_cndmask_b32_e32 v66, v66, v67, vcc
	v_cndmask_b32_e32 v14, v65, v14, vcc
	v_lshlrev_b32_e32 v14, 20, v14
	v_and_b32_e32 v15, 0x80000000, v15
	v_lshl_add_u32 v65, v66, 23, v30
	v_or3_b32 v66, v15, v65, v14
.LBB14_1575:                            ;   in Loop: Header=BB14_17 Depth=1
	s_or_b64 exec, exec, s[74:75]
.LBB14_1576:                            ;   in Loop: Header=BB14_17 Depth=1
	s_or_b64 exec, exec, s[70:71]
	s_andn2_b64 s[68:69], s[68:69], exec
	s_andn2_b64 s[66:67], s[66:67], exec
	s_or_b64 s[64:65], s[64:65], exec
.LBB14_1577:                            ;   in Loop: Header=BB14_17 Depth=1
	s_or_b64 exec, exec, s[56:57]
	s_and_b64 s[56:57], s[68:69], exec
	s_and_b64 s[66:67], s[66:67], exec
	;; [unrolled: 1-line block ×3, first 2 shown]
                                        ; implicit-def: $vgpr14_vgpr15
.LBB14_1578:                            ;   in Loop: Header=BB14_17 Depth=1
	s_andn2_saveexec_b64 s[54:55], s[54:55]
	s_cbranch_execz .LBB14_1604
; %bb.1579:                             ;   in Loop: Header=BB14_17 Depth=1
	v_cmp_gt_i16_sdwa vcc, v7, v31 src0_sel:BYTE_0 src1_sel:DWORD
	s_mov_b64 s[70:71], s[64:65]
                                        ; implicit-def: $vgpr66
	s_and_saveexec_b64 s[68:69], vcc
	s_xor_b64 s[68:69], exec, s[68:69]
	s_cbranch_execz .LBB14_1593
; %bb.1580:                             ;   in Loop: Header=BB14_17 Depth=1
	v_cmp_gt_i16_sdwa vcc, v7, v32 src0_sel:BYTE_0 src1_sel:DWORD
                                        ; implicit-def: $vgpr66
	s_and_saveexec_b64 s[70:71], vcc
	s_xor_b64 s[70:71], exec, s[70:71]
	s_cbranch_execz .LBB14_1590
; %bb.1581:                             ;   in Loop: Header=BB14_17 Depth=1
	v_cmp_gt_i16_sdwa vcc, v7, v33 src0_sel:BYTE_0 src1_sel:DWORD
                                        ; implicit-def: $vgpr66
	s_and_saveexec_b64 s[72:73], vcc
	s_xor_b64 s[72:73], exec, s[72:73]
	s_cbranch_execz .LBB14_1587
; %bb.1582:                             ;   in Loop: Header=BB14_17 Depth=1
	flat_load_ubyte v14, v[14:15]
	s_movk_i32 vcc_lo, 0x7f
	s_mov_b64 s[74:75], 0
                                        ; implicit-def: $sgpr80
	s_waitcnt vmcnt(0) lgkmcnt(0)
	v_cmp_lt_i16_e32 vcc, vcc_lo, v14
	s_and_saveexec_b64 s[76:77], vcc
	s_xor_b64 s[76:77], exec, s[76:77]
	s_cbranch_execnz .LBB14_2569
; %bb.1583:                             ;   in Loop: Header=BB14_17 Depth=1
	s_or_saveexec_b64 s[76:77], s[76:77]
	v_mov_b32_e32 v66, s80
	s_xor_b64 exec, exec, s[76:77]
	s_cbranch_execnz .LBB14_2572
.LBB14_1584:                            ;   in Loop: Header=BB14_17 Depth=1
	s_or_b64 exec, exec, s[76:77]
	s_and_saveexec_b64 s[76:77], s[74:75]
	s_cbranch_execz .LBB14_1586
.LBB14_1585:                            ;   in Loop: Header=BB14_17 Depth=1
	v_lshlrev_b32_e32 v15, 24, v14
	v_and_b32_e32 v14, 0xffff, v14
	v_and_b32_e32 v65, 3, v14
	v_ffbh_u32_e32 v67, v65
	v_min_u32_e32 v67, 32, v67
	v_subrev_u32_e32 v68, 29, v67
	v_bfe_u32 v66, v14, 2, 5
	v_lshlrev_b32_e32 v14, v68, v14
	v_sub_u32_e32 v67, 30, v67
	v_and_b32_e32 v14, 3, v14
	v_cmp_eq_u32_e32 vcc, 0, v66
	v_cndmask_b32_e32 v66, v66, v67, vcc
	v_cndmask_b32_e32 v14, v65, v14, vcc
	v_lshlrev_b32_e32 v14, 21, v14
	v_and_b32_e32 v15, 0x80000000, v15
	v_lshl_add_u32 v65, v66, 23, v34
	v_or3_b32 v66, v15, v65, v14
.LBB14_1586:                            ;   in Loop: Header=BB14_17 Depth=1
	s_or_b64 exec, exec, s[76:77]
                                        ; implicit-def: $vgpr14_vgpr15
.LBB14_1587:                            ;   in Loop: Header=BB14_17 Depth=1
	s_andn2_saveexec_b64 s[72:73], s[72:73]
	s_cbranch_execz .LBB14_1589
; %bb.1588:                             ;   in Loop: Header=BB14_17 Depth=1
	flat_load_ubyte v14, v[14:15]
	s_mov_b32 vcc_lo, 0x7f800000
	s_waitcnt vmcnt(0) lgkmcnt(0)
	v_lshlrev_b32_e32 v14, 24, v14
	v_and_b32_e32 v15, 0x7f000000, v14
	v_ffbh_u32_e32 v65, v15
	v_min_u32_e32 v65, 32, v65
	v_sub_u32_e64 v65, v65, 4 clamp
	v_lshlrev_b32_e32 v67, v65, v15
	v_lshlrev_b32_e32 v65, 23, v65
	v_lshrrev_b32_e32 v67, 4, v67
	v_add_u32_e32 v66, 0x1000000, v15
	v_sub_u32_e32 v65, v67, v65
	v_ashrrev_i32_e32 v66, 8, v66
	v_add_u32_e32 v65, 0x3c000000, v65
	v_and_or_b32 v65, v66, vcc_lo, v65
	v_cmp_ne_u32_e32 vcc, 0, v15
	v_cndmask_b32_e32 v15, 0, v65, vcc
	s_brev_b32 vcc_lo, 1
	v_and_or_b32 v66, v14, vcc_lo, v15
.LBB14_1589:                            ;   in Loop: Header=BB14_17 Depth=1
	s_or_b64 exec, exec, s[72:73]
                                        ; implicit-def: $vgpr14_vgpr15
.LBB14_1590:                            ;   in Loop: Header=BB14_17 Depth=1
	s_andn2_saveexec_b64 s[70:71], s[70:71]
	s_cbranch_execz .LBB14_1592
; %bb.1591:                             ;   in Loop: Header=BB14_17 Depth=1
	flat_load_ubyte v14, v[14:15]
	s_movk_i32 vcc_lo, 0x7f00
	s_waitcnt vmcnt(0) lgkmcnt(0)
	v_lshlrev_b16_e32 v15, 8, v14
	v_lshlrev_b32_e32 v14, 25, v14
	v_lshrrev_b32_e32 v65, 4, v14
	v_and_or_b32 v66, v15, vcc_lo, 0.5
	v_or_b32_e32 v65, 0x70000000, v65
	s_brev_b32 vcc_lo, 16
	v_add_f32_e32 v66, -0.5, v66
	v_mul_f32_e32 v65, 0x7800000, v65
	v_cmp_gt_u32_e32 vcc, vcc_lo, v14
	v_cndmask_b32_e32 v14, v65, v66, vcc
	v_bfe_i32 v15, v15, 0, 16
	s_brev_b32 vcc_lo, 1
	v_and_or_b32 v66, v15, vcc_lo, v14
.LBB14_1592:                            ;   in Loop: Header=BB14_17 Depth=1
	s_or_b64 exec, exec, s[70:71]
	s_or_b64 s[70:71], s[64:65], exec
                                        ; implicit-def: $vgpr14_vgpr15
.LBB14_1593:                            ;   in Loop: Header=BB14_17 Depth=1
	s_or_saveexec_b64 s[68:69], s[68:69]
                                        ; implicit-def: $vcc
                                        ; implicit-def: $sgpr76_sgpr77
	s_xor_b64 exec, exec, s[68:69]
	s_cbranch_execz .LBB14_1603
; %bb.1594:                             ;   in Loop: Header=BB14_17 Depth=1
	v_cmp_gt_i16_sdwa vcc, v7, v35 src0_sel:BYTE_0 src1_sel:DWORD
	s_mov_b64 s[74:75], s[70:71]
                                        ; implicit-def: $sgpr76_sgpr77
                                        ; implicit-def: $sgpr72_sgpr73
                                        ; implicit-def: $vgpr66
	s_and_saveexec_b64 s[78:79], vcc
	s_xor_b64 vcc, exec, s[78:79]
	s_cbranch_execz .LBB14_1598
; %bb.1595:                             ;   in Loop: Header=BB14_17 Depth=1
	v_cmp_eq_u16_sdwa s[76:77], v7, v36 src0_sel:BYTE_0 src1_sel:DWORD
	s_mov_b64 s[74:75], s[70:71]
                                        ; implicit-def: $vgpr66
	s_and_saveexec_b64 s[72:73], s[76:77]
	s_cbranch_execz .LBB14_1597
; %bb.1596:                             ;   in Loop: Header=BB14_17 Depth=1
	flat_load_ushort v14, v[14:15]
	s_or_b64 s[74:75], s[70:71], exec
	s_waitcnt vmcnt(0) lgkmcnt(0)
	v_lshlrev_b32_e32 v66, 16, v14
.LBB14_1597:                            ;   in Loop: Header=BB14_17 Depth=1
	s_or_b64 exec, exec, s[72:73]
	s_andn2_b64 s[78:79], s[70:71], exec
	s_and_b64 s[74:75], s[74:75], exec
	s_mov_b64 s[72:73], -1
	s_mov_b64 s[76:77], 0
	s_or_b64 s[74:75], s[78:79], s[74:75]
                                        ; implicit-def: $vgpr14_vgpr15
.LBB14_1598:                            ;   in Loop: Header=BB14_17 Depth=1
	s_andn2_saveexec_b64 s[78:79], vcc
	s_cbranch_execz .LBB14_1602
; %bb.1599:                             ;   in Loop: Header=BB14_17 Depth=1
	v_cmp_eq_u16_sdwa s[82:83], v7, v37 src0_sel:BYTE_0 src1_sel:DWORD
	s_mov_b64 vcc, s[74:75]
                                        ; implicit-def: $vgpr66
	s_and_saveexec_b64 s[80:81], s[82:83]
	s_cbranch_execz .LBB14_1601
; %bb.1600:                             ;   in Loop: Header=BB14_17 Depth=1
	flat_load_ubyte v14, v[14:15]
	s_waitcnt vmcnt(0) lgkmcnt(0)
	v_cmp_ne_u16_e32 vcc, 0, v14
	v_cndmask_b32_e64 v66, 0, 1.0, vcc
	s_or_b64 vcc, s[74:75], exec
.LBB14_1601:                            ;   in Loop: Header=BB14_17 Depth=1
	s_or_b64 exec, exec, s[80:81]
	s_andn2_b64 s[74:75], s[74:75], exec
	s_and_b64 vcc, vcc, exec
	s_andn2_b64 s[76:77], s[76:77], exec
	s_or_b64 s[72:73], s[72:73], exec
	s_or_b64 s[74:75], s[74:75], vcc
.LBB14_1602:                            ;   in Loop: Header=BB14_17 Depth=1
	s_or_b64 exec, exec, s[78:79]
	s_and_b64 vcc, s[72:73], exec
	s_andn2_b64 s[70:71], s[70:71], exec
	s_and_b64 s[72:73], s[74:75], exec
	s_and_b64 s[76:77], s[76:77], exec
	s_or_b64 s[70:71], s[70:71], s[72:73]
.LBB14_1603:                            ;   in Loop: Header=BB14_17 Depth=1
	s_or_b64 exec, exec, s[68:69]
	s_andn2_b64 s[66:67], s[66:67], exec
	s_and_b64 vcc, vcc, exec
	s_andn2_b64 s[56:57], s[56:57], exec
	s_and_b64 s[68:69], s[76:77], exec
	s_or_b64 s[66:67], s[66:67], vcc
	s_andn2_b64 vcc, s[64:65], exec
	s_and_b64 s[64:65], s[70:71], exec
	s_or_b64 s[56:57], s[56:57], s[68:69]
	s_or_b64 s[64:65], vcc, s[64:65]
.LBB14_1604:                            ;   in Loop: Header=BB14_17 Depth=1
	s_or_b64 exec, exec, s[54:55]
	s_and_b64 s[56:57], s[56:57], exec
	s_and_b64 s[54:55], s[66:67], exec
	s_and_b64 vcc, s[64:65], exec
                                        ; implicit-def: $vgpr14_vgpr15
	s_andn2_saveexec_b64 s[62:63], s[62:63]
	s_cbranch_execz .LBB14_1429
.LBB14_1605:                            ;   in Loop: Header=BB14_17 Depth=1
	v_cmp_gt_i16_sdwa s[64:65], v7, v38 src0_sel:BYTE_0 src1_sel:DWORD
                                        ; implicit-def: $vgpr66
	s_and_saveexec_b64 s[66:67], s[64:65]
	s_xor_b64 s[64:65], exec, s[66:67]
	s_cbranch_execz .LBB14_1627
; %bb.1606:                             ;   in Loop: Header=BB14_17 Depth=1
	v_cmp_gt_i16_sdwa s[66:67], v7, v39 src0_sel:BYTE_0 src1_sel:DWORD
                                        ; implicit-def: $vgpr66
	s_and_saveexec_b64 s[68:69], s[66:67]
	s_xor_b64 s[66:67], exec, s[68:69]
	s_cbranch_execz .LBB14_1616
; %bb.1607:                             ;   in Loop: Header=BB14_17 Depth=1
	;; [unrolled: 6-line block ×4, first 2 shown]
	flat_load_dwordx2 v[14:15], v[14:15]
	s_waitcnt vmcnt(0) lgkmcnt(0)
	v_cvt_f32_f64_e32 v66, v[14:15]
                                        ; implicit-def: $vgpr14_vgpr15
.LBB14_1610:                            ;   in Loop: Header=BB14_17 Depth=1
	s_andn2_saveexec_b64 s[70:71], s[70:71]
	s_cbranch_execz .LBB14_1612
; %bb.1611:                             ;   in Loop: Header=BB14_17 Depth=1
	flat_load_dword v66, v[14:15]
.LBB14_1612:                            ;   in Loop: Header=BB14_17 Depth=1
	s_or_b64 exec, exec, s[70:71]
                                        ; implicit-def: $vgpr14_vgpr15
.LBB14_1613:                            ;   in Loop: Header=BB14_17 Depth=1
	s_andn2_saveexec_b64 s[68:69], s[68:69]
	s_cbranch_execz .LBB14_1615
; %bb.1614:                             ;   in Loop: Header=BB14_17 Depth=1
	flat_load_dword v14, v[14:15]
	s_waitcnt vmcnt(0) lgkmcnt(0)
	v_cvt_f32_f16_e32 v66, v14
.LBB14_1615:                            ;   in Loop: Header=BB14_17 Depth=1
	s_or_b64 exec, exec, s[68:69]
                                        ; implicit-def: $vgpr14_vgpr15
.LBB14_1616:                            ;   in Loop: Header=BB14_17 Depth=1
	s_andn2_saveexec_b64 s[66:67], s[66:67]
	s_cbranch_execz .LBB14_1626
; %bb.1617:                             ;   in Loop: Header=BB14_17 Depth=1
	v_cmp_gt_i16_sdwa s[68:69], v7, v50 src0_sel:BYTE_0 src1_sel:DWORD
                                        ; implicit-def: $vgpr66
	s_and_saveexec_b64 s[70:71], s[68:69]
	s_xor_b64 s[68:69], exec, s[70:71]
	s_cbranch_execz .LBB14_1623
; %bb.1618:                             ;   in Loop: Header=BB14_17 Depth=1
	v_cmp_gt_i16_sdwa s[70:71], v7, v51 src0_sel:BYTE_0 src1_sel:DWORD
                                        ; implicit-def: $vgpr66
	s_and_saveexec_b64 s[72:73], s[70:71]
	s_xor_b64 s[70:71], exec, s[72:73]
	s_cbranch_execz .LBB14_1620
; %bb.1619:                             ;   in Loop: Header=BB14_17 Depth=1
	flat_load_dwordx2 v[14:15], v[14:15]
	s_waitcnt vmcnt(0) lgkmcnt(0)
	v_cvt_f32_f64_e32 v66, v[14:15]
                                        ; implicit-def: $vgpr14_vgpr15
.LBB14_1620:                            ;   in Loop: Header=BB14_17 Depth=1
	s_andn2_saveexec_b64 s[70:71], s[70:71]
	s_cbranch_execz .LBB14_1622
; %bb.1621:                             ;   in Loop: Header=BB14_17 Depth=1
	s_waitcnt vmcnt(0) lgkmcnt(0)
	flat_load_dword v66, v[14:15]
.LBB14_1622:                            ;   in Loop: Header=BB14_17 Depth=1
	s_or_b64 exec, exec, s[70:71]
                                        ; implicit-def: $vgpr14_vgpr15
.LBB14_1623:                            ;   in Loop: Header=BB14_17 Depth=1
	s_andn2_saveexec_b64 s[68:69], s[68:69]
	s_cbranch_execz .LBB14_1625
; %bb.1624:                             ;   in Loop: Header=BB14_17 Depth=1
	flat_load_ushort v14, v[14:15]
	s_waitcnt vmcnt(0) lgkmcnt(0)
	v_cvt_f32_f16_e32 v66, v14
.LBB14_1625:                            ;   in Loop: Header=BB14_17 Depth=1
	s_or_b64 exec, exec, s[68:69]
.LBB14_1626:                            ;   in Loop: Header=BB14_17 Depth=1
	s_or_b64 exec, exec, s[66:67]
                                        ; implicit-def: $vgpr14_vgpr15
.LBB14_1627:                            ;   in Loop: Header=BB14_17 Depth=1
	s_andn2_saveexec_b64 s[64:65], s[64:65]
	s_cbranch_execz .LBB14_1645
; %bb.1628:                             ;   in Loop: Header=BB14_17 Depth=1
	v_cmp_gt_i16_sdwa s[66:67], v7, v52 src0_sel:BYTE_0 src1_sel:DWORD
                                        ; implicit-def: $vgpr66
	s_and_saveexec_b64 s[68:69], s[66:67]
	s_xor_b64 s[66:67], exec, s[68:69]
	s_cbranch_execz .LBB14_1638
; %bb.1629:                             ;   in Loop: Header=BB14_17 Depth=1
	v_cmp_gt_i16_sdwa s[68:69], v7, v53 src0_sel:BYTE_0 src1_sel:DWORD
                                        ; implicit-def: $vgpr66
	s_and_saveexec_b64 s[70:71], s[68:69]
	s_xor_b64 s[68:69], exec, s[70:71]
	;; [unrolled: 6-line block ×3, first 2 shown]
	s_cbranch_execz .LBB14_1632
; %bb.1631:                             ;   in Loop: Header=BB14_17 Depth=1
	flat_load_dwordx2 v[14:15], v[14:15]
	s_waitcnt vmcnt(0) lgkmcnt(0)
	v_xor_b32_e32 v66, v14, v15
	v_ffbh_i32_e32 v65, v15
	v_ashrrev_i32_e32 v66, 31, v66
	v_add_u32_e32 v65, -1, v65
	v_add_u32_e32 v66, 32, v66
	v_min_u32_e32 v65, v65, v66
	v_lshlrev_b64 v[14:15], v65, v[14:15]
	v_min_u32_e32 v14, 1, v14
	v_or_b32_e32 v14, v15, v14
	v_cvt_f32_i32_e32 v14, v14
	v_sub_u32_e32 v15, 32, v65
	v_ldexp_f32 v66, v14, v15
                                        ; implicit-def: $vgpr14_vgpr15
.LBB14_1632:                            ;   in Loop: Header=BB14_17 Depth=1
	s_andn2_saveexec_b64 s[70:71], s[70:71]
	s_cbranch_execz .LBB14_1634
; %bb.1633:                             ;   in Loop: Header=BB14_17 Depth=1
	flat_load_dword v14, v[14:15]
	s_waitcnt vmcnt(0) lgkmcnt(0)
	v_cvt_f32_i32_e32 v66, v14
.LBB14_1634:                            ;   in Loop: Header=BB14_17 Depth=1
	s_or_b64 exec, exec, s[70:71]
                                        ; implicit-def: $vgpr14_vgpr15
.LBB14_1635:                            ;   in Loop: Header=BB14_17 Depth=1
	s_andn2_saveexec_b64 s[68:69], s[68:69]
	s_cbranch_execz .LBB14_1637
; %bb.1636:                             ;   in Loop: Header=BB14_17 Depth=1
	flat_load_sshort v14, v[14:15]
	s_waitcnt vmcnt(0) lgkmcnt(0)
	v_cvt_f32_i32_e32 v66, v14
.LBB14_1637:                            ;   in Loop: Header=BB14_17 Depth=1
	s_or_b64 exec, exec, s[68:69]
                                        ; implicit-def: $vgpr14_vgpr15
.LBB14_1638:                            ;   in Loop: Header=BB14_17 Depth=1
	s_andn2_saveexec_b64 s[66:67], s[66:67]
	s_cbranch_execz .LBB14_1644
; %bb.1639:                             ;   in Loop: Header=BB14_17 Depth=1
	v_cmp_gt_i16_sdwa s[68:69], v7, v16 src0_sel:BYTE_0 src1_sel:DWORD
                                        ; implicit-def: $vgpr66
	s_and_saveexec_b64 s[70:71], s[68:69]
	s_xor_b64 s[68:69], exec, s[70:71]
	s_cbranch_execz .LBB14_1641
; %bb.1640:                             ;   in Loop: Header=BB14_17 Depth=1
	flat_load_sbyte v14, v[14:15]
	s_waitcnt vmcnt(0) lgkmcnt(0)
	v_cvt_f32_i32_e32 v66, v14
                                        ; implicit-def: $vgpr14_vgpr15
.LBB14_1641:                            ;   in Loop: Header=BB14_17 Depth=1
	s_andn2_saveexec_b64 s[68:69], s[68:69]
	s_cbranch_execz .LBB14_1643
; %bb.1642:                             ;   in Loop: Header=BB14_17 Depth=1
	flat_load_ubyte v14, v[14:15]
	s_waitcnt vmcnt(0) lgkmcnt(0)
	v_cvt_f32_ubyte0_e32 v66, v14
.LBB14_1643:                            ;   in Loop: Header=BB14_17 Depth=1
	s_or_b64 exec, exec, s[68:69]
.LBB14_1644:                            ;   in Loop: Header=BB14_17 Depth=1
	s_or_b64 exec, exec, s[66:67]
.LBB14_1645:                            ;   in Loop: Header=BB14_17 Depth=1
	s_or_b64 exec, exec, s[64:65]
	s_andn2_b64 s[56:57], s[56:57], exec
	s_andn2_b64 s[54:55], s[54:55], exec
	s_or_b64 vcc, vcc, exec
	s_or_b64 exec, exec, s[62:63]
	s_mov_b64 s[64:65], 0
	s_and_saveexec_b64 s[62:63], vcc
	s_cbranch_execz .LBB14_1651
.LBB14_1646:                            ;   in Loop: Header=BB14_17 Depth=1
	v_mul_lo_u32 v14, v64, v10
	v_readlane_b32 s64, v44, 0
	v_add_co_u32_e32 v14, vcc, v4, v14
	v_add_u32_e32 v65, s64, v17
	v_addc_co_u32_e32 v15, vcc, 0, v5, vcc
	v_cmp_gt_i16_sdwa s[64:65], v8, v18 src0_sel:BYTE_0 src1_sel:DWORD
	s_mov_b64 s[68:69], 0
	s_waitcnt vmcnt(0) lgkmcnt(0)
	buffer_store_dword v66, v65, s[0:3], 0 offen offset:60
                                        ; implicit-def: $vcc
                                        ; implicit-def: $sgpr66_sgpr67
                                        ; implicit-def: $vgpr64
	s_and_saveexec_b64 s[70:71], s[64:65]
	s_xor_b64 s[64:65], exec, s[70:71]
	s_cbranch_execnz .LBB14_1673
; %bb.1647:                             ;   in Loop: Header=BB14_17 Depth=1
	s_andn2_saveexec_b64 s[64:65], s[64:65]
	s_cbranch_execnz .LBB14_1732
.LBB14_1648:                            ;   in Loop: Header=BB14_17 Depth=1
	s_or_b64 exec, exec, s[64:65]
	s_mov_b64 s[64:65], 0
	s_and_saveexec_b64 s[70:71], s[68:69]
	s_cbranch_execz .LBB14_1650
.LBB14_1649:                            ;   in Loop: Header=BB14_17 Depth=1
	s_mov_b64 s[64:65], exec
	v_add_u32_e32 v55, 0x200, v55
	s_andn2_b64 s[66:67], s[66:67], exec
	s_andn2_b64 vcc, vcc, exec
	s_waitcnt vmcnt(0) lgkmcnt(0)
	buffer_store_dword v64, v65, s[0:3], 0 offen offset:56
.LBB14_1650:                            ;   in Loop: Header=BB14_17 Depth=1
	s_or_b64 exec, exec, s[70:71]
	s_andn2_b64 s[56:57], s[56:57], exec
	s_and_b64 s[66:67], s[66:67], exec
	s_andn2_b64 s[54:55], s[54:55], exec
	s_and_b64 vcc, vcc, exec
	s_or_b64 s[56:57], s[56:57], s[66:67]
	s_or_b64 s[54:55], s[54:55], vcc
	s_and_b64 s[64:65], s[64:65], exec
.LBB14_1651:                            ;   in Loop: Header=BB14_17 Depth=1
	s_or_b64 exec, exec, s[62:63]
	s_and_b64 s[56:57], s[56:57], exec
	s_and_b64 s[54:55], s[54:55], exec
	s_orn2_b64 s[62:63], s[64:65], exec
.LBB14_1652:                            ;   in Loop: Header=BB14_17 Depth=1
	s_or_b64 exec, exec, s[58:59]
	s_and_saveexec_b64 s[58:59], s[62:63]
	s_cbranch_execz .LBB14_9
; %bb.1653:                             ;   in Loop: Header=BB14_17 Depth=1
	v_cmp_lt_i32_e32 vcc, v55, v6
	s_mov_b64 s[66:67], -1
	s_mov_b64 s[68:69], -1
                                        ; implicit-def: $sgpr60_sgpr61
                                        ; implicit-def: $sgpr62_sgpr63
                                        ; kill: killed $sgpr62_sgpr63
	s_and_saveexec_b64 s[64:65], vcc
	s_cbranch_execz .LBB14_1879
; %bb.1654:                             ;   in Loop: Header=BB14_17 Depth=1
	v_readlane_b32 vcc_lo, v44, 1
	s_waitcnt vmcnt(0) lgkmcnt(0)
	v_add_u32_e32 v64, vcc_lo, v55
	v_mul_lo_u32 v14, v64, v9
	v_add_co_u32_e32 v14, vcc, v2, v14
	v_addc_co_u32_e32 v15, vcc, 0, v3, vcc
	v_cmp_gt_i16_sdwa s[68:69], v7, v18 src0_sel:BYTE_0 src1_sel:DWORD
	s_mov_b64 vcc, 0
                                        ; implicit-def: $sgpr60_sgpr61
                                        ; implicit-def: $sgpr62_sgpr63
                                        ; implicit-def: $vgpr66
	s_and_saveexec_b64 s[70:71], s[68:69]
	s_xor_b64 s[68:69], exec, s[70:71]
	s_cbranch_execnz .LBB14_1773
; %bb.1655:                             ;   in Loop: Header=BB14_17 Depth=1
	s_andn2_saveexec_b64 s[68:69], s[68:69]
	s_cbranch_execnz .LBB14_1832
.LBB14_1656:                            ;   in Loop: Header=BB14_17 Depth=1
	s_or_b64 exec, exec, s[68:69]
	s_mov_b64 s[70:71], 0
	s_and_saveexec_b64 s[68:69], vcc
	s_cbranch_execnz .LBB14_1873
	s_branch .LBB14_1878
.LBB14_1657:                            ;   in Loop: Header=BB14_17 Depth=1
	s_movk_i32 vcc_lo, 0x80
	v_cmp_eq_u16_e32 vcc, vcc_lo, v14
	s_mov_b64 s[50:51], -1
                                        ; implicit-def: $sgpr56
	s_and_saveexec_b64 s[54:55], vcc
; %bb.1658:                             ;   in Loop: Header=BB14_17 Depth=1
	s_mov_b32 s56, 0x7f800001
	s_xor_b64 s[50:51], exec, -1
; %bb.1659:                             ;   in Loop: Header=BB14_17 Depth=1
	s_or_b64 exec, exec, s[54:55]
	s_and_b64 s[50:51], s[50:51], exec
	s_or_saveexec_b64 s[52:53], s[52:53]
	v_mov_b32_e32 v64, s56
	s_xor_b64 exec, exec, s[52:53]
	s_cbranch_execz .LBB14_592
.LBB14_1660:                            ;   in Loop: Header=BB14_17 Depth=1
	v_cmp_ne_u16_e32 vcc, 0, v14
	s_andn2_b64 s[50:51], s[50:51], exec
	s_and_b64 vcc, vcc, exec
	v_mov_b32_e32 v64, 0
	s_or_b64 s[50:51], s[50:51], vcc
	s_or_b64 exec, exec, s[52:53]
	s_and_saveexec_b64 s[52:53], s[50:51]
	s_cbranch_execnz .LBB14_593
	s_branch .LBB14_594
.LBB14_1661:                            ;   in Loop: Header=BB14_17 Depth=1
	s_movk_i32 vcc_lo, 0x80
	v_cmp_eq_u16_e32 vcc, vcc_lo, v14
	s_mov_b64 s[50:51], -1
                                        ; implicit-def: $sgpr56
	s_and_saveexec_b64 s[54:55], vcc
; %bb.1662:                             ;   in Loop: Header=BB14_17 Depth=1
	s_mov_b32 s56, 0x7f800001
	s_xor_b64 s[50:51], exec, -1
; %bb.1663:                             ;   in Loop: Header=BB14_17 Depth=1
	s_or_b64 exec, exec, s[54:55]
	s_and_b64 s[50:51], s[50:51], exec
	s_or_saveexec_b64 s[52:53], s[52:53]
	v_mov_b32_e32 v66, s56
	s_xor_b64 exec, exec, s[52:53]
	s_cbranch_execz .LBB14_692
.LBB14_1664:                            ;   in Loop: Header=BB14_17 Depth=1
	v_cmp_ne_u16_e32 vcc, 0, v14
	s_andn2_b64 s[50:51], s[50:51], exec
	s_and_b64 vcc, vcc, exec
	v_mov_b32_e32 v66, 0
	s_or_b64 s[50:51], s[50:51], vcc
	s_or_b64 exec, exec, s[52:53]
	s_and_saveexec_b64 s[52:53], s[50:51]
	s_cbranch_execnz .LBB14_693
	s_branch .LBB14_694
.LBB14_1665:                            ;   in Loop: Header=BB14_17 Depth=1
	s_movk_i32 vcc_lo, 0x80
	v_cmp_eq_u16_e32 vcc, vcc_lo, v14
	s_mov_b64 s[54:55], -1
                                        ; implicit-def: $sgpr60
	s_and_saveexec_b64 s[58:59], vcc
; %bb.1666:                             ;   in Loop: Header=BB14_17 Depth=1
	s_mov_b32 s60, 0x7f800001
	s_xor_b64 s[54:55], exec, -1
; %bb.1667:                             ;   in Loop: Header=BB14_17 Depth=1
	s_or_b64 exec, exec, s[58:59]
	s_and_b64 s[54:55], s[54:55], exec
	s_or_saveexec_b64 s[56:57], s[56:57]
	v_mov_b32_e32 v64, s60
	s_xor_b64 exec, exec, s[56:57]
	s_cbranch_execz .LBB14_796
.LBB14_1668:                            ;   in Loop: Header=BB14_17 Depth=1
	v_cmp_ne_u16_e32 vcc, 0, v14
	s_andn2_b64 s[54:55], s[54:55], exec
	s_and_b64 vcc, vcc, exec
	v_mov_b32_e32 v64, 0
	s_or_b64 s[54:55], s[54:55], vcc
	s_or_b64 exec, exec, s[56:57]
	s_and_saveexec_b64 s[56:57], s[54:55]
	s_cbranch_execnz .LBB14_797
	s_branch .LBB14_798
.LBB14_1669:                            ;   in Loop: Header=BB14_17 Depth=1
	s_movk_i32 vcc_lo, 0x80
	v_cmp_eq_u16_e32 vcc, vcc_lo, v14
	s_mov_b64 s[54:55], -1
                                        ; implicit-def: $sgpr60
	s_and_saveexec_b64 s[58:59], vcc
; %bb.1670:                             ;   in Loop: Header=BB14_17 Depth=1
	s_mov_b32 s60, 0x7f800001
	s_xor_b64 s[54:55], exec, -1
; %bb.1671:                             ;   in Loop: Header=BB14_17 Depth=1
	s_or_b64 exec, exec, s[58:59]
	s_and_b64 s[54:55], s[54:55], exec
	s_or_saveexec_b64 s[56:57], s[56:57]
	v_mov_b32_e32 v66, s60
	s_xor_b64 exec, exec, s[56:57]
	s_cbranch_execz .LBB14_896
.LBB14_1672:                            ;   in Loop: Header=BB14_17 Depth=1
	v_cmp_ne_u16_e32 vcc, 0, v14
	s_andn2_b64 s[54:55], s[54:55], exec
	s_and_b64 vcc, vcc, exec
	v_mov_b32_e32 v66, 0
	s_or_b64 s[54:55], s[54:55], vcc
	s_or_b64 exec, exec, s[56:57]
	s_and_saveexec_b64 s[56:57], s[54:55]
	s_cbranch_execnz .LBB14_897
	s_branch .LBB14_898
.LBB14_1673:                            ;   in Loop: Header=BB14_17 Depth=1
	v_cmp_gt_i16_sdwa vcc, v8, v19 src0_sel:BYTE_0 src1_sel:DWORD
                                        ; implicit-def: $sgpr70_sgpr71
                                        ; implicit-def: $sgpr72_sgpr73
                                        ; implicit-def: $vgpr64
	s_and_saveexec_b64 s[66:67], vcc
	s_xor_b64 s[66:67], exec, s[66:67]
	s_cbranch_execz .LBB14_1705
; %bb.1674:                             ;   in Loop: Header=BB14_17 Depth=1
	v_cmp_gt_i16_sdwa vcc, v8, v20 src0_sel:BYTE_0 src1_sel:DWORD
                                        ; implicit-def: $sgpr70_sgpr71
                                        ; implicit-def: $sgpr74_sgpr75
                                        ; implicit-def: $vgpr64
	s_and_saveexec_b64 s[72:73], vcc
	s_xor_b64 s[72:73], exec, s[72:73]
	s_cbranch_execz .LBB14_1690
; %bb.1675:                             ;   in Loop: Header=BB14_17 Depth=1
	v_cmp_gt_i16_sdwa s[68:69], v8, v21 src0_sel:BYTE_0 src1_sel:DWORD
	s_mov_b64 s[76:77], 0
                                        ; implicit-def: $vcc
                                        ; implicit-def: $sgpr74_sgpr75
                                        ; implicit-def: $vgpr64
	s_and_saveexec_b64 s[70:71], s[68:69]
	s_xor_b64 s[68:69], exec, s[70:71]
	s_cbranch_execz .LBB14_1685
; %bb.1676:                             ;   in Loop: Header=BB14_17 Depth=1
	v_cmp_gt_i16_sdwa vcc, v8, v22 src0_sel:BYTE_0 src1_sel:DWORD
                                        ; implicit-def: $sgpr74_sgpr75
                                        ; implicit-def: $sgpr70_sgpr71
                                        ; implicit-def: $vgpr64
	s_and_saveexec_b64 s[78:79], vcc
	s_xor_b64 vcc, exec, s[78:79]
	s_cbranch_execz .LBB14_1680
; %bb.1677:                             ;   in Loop: Header=BB14_17 Depth=1
	v_cmp_eq_u16_sdwa s[78:79], v8, v23 src0_sel:BYTE_0 src1_sel:DWORD
	s_mov_b64 s[70:71], 0
                                        ; implicit-def: $vgpr64
	s_and_saveexec_b64 s[74:75], s[78:79]
	s_cbranch_execz .LBB14_1679
; %bb.1678:                             ;   in Loop: Header=BB14_17 Depth=1
	flat_load_dword v14, v[14:15]
	s_mov_b64 s[76:77], exec
	s_waitcnt vmcnt(0) lgkmcnt(0)
	v_lshlrev_b32_e32 v64, 16, v14
.LBB14_1679:                            ;   in Loop: Header=BB14_17 Depth=1
	s_or_b64 exec, exec, s[74:75]
	s_mov_b64 s[74:75], -1
	s_and_b64 s[76:77], s[76:77], exec
                                        ; implicit-def: $vgpr14_vgpr15
.LBB14_1680:                            ;   in Loop: Header=BB14_17 Depth=1
	s_andn2_saveexec_b64 s[78:79], vcc
	s_cbranch_execz .LBB14_1684
; %bb.1681:                             ;   in Loop: Header=BB14_17 Depth=1
	v_cmp_eq_u16_sdwa s[82:83], v8, v24 src0_sel:BYTE_0 src1_sel:DWORD
	s_mov_b64 vcc, s[76:77]
                                        ; implicit-def: $vgpr64
	s_and_saveexec_b64 s[80:81], s[82:83]
	s_cbranch_execz .LBB14_1683
; %bb.1682:                             ;   in Loop: Header=BB14_17 Depth=1
	flat_load_ubyte v14, v[14:15]
	s_movk_i32 vcc_lo, 0xff
	s_waitcnt vmcnt(0) lgkmcnt(0)
	v_lshlrev_b32_e32 v15, 23, v14
	v_cmp_ne_u32_e32 vcc, vcc_lo, v14
	v_cndmask_b32_e32 v15, v25, v15, vcc
	v_cmp_ne_u32_e32 vcc, 0, v14
	v_cndmask_b32_e32 v64, v26, v15, vcc
	s_or_b64 vcc, s[76:77], exec
.LBB14_1683:                            ;   in Loop: Header=BB14_17 Depth=1
	s_or_b64 exec, exec, s[80:81]
	s_andn2_b64 s[76:77], s[76:77], exec
	s_and_b64 vcc, vcc, exec
	s_or_b64 s[74:75], s[74:75], exec
	s_andn2_b64 s[70:71], s[70:71], exec
	s_or_b64 s[76:77], s[76:77], vcc
.LBB14_1684:                            ;   in Loop: Header=BB14_17 Depth=1
	s_or_b64 exec, exec, s[78:79]
	s_and_b64 s[74:75], s[74:75], exec
	s_and_b64 vcc, s[70:71], exec
	s_and_b64 s[76:77], s[76:77], exec
                                        ; implicit-def: $vgpr14_vgpr15
.LBB14_1685:                            ;   in Loop: Header=BB14_17 Depth=1
	s_andn2_saveexec_b64 s[68:69], s[68:69]
	s_cbranch_execz .LBB14_1689
; %bb.1686:                             ;   in Loop: Header=BB14_17 Depth=1
	v_cmp_eq_u16_sdwa s[80:81], v8, v27 src0_sel:BYTE_0 src1_sel:DWORD
	s_mov_b64 s[78:79], s[76:77]
                                        ; implicit-def: $vgpr64
	s_and_saveexec_b64 s[70:71], s[80:81]
	s_cbranch_execz .LBB14_1688
; %bb.1687:                             ;   in Loop: Header=BB14_17 Depth=1
	flat_load_dwordx2 v[14:15], v[14:15]
	s_or_b64 s[78:79], s[76:77], exec
	s_waitcnt vmcnt(0) lgkmcnt(0)
	v_ffbh_u32_e32 v64, v15
	v_min_u32_e32 v64, 32, v64
	v_lshlrev_b64 v[14:15], v64, v[14:15]
	v_min_u32_e32 v14, 1, v14
	v_or_b32_e32 v14, v15, v14
	v_cvt_f32_u32_e32 v14, v14
	v_sub_u32_e32 v15, 32, v64
	v_ldexp_f32 v64, v14, v15
.LBB14_1688:                            ;   in Loop: Header=BB14_17 Depth=1
	s_or_b64 exec, exec, s[70:71]
	s_andn2_b64 s[70:71], s[76:77], exec
	s_and_b64 s[76:77], s[78:79], exec
	s_or_b64 s[74:75], s[74:75], exec
	s_andn2_b64 vcc, vcc, exec
	s_or_b64 s[76:77], s[70:71], s[76:77]
.LBB14_1689:                            ;   in Loop: Header=BB14_17 Depth=1
	s_or_b64 exec, exec, s[68:69]
	s_and_b64 s[74:75], s[74:75], exec
	s_and_b64 s[70:71], vcc, exec
	s_and_b64 s[68:69], s[76:77], exec
                                        ; implicit-def: $vgpr14_vgpr15
.LBB14_1690:                            ;   in Loop: Header=BB14_17 Depth=1
	s_andn2_saveexec_b64 s[72:73], s[72:73]
	s_cbranch_execz .LBB14_1704
; %bb.1691:                             ;   in Loop: Header=BB14_17 Depth=1
	v_cmp_gt_i16_sdwa vcc, v8, v28 src0_sel:BYTE_0 src1_sel:DWORD
                                        ; implicit-def: $vgpr64
	s_and_saveexec_b64 s[76:77], vcc
	s_xor_b64 vcc, exec, s[76:77]
	s_cbranch_execz .LBB14_1697
; %bb.1692:                             ;   in Loop: Header=BB14_17 Depth=1
	v_cmp_gt_i16_sdwa s[76:77], v8, v29 src0_sel:BYTE_0 src1_sel:DWORD
                                        ; implicit-def: $vgpr64
	s_and_saveexec_b64 s[78:79], s[76:77]
	s_xor_b64 s[76:77], exec, s[78:79]
	s_cbranch_execz .LBB14_1694
; %bb.1693:                             ;   in Loop: Header=BB14_17 Depth=1
	flat_load_dword v14, v[14:15]
	s_waitcnt vmcnt(0) lgkmcnt(0)
	v_cvt_f32_u32_e32 v64, v14
                                        ; implicit-def: $vgpr14_vgpr15
.LBB14_1694:                            ;   in Loop: Header=BB14_17 Depth=1
	s_andn2_saveexec_b64 s[76:77], s[76:77]
	s_cbranch_execz .LBB14_1696
; %bb.1695:                             ;   in Loop: Header=BB14_17 Depth=1
	flat_load_ushort v14, v[14:15]
	s_waitcnt vmcnt(0) lgkmcnt(0)
	v_cvt_f32_u32_e32 v64, v14
.LBB14_1696:                            ;   in Loop: Header=BB14_17 Depth=1
	s_or_b64 exec, exec, s[76:77]
                                        ; implicit-def: $vgpr14_vgpr15
.LBB14_1697:                            ;   in Loop: Header=BB14_17 Depth=1
	s_andn2_saveexec_b64 s[76:77], vcc
	s_cbranch_execz .LBB14_1703
; %bb.1698:                             ;   in Loop: Header=BB14_17 Depth=1
	flat_load_ubyte v14, v[14:15]
	s_movk_i32 vcc_lo, 0x7f
	s_mov_b64 s[78:79], 0
                                        ; implicit-def: $sgpr84
	s_waitcnt vmcnt(0) lgkmcnt(0)
	v_cmp_lt_i16_e32 vcc, vcc_lo, v14
	s_and_saveexec_b64 s[80:81], vcc
	s_xor_b64 s[80:81], exec, s[80:81]
	s_cbranch_execnz .LBB14_2573
; %bb.1699:                             ;   in Loop: Header=BB14_17 Depth=1
	s_or_saveexec_b64 s[80:81], s[80:81]
	v_mov_b32_e32 v64, s84
	s_xor_b64 exec, exec, s[80:81]
	s_cbranch_execnz .LBB14_2576
.LBB14_1700:                            ;   in Loop: Header=BB14_17 Depth=1
	s_or_b64 exec, exec, s[80:81]
	s_and_saveexec_b64 s[80:81], s[78:79]
	s_cbranch_execz .LBB14_1702
.LBB14_1701:                            ;   in Loop: Header=BB14_17 Depth=1
	v_lshlrev_b32_e32 v15, 24, v14
	v_and_b32_e32 v14, 0xffff, v14
	v_and_b32_e32 v64, 7, v14
	v_ffbh_u32_e32 v67, v64
	v_min_u32_e32 v67, 32, v67
	v_subrev_u32_e32 v68, 28, v67
	v_bfe_u32 v66, v14, 3, 4
	v_lshlrev_b32_e32 v14, v68, v14
	v_sub_u32_e32 v67, 29, v67
	v_and_b32_e32 v14, 7, v14
	v_cmp_eq_u32_e32 vcc, 0, v66
	v_cndmask_b32_e32 v66, v66, v67, vcc
	v_cndmask_b32_e32 v14, v64, v14, vcc
	v_lshlrev_b32_e32 v14, 20, v14
	v_and_b32_e32 v15, 0x80000000, v15
	v_lshl_add_u32 v64, v66, 23, v30
	v_or3_b32 v64, v15, v64, v14
.LBB14_1702:                            ;   in Loop: Header=BB14_17 Depth=1
	s_or_b64 exec, exec, s[80:81]
.LBB14_1703:                            ;   in Loop: Header=BB14_17 Depth=1
	s_or_b64 exec, exec, s[76:77]
	s_andn2_b64 s[74:75], s[74:75], exec
	s_andn2_b64 s[70:71], s[70:71], exec
	s_or_b64 s[68:69], s[68:69], exec
.LBB14_1704:                            ;   in Loop: Header=BB14_17 Depth=1
	s_or_b64 exec, exec, s[72:73]
	s_and_b64 s[72:73], s[74:75], exec
	s_and_b64 s[70:71], s[70:71], exec
	;; [unrolled: 1-line block ×3, first 2 shown]
                                        ; implicit-def: $vgpr14_vgpr15
.LBB14_1705:                            ;   in Loop: Header=BB14_17 Depth=1
	s_andn2_saveexec_b64 s[66:67], s[66:67]
	s_cbranch_execz .LBB14_1731
; %bb.1706:                             ;   in Loop: Header=BB14_17 Depth=1
	v_cmp_gt_i16_sdwa vcc, v8, v31 src0_sel:BYTE_0 src1_sel:DWORD
	s_mov_b64 s[76:77], s[68:69]
                                        ; implicit-def: $vgpr64
	s_and_saveexec_b64 s[74:75], vcc
	s_xor_b64 s[74:75], exec, s[74:75]
	s_cbranch_execz .LBB14_1720
; %bb.1707:                             ;   in Loop: Header=BB14_17 Depth=1
	v_cmp_gt_i16_sdwa vcc, v8, v32 src0_sel:BYTE_0 src1_sel:DWORD
                                        ; implicit-def: $vgpr64
	s_and_saveexec_b64 s[76:77], vcc
	s_xor_b64 s[76:77], exec, s[76:77]
	s_cbranch_execz .LBB14_1717
; %bb.1708:                             ;   in Loop: Header=BB14_17 Depth=1
	v_cmp_gt_i16_sdwa vcc, v8, v33 src0_sel:BYTE_0 src1_sel:DWORD
                                        ; implicit-def: $vgpr64
	s_and_saveexec_b64 s[78:79], vcc
	s_xor_b64 s[78:79], exec, s[78:79]
	s_cbranch_execz .LBB14_1714
; %bb.1709:                             ;   in Loop: Header=BB14_17 Depth=1
	flat_load_ubyte v14, v[14:15]
	s_movk_i32 vcc_lo, 0x7f
	s_mov_b64 s[80:81], 0
                                        ; implicit-def: $sgpr86
	s_waitcnt vmcnt(0) lgkmcnt(0)
	v_cmp_lt_i16_e32 vcc, vcc_lo, v14
	s_and_saveexec_b64 s[82:83], vcc
	s_xor_b64 s[82:83], exec, s[82:83]
	s_cbranch_execnz .LBB14_2892
; %bb.1710:                             ;   in Loop: Header=BB14_17 Depth=1
	s_or_saveexec_b64 s[82:83], s[82:83]
	v_mov_b32_e32 v64, s86
	s_xor_b64 exec, exec, s[82:83]
	s_cbranch_execnz .LBB14_2895
.LBB14_1711:                            ;   in Loop: Header=BB14_17 Depth=1
	s_or_b64 exec, exec, s[82:83]
	s_and_saveexec_b64 s[82:83], s[80:81]
	s_cbranch_execz .LBB14_1713
.LBB14_1712:                            ;   in Loop: Header=BB14_17 Depth=1
	v_lshlrev_b32_e32 v15, 24, v14
	v_and_b32_e32 v14, 0xffff, v14
	v_and_b32_e32 v64, 3, v14
	v_ffbh_u32_e32 v67, v64
	v_min_u32_e32 v67, 32, v67
	v_subrev_u32_e32 v68, 29, v67
	v_bfe_u32 v66, v14, 2, 5
	v_lshlrev_b32_e32 v14, v68, v14
	v_sub_u32_e32 v67, 30, v67
	v_and_b32_e32 v14, 3, v14
	v_cmp_eq_u32_e32 vcc, 0, v66
	v_cndmask_b32_e32 v66, v66, v67, vcc
	v_cndmask_b32_e32 v14, v64, v14, vcc
	v_lshlrev_b32_e32 v14, 21, v14
	v_and_b32_e32 v15, 0x80000000, v15
	v_lshl_add_u32 v64, v66, 23, v34
	v_or3_b32 v64, v15, v64, v14
.LBB14_1713:                            ;   in Loop: Header=BB14_17 Depth=1
	s_or_b64 exec, exec, s[82:83]
                                        ; implicit-def: $vgpr14_vgpr15
.LBB14_1714:                            ;   in Loop: Header=BB14_17 Depth=1
	s_andn2_saveexec_b64 s[78:79], s[78:79]
	s_cbranch_execz .LBB14_1716
; %bb.1715:                             ;   in Loop: Header=BB14_17 Depth=1
	flat_load_ubyte v14, v[14:15]
	s_mov_b32 vcc_lo, 0x7f800000
	s_waitcnt vmcnt(0) lgkmcnt(0)
	v_lshlrev_b32_e32 v14, 24, v14
	v_and_b32_e32 v15, 0x7f000000, v14
	v_ffbh_u32_e32 v64, v15
	v_min_u32_e32 v64, 32, v64
	v_sub_u32_e64 v64, v64, 4 clamp
	v_lshlrev_b32_e32 v67, v64, v15
	v_lshlrev_b32_e32 v64, 23, v64
	v_lshrrev_b32_e32 v67, 4, v67
	v_add_u32_e32 v66, 0x1000000, v15
	v_sub_u32_e32 v64, v67, v64
	v_ashrrev_i32_e32 v66, 8, v66
	v_add_u32_e32 v64, 0x3c000000, v64
	v_and_or_b32 v64, v66, vcc_lo, v64
	v_cmp_ne_u32_e32 vcc, 0, v15
	v_cndmask_b32_e32 v15, 0, v64, vcc
	s_brev_b32 vcc_lo, 1
	v_and_or_b32 v64, v14, vcc_lo, v15
.LBB14_1716:                            ;   in Loop: Header=BB14_17 Depth=1
	s_or_b64 exec, exec, s[78:79]
                                        ; implicit-def: $vgpr14_vgpr15
.LBB14_1717:                            ;   in Loop: Header=BB14_17 Depth=1
	s_andn2_saveexec_b64 s[76:77], s[76:77]
	s_cbranch_execz .LBB14_1719
; %bb.1718:                             ;   in Loop: Header=BB14_17 Depth=1
	flat_load_ubyte v14, v[14:15]
	s_movk_i32 vcc_lo, 0x7f00
	s_waitcnt vmcnt(0) lgkmcnt(0)
	v_lshlrev_b16_e32 v15, 8, v14
	v_lshlrev_b32_e32 v14, 25, v14
	v_lshrrev_b32_e32 v64, 4, v14
	v_and_or_b32 v66, v15, vcc_lo, 0.5
	v_or_b32_e32 v64, 0x70000000, v64
	s_brev_b32 vcc_lo, 16
	v_add_f32_e32 v66, -0.5, v66
	v_mul_f32_e32 v64, 0x7800000, v64
	v_cmp_gt_u32_e32 vcc, vcc_lo, v14
	v_cndmask_b32_e32 v14, v64, v66, vcc
	v_bfe_i32 v15, v15, 0, 16
	s_brev_b32 vcc_lo, 1
	v_and_or_b32 v64, v15, vcc_lo, v14
.LBB14_1719:                            ;   in Loop: Header=BB14_17 Depth=1
	s_or_b64 exec, exec, s[76:77]
	s_or_b64 s[76:77], s[68:69], exec
                                        ; implicit-def: $vgpr14_vgpr15
.LBB14_1720:                            ;   in Loop: Header=BB14_17 Depth=1
	s_or_saveexec_b64 s[74:75], s[74:75]
                                        ; implicit-def: $vcc
                                        ; implicit-def: $sgpr82_sgpr83
	s_xor_b64 exec, exec, s[74:75]
	s_cbranch_execz .LBB14_1730
; %bb.1721:                             ;   in Loop: Header=BB14_17 Depth=1
	v_cmp_gt_i16_sdwa vcc, v8, v35 src0_sel:BYTE_0 src1_sel:DWORD
	s_mov_b64 s[80:81], s[76:77]
                                        ; implicit-def: $sgpr82_sgpr83
                                        ; implicit-def: $sgpr78_sgpr79
                                        ; implicit-def: $vgpr64
	s_and_saveexec_b64 s[84:85], vcc
	s_xor_b64 vcc, exec, s[84:85]
	s_cbranch_execz .LBB14_1725
; %bb.1722:                             ;   in Loop: Header=BB14_17 Depth=1
	v_cmp_eq_u16_sdwa s[82:83], v8, v36 src0_sel:BYTE_0 src1_sel:DWORD
	s_mov_b64 s[80:81], s[76:77]
                                        ; implicit-def: $vgpr64
	s_and_saveexec_b64 s[78:79], s[82:83]
	s_cbranch_execz .LBB14_1724
; %bb.1723:                             ;   in Loop: Header=BB14_17 Depth=1
	flat_load_ushort v14, v[14:15]
	s_or_b64 s[80:81], s[76:77], exec
	s_waitcnt vmcnt(0) lgkmcnt(0)
	v_lshlrev_b32_e32 v64, 16, v14
.LBB14_1724:                            ;   in Loop: Header=BB14_17 Depth=1
	s_or_b64 exec, exec, s[78:79]
	s_andn2_b64 s[84:85], s[76:77], exec
	s_and_b64 s[80:81], s[80:81], exec
	s_mov_b64 s[78:79], 0
	s_mov_b64 s[82:83], -1
	s_or_b64 s[80:81], s[84:85], s[80:81]
                                        ; implicit-def: $vgpr14_vgpr15
.LBB14_1725:                            ;   in Loop: Header=BB14_17 Depth=1
	s_andn2_saveexec_b64 s[84:85], vcc
	s_cbranch_execz .LBB14_1729
; %bb.1726:                             ;   in Loop: Header=BB14_17 Depth=1
	v_cmp_eq_u16_sdwa s[88:89], v8, v37 src0_sel:BYTE_0 src1_sel:DWORD
	s_mov_b64 vcc, s[80:81]
                                        ; implicit-def: $vgpr64
	s_and_saveexec_b64 s[86:87], s[88:89]
	s_cbranch_execz .LBB14_1728
; %bb.1727:                             ;   in Loop: Header=BB14_17 Depth=1
	flat_load_ubyte v14, v[14:15]
	s_waitcnt vmcnt(0) lgkmcnt(0)
	v_cmp_ne_u16_e32 vcc, 0, v14
	v_cndmask_b32_e64 v64, 0, 1.0, vcc
	s_or_b64 vcc, s[80:81], exec
.LBB14_1728:                            ;   in Loop: Header=BB14_17 Depth=1
	s_or_b64 exec, exec, s[86:87]
	s_andn2_b64 s[80:81], s[80:81], exec
	s_and_b64 vcc, vcc, exec
	s_or_b64 s[82:83], s[82:83], exec
	s_andn2_b64 s[78:79], s[78:79], exec
	s_or_b64 s[80:81], s[80:81], vcc
.LBB14_1729:                            ;   in Loop: Header=BB14_17 Depth=1
	s_or_b64 exec, exec, s[84:85]
	s_and_b64 vcc, s[78:79], exec
	s_andn2_b64 s[76:77], s[76:77], exec
	s_and_b64 s[78:79], s[80:81], exec
	s_and_b64 s[82:83], s[82:83], exec
	s_or_b64 s[76:77], s[76:77], s[78:79]
.LBB14_1730:                            ;   in Loop: Header=BB14_17 Depth=1
	s_or_b64 exec, exec, s[74:75]
	s_andn2_b64 s[70:71], s[70:71], exec
	s_and_b64 vcc, vcc, exec
	s_andn2_b64 s[72:73], s[72:73], exec
	s_and_b64 s[74:75], s[82:83], exec
	s_or_b64 s[70:71], s[70:71], vcc
	s_andn2_b64 vcc, s[68:69], exec
	s_and_b64 s[68:69], s[76:77], exec
	s_or_b64 s[72:73], s[72:73], s[74:75]
	s_or_b64 s[68:69], vcc, s[68:69]
.LBB14_1731:                            ;   in Loop: Header=BB14_17 Depth=1
	s_or_b64 exec, exec, s[66:67]
	s_and_b64 s[66:67], s[72:73], exec
	s_and_b64 vcc, s[70:71], exec
	s_and_b64 s[68:69], s[68:69], exec
                                        ; implicit-def: $vgpr14_vgpr15
	s_andn2_saveexec_b64 s[64:65], s[64:65]
	s_cbranch_execz .LBB14_1648
.LBB14_1732:                            ;   in Loop: Header=BB14_17 Depth=1
	v_cmp_gt_i16_sdwa s[70:71], v8, v38 src0_sel:BYTE_0 src1_sel:DWORD
                                        ; implicit-def: $vgpr64
	s_and_saveexec_b64 s[72:73], s[70:71]
	s_xor_b64 s[70:71], exec, s[72:73]
	s_cbranch_execz .LBB14_1754
; %bb.1733:                             ;   in Loop: Header=BB14_17 Depth=1
	v_cmp_gt_i16_sdwa s[72:73], v8, v39 src0_sel:BYTE_0 src1_sel:DWORD
                                        ; implicit-def: $vgpr64
	s_and_saveexec_b64 s[74:75], s[72:73]
	s_xor_b64 s[72:73], exec, s[74:75]
	s_cbranch_execz .LBB14_1743
; %bb.1734:                             ;   in Loop: Header=BB14_17 Depth=1
	;; [unrolled: 6-line block ×4, first 2 shown]
	flat_load_dwordx2 v[14:15], v[14:15]
	s_waitcnt vmcnt(0) lgkmcnt(0)
	v_cvt_f32_f64_e32 v64, v[14:15]
                                        ; implicit-def: $vgpr14_vgpr15
.LBB14_1737:                            ;   in Loop: Header=BB14_17 Depth=1
	s_andn2_saveexec_b64 s[76:77], s[76:77]
	s_cbranch_execz .LBB14_1739
; %bb.1738:                             ;   in Loop: Header=BB14_17 Depth=1
	flat_load_dword v64, v[14:15]
.LBB14_1739:                            ;   in Loop: Header=BB14_17 Depth=1
	s_or_b64 exec, exec, s[76:77]
                                        ; implicit-def: $vgpr14_vgpr15
.LBB14_1740:                            ;   in Loop: Header=BB14_17 Depth=1
	s_andn2_saveexec_b64 s[74:75], s[74:75]
	s_cbranch_execz .LBB14_1742
; %bb.1741:                             ;   in Loop: Header=BB14_17 Depth=1
	flat_load_dword v14, v[14:15]
	s_waitcnt vmcnt(0) lgkmcnt(0)
	v_cvt_f32_f16_e32 v64, v14
.LBB14_1742:                            ;   in Loop: Header=BB14_17 Depth=1
	s_or_b64 exec, exec, s[74:75]
                                        ; implicit-def: $vgpr14_vgpr15
.LBB14_1743:                            ;   in Loop: Header=BB14_17 Depth=1
	s_andn2_saveexec_b64 s[72:73], s[72:73]
	s_cbranch_execz .LBB14_1753
; %bb.1744:                             ;   in Loop: Header=BB14_17 Depth=1
	v_cmp_gt_i16_sdwa s[74:75], v8, v50 src0_sel:BYTE_0 src1_sel:DWORD
                                        ; implicit-def: $vgpr64
	s_and_saveexec_b64 s[76:77], s[74:75]
	s_xor_b64 s[74:75], exec, s[76:77]
	s_cbranch_execz .LBB14_1750
; %bb.1745:                             ;   in Loop: Header=BB14_17 Depth=1
	v_cmp_gt_i16_sdwa s[76:77], v8, v51 src0_sel:BYTE_0 src1_sel:DWORD
                                        ; implicit-def: $vgpr64
	s_and_saveexec_b64 s[78:79], s[76:77]
	s_xor_b64 s[76:77], exec, s[78:79]
	s_cbranch_execz .LBB14_1747
; %bb.1746:                             ;   in Loop: Header=BB14_17 Depth=1
	flat_load_dwordx2 v[14:15], v[14:15]
	s_waitcnt vmcnt(0) lgkmcnt(0)
	v_cvt_f32_f64_e32 v64, v[14:15]
                                        ; implicit-def: $vgpr14_vgpr15
.LBB14_1747:                            ;   in Loop: Header=BB14_17 Depth=1
	s_andn2_saveexec_b64 s[76:77], s[76:77]
	s_cbranch_execz .LBB14_1749
; %bb.1748:                             ;   in Loop: Header=BB14_17 Depth=1
	s_waitcnt vmcnt(0) lgkmcnt(0)
	flat_load_dword v64, v[14:15]
.LBB14_1749:                            ;   in Loop: Header=BB14_17 Depth=1
	s_or_b64 exec, exec, s[76:77]
                                        ; implicit-def: $vgpr14_vgpr15
.LBB14_1750:                            ;   in Loop: Header=BB14_17 Depth=1
	s_andn2_saveexec_b64 s[74:75], s[74:75]
	s_cbranch_execz .LBB14_1752
; %bb.1751:                             ;   in Loop: Header=BB14_17 Depth=1
	flat_load_ushort v14, v[14:15]
	s_waitcnt vmcnt(0) lgkmcnt(0)
	v_cvt_f32_f16_e32 v64, v14
.LBB14_1752:                            ;   in Loop: Header=BB14_17 Depth=1
	s_or_b64 exec, exec, s[74:75]
.LBB14_1753:                            ;   in Loop: Header=BB14_17 Depth=1
	s_or_b64 exec, exec, s[72:73]
                                        ; implicit-def: $vgpr14_vgpr15
.LBB14_1754:                            ;   in Loop: Header=BB14_17 Depth=1
	s_andn2_saveexec_b64 s[70:71], s[70:71]
	s_cbranch_execz .LBB14_1772
; %bb.1755:                             ;   in Loop: Header=BB14_17 Depth=1
	v_cmp_gt_i16_sdwa s[72:73], v8, v52 src0_sel:BYTE_0 src1_sel:DWORD
                                        ; implicit-def: $vgpr64
	s_and_saveexec_b64 s[74:75], s[72:73]
	s_xor_b64 s[72:73], exec, s[74:75]
	s_cbranch_execz .LBB14_1765
; %bb.1756:                             ;   in Loop: Header=BB14_17 Depth=1
	v_cmp_gt_i16_sdwa s[74:75], v8, v53 src0_sel:BYTE_0 src1_sel:DWORD
                                        ; implicit-def: $vgpr64
	s_and_saveexec_b64 s[76:77], s[74:75]
	s_xor_b64 s[74:75], exec, s[76:77]
	;; [unrolled: 6-line block ×3, first 2 shown]
	s_cbranch_execz .LBB14_1759
; %bb.1758:                             ;   in Loop: Header=BB14_17 Depth=1
	flat_load_dwordx2 v[14:15], v[14:15]
	s_waitcnt vmcnt(0) lgkmcnt(0)
	v_xor_b32_e32 v66, v14, v15
	v_ffbh_i32_e32 v64, v15
	v_ashrrev_i32_e32 v66, 31, v66
	v_add_u32_e32 v64, -1, v64
	v_add_u32_e32 v66, 32, v66
	v_min_u32_e32 v64, v64, v66
	v_lshlrev_b64 v[14:15], v64, v[14:15]
	v_min_u32_e32 v14, 1, v14
	v_or_b32_e32 v14, v15, v14
	v_cvt_f32_i32_e32 v14, v14
	v_sub_u32_e32 v15, 32, v64
	v_ldexp_f32 v64, v14, v15
                                        ; implicit-def: $vgpr14_vgpr15
.LBB14_1759:                            ;   in Loop: Header=BB14_17 Depth=1
	s_andn2_saveexec_b64 s[76:77], s[76:77]
	s_cbranch_execz .LBB14_1761
; %bb.1760:                             ;   in Loop: Header=BB14_17 Depth=1
	flat_load_dword v14, v[14:15]
	s_waitcnt vmcnt(0) lgkmcnt(0)
	v_cvt_f32_i32_e32 v64, v14
.LBB14_1761:                            ;   in Loop: Header=BB14_17 Depth=1
	s_or_b64 exec, exec, s[76:77]
                                        ; implicit-def: $vgpr14_vgpr15
.LBB14_1762:                            ;   in Loop: Header=BB14_17 Depth=1
	s_andn2_saveexec_b64 s[74:75], s[74:75]
	s_cbranch_execz .LBB14_1764
; %bb.1763:                             ;   in Loop: Header=BB14_17 Depth=1
	flat_load_sshort v14, v[14:15]
	s_waitcnt vmcnt(0) lgkmcnt(0)
	v_cvt_f32_i32_e32 v64, v14
.LBB14_1764:                            ;   in Loop: Header=BB14_17 Depth=1
	s_or_b64 exec, exec, s[74:75]
                                        ; implicit-def: $vgpr14_vgpr15
.LBB14_1765:                            ;   in Loop: Header=BB14_17 Depth=1
	s_andn2_saveexec_b64 s[72:73], s[72:73]
	s_cbranch_execz .LBB14_1771
; %bb.1766:                             ;   in Loop: Header=BB14_17 Depth=1
	v_cmp_gt_i16_sdwa s[74:75], v8, v16 src0_sel:BYTE_0 src1_sel:DWORD
                                        ; implicit-def: $vgpr64
	s_and_saveexec_b64 s[76:77], s[74:75]
	s_xor_b64 s[74:75], exec, s[76:77]
	s_cbranch_execz .LBB14_1768
; %bb.1767:                             ;   in Loop: Header=BB14_17 Depth=1
	flat_load_sbyte v14, v[14:15]
	s_waitcnt vmcnt(0) lgkmcnt(0)
	v_cvt_f32_i32_e32 v64, v14
                                        ; implicit-def: $vgpr14_vgpr15
.LBB14_1768:                            ;   in Loop: Header=BB14_17 Depth=1
	s_andn2_saveexec_b64 s[74:75], s[74:75]
	s_cbranch_execz .LBB14_1770
; %bb.1769:                             ;   in Loop: Header=BB14_17 Depth=1
	flat_load_ubyte v14, v[14:15]
	s_waitcnt vmcnt(0) lgkmcnt(0)
	v_cvt_f32_ubyte0_e32 v64, v14
.LBB14_1770:                            ;   in Loop: Header=BB14_17 Depth=1
	s_or_b64 exec, exec, s[74:75]
.LBB14_1771:                            ;   in Loop: Header=BB14_17 Depth=1
	s_or_b64 exec, exec, s[72:73]
.LBB14_1772:                            ;   in Loop: Header=BB14_17 Depth=1
	s_or_b64 exec, exec, s[70:71]
	s_andn2_b64 s[66:67], s[66:67], exec
	s_andn2_b64 vcc, vcc, exec
	s_or_b64 s[68:69], s[68:69], exec
	s_or_b64 exec, exec, s[64:65]
	s_mov_b64 s[64:65], 0
	s_and_saveexec_b64 s[70:71], s[68:69]
	s_cbranch_execnz .LBB14_1649
	s_branch .LBB14_1650
.LBB14_1773:                            ;   in Loop: Header=BB14_17 Depth=1
	v_cmp_gt_i16_sdwa vcc, v7, v19 src0_sel:BYTE_0 src1_sel:DWORD
	s_mov_b64 s[70:71], 0
                                        ; implicit-def: $sgpr72_sgpr73
                                        ; implicit-def: $sgpr62_sgpr63
                                        ; implicit-def: $vgpr66
	s_and_saveexec_b64 s[60:61], vcc
	s_xor_b64 s[60:61], exec, s[60:61]
	s_cbranch_execz .LBB14_1805
; %bb.1774:                             ;   in Loop: Header=BB14_17 Depth=1
	v_cmp_gt_i16_sdwa vcc, v7, v20 src0_sel:BYTE_0 src1_sel:DWORD
                                        ; implicit-def: $sgpr72_sgpr73
                                        ; implicit-def: $sgpr74_sgpr75
                                        ; implicit-def: $vgpr66
	s_and_saveexec_b64 s[62:63], vcc
	s_xor_b64 s[62:63], exec, s[62:63]
	s_cbranch_execz .LBB14_1790
; %bb.1775:                             ;   in Loop: Header=BB14_17 Depth=1
	v_cmp_gt_i16_sdwa s[70:71], v7, v21 src0_sel:BYTE_0 src1_sel:DWORD
	s_mov_b64 s[76:77], 0
                                        ; implicit-def: $vcc
                                        ; implicit-def: $sgpr72_sgpr73
                                        ; implicit-def: $vgpr66
	s_and_saveexec_b64 s[74:75], s[70:71]
	s_xor_b64 s[70:71], exec, s[74:75]
	s_cbranch_execz .LBB14_1785
; %bb.1776:                             ;   in Loop: Header=BB14_17 Depth=1
	v_cmp_gt_i16_sdwa vcc, v7, v22 src0_sel:BYTE_0 src1_sel:DWORD
	s_mov_b64 s[74:75], 0
                                        ; implicit-def: $sgpr72_sgpr73
                                        ; implicit-def: $sgpr76_sgpr77
                                        ; implicit-def: $vgpr66
	s_and_saveexec_b64 s[78:79], vcc
	s_xor_b64 vcc, exec, s[78:79]
	s_cbranch_execz .LBB14_1780
; %bb.1777:                             ;   in Loop: Header=BB14_17 Depth=1
	v_cmp_eq_u16_sdwa s[78:79], v7, v23 src0_sel:BYTE_0 src1_sel:DWORD
	s_mov_b64 s[72:73], 0
                                        ; implicit-def: $vgpr66
	s_and_saveexec_b64 s[76:77], s[78:79]
	s_cbranch_execz .LBB14_1779
; %bb.1778:                             ;   in Loop: Header=BB14_17 Depth=1
	flat_load_dword v14, v[14:15]
	s_mov_b64 s[74:75], exec
	s_waitcnt vmcnt(0) lgkmcnt(0)
	v_lshlrev_b32_e32 v66, 16, v14
.LBB14_1779:                            ;   in Loop: Header=BB14_17 Depth=1
	s_or_b64 exec, exec, s[76:77]
	s_mov_b64 s[76:77], -1
	s_and_b64 s[74:75], s[74:75], exec
                                        ; implicit-def: $vgpr14_vgpr15
.LBB14_1780:                            ;   in Loop: Header=BB14_17 Depth=1
	s_andn2_saveexec_b64 s[78:79], vcc
	s_cbranch_execz .LBB14_1784
; %bb.1781:                             ;   in Loop: Header=BB14_17 Depth=1
	v_cmp_eq_u16_sdwa s[82:83], v7, v24 src0_sel:BYTE_0 src1_sel:DWORD
	s_mov_b64 vcc, s[74:75]
                                        ; implicit-def: $vgpr66
	s_and_saveexec_b64 s[80:81], s[82:83]
	s_cbranch_execz .LBB14_1783
; %bb.1782:                             ;   in Loop: Header=BB14_17 Depth=1
	flat_load_ubyte v14, v[14:15]
	s_movk_i32 vcc_lo, 0xff
	s_waitcnt vmcnt(0) lgkmcnt(0)
	v_lshlrev_b32_e32 v15, 23, v14
	v_cmp_ne_u32_e32 vcc, vcc_lo, v14
	v_cndmask_b32_e32 v15, v25, v15, vcc
	v_cmp_ne_u32_e32 vcc, 0, v14
	v_cndmask_b32_e32 v66, v26, v15, vcc
	s_or_b64 vcc, s[74:75], exec
.LBB14_1783:                            ;   in Loop: Header=BB14_17 Depth=1
	s_or_b64 exec, exec, s[80:81]
	s_andn2_b64 s[74:75], s[74:75], exec
	s_and_b64 vcc, vcc, exec
	s_andn2_b64 s[72:73], s[72:73], exec
	s_or_b64 s[76:77], s[76:77], exec
	s_or_b64 s[74:75], s[74:75], vcc
.LBB14_1784:                            ;   in Loop: Header=BB14_17 Depth=1
	s_or_b64 exec, exec, s[78:79]
	s_and_b64 s[72:73], s[72:73], exec
	s_and_b64 vcc, s[76:77], exec
	s_and_b64 s[76:77], s[74:75], exec
                                        ; implicit-def: $vgpr14_vgpr15
.LBB14_1785:                            ;   in Loop: Header=BB14_17 Depth=1
	s_andn2_saveexec_b64 s[70:71], s[70:71]
	s_cbranch_execz .LBB14_1789
; %bb.1786:                             ;   in Loop: Header=BB14_17 Depth=1
	v_cmp_eq_u16_sdwa s[80:81], v7, v27 src0_sel:BYTE_0 src1_sel:DWORD
	s_mov_b64 s[78:79], s[76:77]
                                        ; implicit-def: $vgpr66
	s_and_saveexec_b64 s[74:75], s[80:81]
	s_cbranch_execz .LBB14_1788
; %bb.1787:                             ;   in Loop: Header=BB14_17 Depth=1
	flat_load_dwordx2 v[14:15], v[14:15]
	s_or_b64 s[78:79], s[76:77], exec
	s_waitcnt vmcnt(0) lgkmcnt(0)
	v_ffbh_u32_e32 v65, v15
	v_min_u32_e32 v65, 32, v65
	v_lshlrev_b64 v[14:15], v65, v[14:15]
	v_min_u32_e32 v14, 1, v14
	v_or_b32_e32 v14, v15, v14
	v_cvt_f32_u32_e32 v14, v14
	v_sub_u32_e32 v15, 32, v65
	v_ldexp_f32 v66, v14, v15
.LBB14_1788:                            ;   in Loop: Header=BB14_17 Depth=1
	s_or_b64 exec, exec, s[74:75]
	s_andn2_b64 s[74:75], s[76:77], exec
	s_and_b64 s[76:77], s[78:79], exec
	s_andn2_b64 s[72:73], s[72:73], exec
	s_or_b64 vcc, vcc, exec
	s_or_b64 s[76:77], s[74:75], s[76:77]
.LBB14_1789:                            ;   in Loop: Header=BB14_17 Depth=1
	s_or_b64 exec, exec, s[70:71]
	s_and_b64 s[74:75], s[72:73], exec
	s_and_b64 s[72:73], vcc, exec
	s_and_b64 s[70:71], s[76:77], exec
                                        ; implicit-def: $vgpr14_vgpr15
.LBB14_1790:                            ;   in Loop: Header=BB14_17 Depth=1
	s_andn2_saveexec_b64 s[62:63], s[62:63]
	s_cbranch_execz .LBB14_1804
; %bb.1791:                             ;   in Loop: Header=BB14_17 Depth=1
	v_cmp_gt_i16_sdwa vcc, v7, v28 src0_sel:BYTE_0 src1_sel:DWORD
                                        ; implicit-def: $vgpr66
	s_and_saveexec_b64 s[76:77], vcc
	s_xor_b64 vcc, exec, s[76:77]
	s_cbranch_execz .LBB14_1797
; %bb.1792:                             ;   in Loop: Header=BB14_17 Depth=1
	v_cmp_gt_i16_sdwa s[76:77], v7, v29 src0_sel:BYTE_0 src1_sel:DWORD
                                        ; implicit-def: $vgpr66
	s_and_saveexec_b64 s[78:79], s[76:77]
	s_xor_b64 s[76:77], exec, s[78:79]
	s_cbranch_execz .LBB14_1794
; %bb.1793:                             ;   in Loop: Header=BB14_17 Depth=1
	flat_load_dword v14, v[14:15]
	s_waitcnt vmcnt(0) lgkmcnt(0)
	v_cvt_f32_u32_e32 v66, v14
                                        ; implicit-def: $vgpr14_vgpr15
.LBB14_1794:                            ;   in Loop: Header=BB14_17 Depth=1
	s_andn2_saveexec_b64 s[76:77], s[76:77]
	s_cbranch_execz .LBB14_1796
; %bb.1795:                             ;   in Loop: Header=BB14_17 Depth=1
	flat_load_ushort v14, v[14:15]
	s_waitcnt vmcnt(0) lgkmcnt(0)
	v_cvt_f32_u32_e32 v66, v14
.LBB14_1796:                            ;   in Loop: Header=BB14_17 Depth=1
	s_or_b64 exec, exec, s[76:77]
                                        ; implicit-def: $vgpr14_vgpr15
.LBB14_1797:                            ;   in Loop: Header=BB14_17 Depth=1
	s_andn2_saveexec_b64 s[76:77], vcc
	s_cbranch_execz .LBB14_1803
; %bb.1798:                             ;   in Loop: Header=BB14_17 Depth=1
	flat_load_ubyte v14, v[14:15]
	s_movk_i32 vcc_lo, 0x7f
	s_mov_b64 s[78:79], 0
                                        ; implicit-def: $sgpr84
	s_waitcnt vmcnt(0) lgkmcnt(0)
	v_cmp_lt_i16_e32 vcc, vcc_lo, v14
	s_and_saveexec_b64 s[80:81], vcc
	s_xor_b64 s[80:81], exec, s[80:81]
	s_cbranch_execnz .LBB14_2577
; %bb.1799:                             ;   in Loop: Header=BB14_17 Depth=1
	s_or_saveexec_b64 s[80:81], s[80:81]
	v_mov_b32_e32 v66, s84
	s_xor_b64 exec, exec, s[80:81]
	s_cbranch_execnz .LBB14_2580
.LBB14_1800:                            ;   in Loop: Header=BB14_17 Depth=1
	s_or_b64 exec, exec, s[80:81]
	s_and_saveexec_b64 s[80:81], s[78:79]
	s_cbranch_execz .LBB14_1802
.LBB14_1801:                            ;   in Loop: Header=BB14_17 Depth=1
	v_lshlrev_b32_e32 v15, 24, v14
	v_and_b32_e32 v14, 0xffff, v14
	v_and_b32_e32 v65, 7, v14
	v_ffbh_u32_e32 v67, v65
	v_min_u32_e32 v67, 32, v67
	v_subrev_u32_e32 v68, 28, v67
	v_bfe_u32 v66, v14, 3, 4
	v_lshlrev_b32_e32 v14, v68, v14
	v_sub_u32_e32 v67, 29, v67
	v_and_b32_e32 v14, 7, v14
	v_cmp_eq_u32_e32 vcc, 0, v66
	v_cndmask_b32_e32 v66, v66, v67, vcc
	v_cndmask_b32_e32 v14, v65, v14, vcc
	v_lshlrev_b32_e32 v14, 20, v14
	v_and_b32_e32 v15, 0x80000000, v15
	v_lshl_add_u32 v65, v66, 23, v30
	v_or3_b32 v66, v15, v65, v14
.LBB14_1802:                            ;   in Loop: Header=BB14_17 Depth=1
	s_or_b64 exec, exec, s[80:81]
.LBB14_1803:                            ;   in Loop: Header=BB14_17 Depth=1
	s_or_b64 exec, exec, s[76:77]
	s_andn2_b64 s[74:75], s[74:75], exec
	s_andn2_b64 s[72:73], s[72:73], exec
	s_or_b64 s[70:71], s[70:71], exec
.LBB14_1804:                            ;   in Loop: Header=BB14_17 Depth=1
	s_or_b64 exec, exec, s[62:63]
	s_and_b64 s[62:63], s[74:75], exec
	s_and_b64 s[72:73], s[72:73], exec
	;; [unrolled: 1-line block ×3, first 2 shown]
                                        ; implicit-def: $vgpr14_vgpr15
.LBB14_1805:                            ;   in Loop: Header=BB14_17 Depth=1
	s_andn2_saveexec_b64 s[60:61], s[60:61]
	s_cbranch_execz .LBB14_1831
; %bb.1806:                             ;   in Loop: Header=BB14_17 Depth=1
	v_cmp_gt_i16_sdwa vcc, v7, v31 src0_sel:BYTE_0 src1_sel:DWORD
	s_mov_b64 s[76:77], s[70:71]
                                        ; implicit-def: $vgpr66
	s_and_saveexec_b64 s[74:75], vcc
	s_xor_b64 s[74:75], exec, s[74:75]
	s_cbranch_execz .LBB14_1820
; %bb.1807:                             ;   in Loop: Header=BB14_17 Depth=1
	v_cmp_gt_i16_sdwa vcc, v7, v32 src0_sel:BYTE_0 src1_sel:DWORD
                                        ; implicit-def: $vgpr66
	s_and_saveexec_b64 s[76:77], vcc
	s_xor_b64 s[76:77], exec, s[76:77]
	s_cbranch_execz .LBB14_1817
; %bb.1808:                             ;   in Loop: Header=BB14_17 Depth=1
	v_cmp_gt_i16_sdwa vcc, v7, v33 src0_sel:BYTE_0 src1_sel:DWORD
                                        ; implicit-def: $vgpr66
	s_and_saveexec_b64 s[78:79], vcc
	s_xor_b64 s[78:79], exec, s[78:79]
	s_cbranch_execz .LBB14_1814
; %bb.1809:                             ;   in Loop: Header=BB14_17 Depth=1
	flat_load_ubyte v14, v[14:15]
	s_movk_i32 vcc_lo, 0x7f
	s_mov_b64 s[80:81], 0
                                        ; implicit-def: $sgpr86
	s_waitcnt vmcnt(0) lgkmcnt(0)
	v_cmp_lt_i16_e32 vcc, vcc_lo, v14
	s_and_saveexec_b64 s[82:83], vcc
	s_xor_b64 s[82:83], exec, s[82:83]
	s_cbranch_execnz .LBB14_2896
; %bb.1810:                             ;   in Loop: Header=BB14_17 Depth=1
	s_or_saveexec_b64 s[82:83], s[82:83]
	v_mov_b32_e32 v66, s86
	s_xor_b64 exec, exec, s[82:83]
	s_cbranch_execnz .LBB14_2899
.LBB14_1811:                            ;   in Loop: Header=BB14_17 Depth=1
	s_or_b64 exec, exec, s[82:83]
	s_and_saveexec_b64 s[82:83], s[80:81]
	s_cbranch_execz .LBB14_1813
.LBB14_1812:                            ;   in Loop: Header=BB14_17 Depth=1
	v_lshlrev_b32_e32 v15, 24, v14
	v_and_b32_e32 v14, 0xffff, v14
	v_and_b32_e32 v65, 3, v14
	v_ffbh_u32_e32 v67, v65
	v_min_u32_e32 v67, 32, v67
	v_subrev_u32_e32 v68, 29, v67
	v_bfe_u32 v66, v14, 2, 5
	v_lshlrev_b32_e32 v14, v68, v14
	v_sub_u32_e32 v67, 30, v67
	v_and_b32_e32 v14, 3, v14
	v_cmp_eq_u32_e32 vcc, 0, v66
	v_cndmask_b32_e32 v66, v66, v67, vcc
	v_cndmask_b32_e32 v14, v65, v14, vcc
	v_lshlrev_b32_e32 v14, 21, v14
	v_and_b32_e32 v15, 0x80000000, v15
	v_lshl_add_u32 v65, v66, 23, v34
	v_or3_b32 v66, v15, v65, v14
.LBB14_1813:                            ;   in Loop: Header=BB14_17 Depth=1
	s_or_b64 exec, exec, s[82:83]
                                        ; implicit-def: $vgpr14_vgpr15
.LBB14_1814:                            ;   in Loop: Header=BB14_17 Depth=1
	s_andn2_saveexec_b64 s[78:79], s[78:79]
	s_cbranch_execz .LBB14_1816
; %bb.1815:                             ;   in Loop: Header=BB14_17 Depth=1
	flat_load_ubyte v14, v[14:15]
	s_mov_b32 vcc_lo, 0x7f800000
	s_waitcnt vmcnt(0) lgkmcnt(0)
	v_lshlrev_b32_e32 v14, 24, v14
	v_and_b32_e32 v15, 0x7f000000, v14
	v_ffbh_u32_e32 v65, v15
	v_min_u32_e32 v65, 32, v65
	v_sub_u32_e64 v65, v65, 4 clamp
	v_lshlrev_b32_e32 v67, v65, v15
	v_lshlrev_b32_e32 v65, 23, v65
	v_lshrrev_b32_e32 v67, 4, v67
	v_add_u32_e32 v66, 0x1000000, v15
	v_sub_u32_e32 v65, v67, v65
	v_ashrrev_i32_e32 v66, 8, v66
	v_add_u32_e32 v65, 0x3c000000, v65
	v_and_or_b32 v65, v66, vcc_lo, v65
	v_cmp_ne_u32_e32 vcc, 0, v15
	v_cndmask_b32_e32 v15, 0, v65, vcc
	s_brev_b32 vcc_lo, 1
	v_and_or_b32 v66, v14, vcc_lo, v15
.LBB14_1816:                            ;   in Loop: Header=BB14_17 Depth=1
	s_or_b64 exec, exec, s[78:79]
                                        ; implicit-def: $vgpr14_vgpr15
.LBB14_1817:                            ;   in Loop: Header=BB14_17 Depth=1
	s_andn2_saveexec_b64 s[76:77], s[76:77]
	s_cbranch_execz .LBB14_1819
; %bb.1818:                             ;   in Loop: Header=BB14_17 Depth=1
	flat_load_ubyte v14, v[14:15]
	s_movk_i32 vcc_lo, 0x7f00
	s_waitcnt vmcnt(0) lgkmcnt(0)
	v_lshlrev_b16_e32 v15, 8, v14
	v_lshlrev_b32_e32 v14, 25, v14
	v_lshrrev_b32_e32 v65, 4, v14
	v_and_or_b32 v66, v15, vcc_lo, 0.5
	v_or_b32_e32 v65, 0x70000000, v65
	s_brev_b32 vcc_lo, 16
	v_add_f32_e32 v66, -0.5, v66
	v_mul_f32_e32 v65, 0x7800000, v65
	v_cmp_gt_u32_e32 vcc, vcc_lo, v14
	v_cndmask_b32_e32 v14, v65, v66, vcc
	v_bfe_i32 v15, v15, 0, 16
	s_brev_b32 vcc_lo, 1
	v_and_or_b32 v66, v15, vcc_lo, v14
.LBB14_1819:                            ;   in Loop: Header=BB14_17 Depth=1
	s_or_b64 exec, exec, s[76:77]
	s_or_b64 s[76:77], s[70:71], exec
                                        ; implicit-def: $vgpr14_vgpr15
.LBB14_1820:                            ;   in Loop: Header=BB14_17 Depth=1
	s_or_saveexec_b64 s[74:75], s[74:75]
                                        ; implicit-def: $vcc
                                        ; implicit-def: $sgpr82_sgpr83
	s_xor_b64 exec, exec, s[74:75]
	s_cbranch_execz .LBB14_1830
; %bb.1821:                             ;   in Loop: Header=BB14_17 Depth=1
	v_cmp_gt_i16_sdwa vcc, v7, v35 src0_sel:BYTE_0 src1_sel:DWORD
	s_mov_b64 s[80:81], s[76:77]
                                        ; implicit-def: $sgpr82_sgpr83
                                        ; implicit-def: $sgpr78_sgpr79
                                        ; implicit-def: $vgpr66
	s_and_saveexec_b64 s[84:85], vcc
	s_xor_b64 vcc, exec, s[84:85]
	s_cbranch_execz .LBB14_1825
; %bb.1822:                             ;   in Loop: Header=BB14_17 Depth=1
	v_cmp_eq_u16_sdwa s[82:83], v7, v36 src0_sel:BYTE_0 src1_sel:DWORD
	s_mov_b64 s[80:81], s[76:77]
                                        ; implicit-def: $vgpr66
	s_and_saveexec_b64 s[78:79], s[82:83]
	s_cbranch_execz .LBB14_1824
; %bb.1823:                             ;   in Loop: Header=BB14_17 Depth=1
	flat_load_ushort v14, v[14:15]
	s_or_b64 s[80:81], s[76:77], exec
	s_waitcnt vmcnt(0) lgkmcnt(0)
	v_lshlrev_b32_e32 v66, 16, v14
.LBB14_1824:                            ;   in Loop: Header=BB14_17 Depth=1
	s_or_b64 exec, exec, s[78:79]
	s_andn2_b64 s[84:85], s[76:77], exec
	s_and_b64 s[80:81], s[80:81], exec
	s_mov_b64 s[78:79], -1
	s_mov_b64 s[82:83], 0
	s_or_b64 s[80:81], s[84:85], s[80:81]
                                        ; implicit-def: $vgpr14_vgpr15
.LBB14_1825:                            ;   in Loop: Header=BB14_17 Depth=1
	s_andn2_saveexec_b64 s[84:85], vcc
	s_cbranch_execz .LBB14_1829
; %bb.1826:                             ;   in Loop: Header=BB14_17 Depth=1
	v_cmp_eq_u16_sdwa s[88:89], v7, v37 src0_sel:BYTE_0 src1_sel:DWORD
	s_mov_b64 vcc, s[80:81]
                                        ; implicit-def: $vgpr66
	s_and_saveexec_b64 s[86:87], s[88:89]
	s_cbranch_execz .LBB14_1828
; %bb.1827:                             ;   in Loop: Header=BB14_17 Depth=1
	flat_load_ubyte v14, v[14:15]
	s_waitcnt vmcnt(0) lgkmcnt(0)
	v_cmp_ne_u16_e32 vcc, 0, v14
	v_cndmask_b32_e64 v66, 0, 1.0, vcc
	s_or_b64 vcc, s[80:81], exec
.LBB14_1828:                            ;   in Loop: Header=BB14_17 Depth=1
	s_or_b64 exec, exec, s[86:87]
	s_andn2_b64 s[80:81], s[80:81], exec
	s_and_b64 vcc, vcc, exec
	s_andn2_b64 s[82:83], s[82:83], exec
	s_or_b64 s[78:79], s[78:79], exec
	s_or_b64 s[80:81], s[80:81], vcc
.LBB14_1829:                            ;   in Loop: Header=BB14_17 Depth=1
	s_or_b64 exec, exec, s[84:85]
	s_and_b64 vcc, s[78:79], exec
	s_andn2_b64 s[76:77], s[76:77], exec
	s_and_b64 s[78:79], s[80:81], exec
	s_and_b64 s[82:83], s[82:83], exec
	s_or_b64 s[76:77], s[76:77], s[78:79]
.LBB14_1830:                            ;   in Loop: Header=BB14_17 Depth=1
	s_or_b64 exec, exec, s[74:75]
	s_andn2_b64 s[72:73], s[72:73], exec
	s_and_b64 vcc, vcc, exec
	s_andn2_b64 s[62:63], s[62:63], exec
	s_and_b64 s[74:75], s[82:83], exec
	s_or_b64 s[72:73], s[72:73], vcc
	s_andn2_b64 vcc, s[70:71], exec
	s_and_b64 s[70:71], s[76:77], exec
	s_or_b64 s[62:63], s[62:63], s[74:75]
	s_or_b64 s[70:71], vcc, s[70:71]
.LBB14_1831:                            ;   in Loop: Header=BB14_17 Depth=1
	s_or_b64 exec, exec, s[60:61]
	s_and_b64 s[62:63], s[62:63], exec
	s_and_b64 s[60:61], s[72:73], exec
	s_and_b64 vcc, s[70:71], exec
                                        ; implicit-def: $vgpr14_vgpr15
	s_andn2_saveexec_b64 s[68:69], s[68:69]
	s_cbranch_execz .LBB14_1656
.LBB14_1832:                            ;   in Loop: Header=BB14_17 Depth=1
	v_cmp_gt_i16_sdwa s[70:71], v7, v38 src0_sel:BYTE_0 src1_sel:DWORD
                                        ; implicit-def: $vgpr66
	s_and_saveexec_b64 s[72:73], s[70:71]
	s_xor_b64 s[70:71], exec, s[72:73]
	s_cbranch_execz .LBB14_1854
; %bb.1833:                             ;   in Loop: Header=BB14_17 Depth=1
	v_cmp_gt_i16_sdwa s[72:73], v7, v39 src0_sel:BYTE_0 src1_sel:DWORD
                                        ; implicit-def: $vgpr66
	s_and_saveexec_b64 s[74:75], s[72:73]
	s_xor_b64 s[72:73], exec, s[74:75]
	s_cbranch_execz .LBB14_1843
; %bb.1834:                             ;   in Loop: Header=BB14_17 Depth=1
	;; [unrolled: 6-line block ×4, first 2 shown]
	flat_load_dwordx2 v[14:15], v[14:15]
	s_waitcnt vmcnt(0) lgkmcnt(0)
	v_cvt_f32_f64_e32 v66, v[14:15]
                                        ; implicit-def: $vgpr14_vgpr15
.LBB14_1837:                            ;   in Loop: Header=BB14_17 Depth=1
	s_andn2_saveexec_b64 s[76:77], s[76:77]
	s_cbranch_execz .LBB14_1839
; %bb.1838:                             ;   in Loop: Header=BB14_17 Depth=1
	flat_load_dword v66, v[14:15]
.LBB14_1839:                            ;   in Loop: Header=BB14_17 Depth=1
	s_or_b64 exec, exec, s[76:77]
                                        ; implicit-def: $vgpr14_vgpr15
.LBB14_1840:                            ;   in Loop: Header=BB14_17 Depth=1
	s_andn2_saveexec_b64 s[74:75], s[74:75]
	s_cbranch_execz .LBB14_1842
; %bb.1841:                             ;   in Loop: Header=BB14_17 Depth=1
	flat_load_dword v14, v[14:15]
	s_waitcnt vmcnt(0) lgkmcnt(0)
	v_cvt_f32_f16_e32 v66, v14
.LBB14_1842:                            ;   in Loop: Header=BB14_17 Depth=1
	s_or_b64 exec, exec, s[74:75]
                                        ; implicit-def: $vgpr14_vgpr15
.LBB14_1843:                            ;   in Loop: Header=BB14_17 Depth=1
	s_andn2_saveexec_b64 s[72:73], s[72:73]
	s_cbranch_execz .LBB14_1853
; %bb.1844:                             ;   in Loop: Header=BB14_17 Depth=1
	v_cmp_gt_i16_sdwa s[74:75], v7, v50 src0_sel:BYTE_0 src1_sel:DWORD
                                        ; implicit-def: $vgpr66
	s_and_saveexec_b64 s[76:77], s[74:75]
	s_xor_b64 s[74:75], exec, s[76:77]
	s_cbranch_execz .LBB14_1850
; %bb.1845:                             ;   in Loop: Header=BB14_17 Depth=1
	v_cmp_gt_i16_sdwa s[76:77], v7, v51 src0_sel:BYTE_0 src1_sel:DWORD
                                        ; implicit-def: $vgpr66
	s_and_saveexec_b64 s[78:79], s[76:77]
	s_xor_b64 s[76:77], exec, s[78:79]
	s_cbranch_execz .LBB14_1847
; %bb.1846:                             ;   in Loop: Header=BB14_17 Depth=1
	flat_load_dwordx2 v[14:15], v[14:15]
	s_waitcnt vmcnt(0) lgkmcnt(0)
	v_cvt_f32_f64_e32 v66, v[14:15]
                                        ; implicit-def: $vgpr14_vgpr15
.LBB14_1847:                            ;   in Loop: Header=BB14_17 Depth=1
	s_andn2_saveexec_b64 s[76:77], s[76:77]
	s_cbranch_execz .LBB14_1849
; %bb.1848:                             ;   in Loop: Header=BB14_17 Depth=1
	s_waitcnt vmcnt(0) lgkmcnt(0)
	flat_load_dword v66, v[14:15]
.LBB14_1849:                            ;   in Loop: Header=BB14_17 Depth=1
	s_or_b64 exec, exec, s[76:77]
                                        ; implicit-def: $vgpr14_vgpr15
.LBB14_1850:                            ;   in Loop: Header=BB14_17 Depth=1
	s_andn2_saveexec_b64 s[74:75], s[74:75]
	s_cbranch_execz .LBB14_1852
; %bb.1851:                             ;   in Loop: Header=BB14_17 Depth=1
	flat_load_ushort v14, v[14:15]
	s_waitcnt vmcnt(0) lgkmcnt(0)
	v_cvt_f32_f16_e32 v66, v14
.LBB14_1852:                            ;   in Loop: Header=BB14_17 Depth=1
	s_or_b64 exec, exec, s[74:75]
.LBB14_1853:                            ;   in Loop: Header=BB14_17 Depth=1
	s_or_b64 exec, exec, s[72:73]
                                        ; implicit-def: $vgpr14_vgpr15
.LBB14_1854:                            ;   in Loop: Header=BB14_17 Depth=1
	s_andn2_saveexec_b64 s[70:71], s[70:71]
	s_cbranch_execz .LBB14_1872
; %bb.1855:                             ;   in Loop: Header=BB14_17 Depth=1
	v_cmp_gt_i16_sdwa s[72:73], v7, v52 src0_sel:BYTE_0 src1_sel:DWORD
                                        ; implicit-def: $vgpr66
	s_and_saveexec_b64 s[74:75], s[72:73]
	s_xor_b64 s[72:73], exec, s[74:75]
	s_cbranch_execz .LBB14_1865
; %bb.1856:                             ;   in Loop: Header=BB14_17 Depth=1
	v_cmp_gt_i16_sdwa s[74:75], v7, v53 src0_sel:BYTE_0 src1_sel:DWORD
                                        ; implicit-def: $vgpr66
	s_and_saveexec_b64 s[76:77], s[74:75]
	s_xor_b64 s[74:75], exec, s[76:77]
	;; [unrolled: 6-line block ×3, first 2 shown]
	s_cbranch_execz .LBB14_1859
; %bb.1858:                             ;   in Loop: Header=BB14_17 Depth=1
	flat_load_dwordx2 v[14:15], v[14:15]
	s_waitcnt vmcnt(0) lgkmcnt(0)
	v_xor_b32_e32 v66, v14, v15
	v_ffbh_i32_e32 v65, v15
	v_ashrrev_i32_e32 v66, 31, v66
	v_add_u32_e32 v65, -1, v65
	v_add_u32_e32 v66, 32, v66
	v_min_u32_e32 v65, v65, v66
	v_lshlrev_b64 v[14:15], v65, v[14:15]
	v_min_u32_e32 v14, 1, v14
	v_or_b32_e32 v14, v15, v14
	v_cvt_f32_i32_e32 v14, v14
	v_sub_u32_e32 v15, 32, v65
	v_ldexp_f32 v66, v14, v15
                                        ; implicit-def: $vgpr14_vgpr15
.LBB14_1859:                            ;   in Loop: Header=BB14_17 Depth=1
	s_andn2_saveexec_b64 s[76:77], s[76:77]
	s_cbranch_execz .LBB14_1861
; %bb.1860:                             ;   in Loop: Header=BB14_17 Depth=1
	flat_load_dword v14, v[14:15]
	s_waitcnt vmcnt(0) lgkmcnt(0)
	v_cvt_f32_i32_e32 v66, v14
.LBB14_1861:                            ;   in Loop: Header=BB14_17 Depth=1
	s_or_b64 exec, exec, s[76:77]
                                        ; implicit-def: $vgpr14_vgpr15
.LBB14_1862:                            ;   in Loop: Header=BB14_17 Depth=1
	s_andn2_saveexec_b64 s[74:75], s[74:75]
	s_cbranch_execz .LBB14_1864
; %bb.1863:                             ;   in Loop: Header=BB14_17 Depth=1
	flat_load_sshort v14, v[14:15]
	s_waitcnt vmcnt(0) lgkmcnt(0)
	v_cvt_f32_i32_e32 v66, v14
.LBB14_1864:                            ;   in Loop: Header=BB14_17 Depth=1
	s_or_b64 exec, exec, s[74:75]
                                        ; implicit-def: $vgpr14_vgpr15
.LBB14_1865:                            ;   in Loop: Header=BB14_17 Depth=1
	s_andn2_saveexec_b64 s[72:73], s[72:73]
	s_cbranch_execz .LBB14_1871
; %bb.1866:                             ;   in Loop: Header=BB14_17 Depth=1
	v_cmp_gt_i16_sdwa s[74:75], v7, v16 src0_sel:BYTE_0 src1_sel:DWORD
                                        ; implicit-def: $vgpr66
	s_and_saveexec_b64 s[76:77], s[74:75]
	s_xor_b64 s[74:75], exec, s[76:77]
	s_cbranch_execz .LBB14_1868
; %bb.1867:                             ;   in Loop: Header=BB14_17 Depth=1
	flat_load_sbyte v14, v[14:15]
	s_waitcnt vmcnt(0) lgkmcnt(0)
	v_cvt_f32_i32_e32 v66, v14
                                        ; implicit-def: $vgpr14_vgpr15
.LBB14_1868:                            ;   in Loop: Header=BB14_17 Depth=1
	s_andn2_saveexec_b64 s[74:75], s[74:75]
	s_cbranch_execz .LBB14_1870
; %bb.1869:                             ;   in Loop: Header=BB14_17 Depth=1
	flat_load_ubyte v14, v[14:15]
	s_waitcnt vmcnt(0) lgkmcnt(0)
	v_cvt_f32_ubyte0_e32 v66, v14
.LBB14_1870:                            ;   in Loop: Header=BB14_17 Depth=1
	s_or_b64 exec, exec, s[74:75]
.LBB14_1871:                            ;   in Loop: Header=BB14_17 Depth=1
	s_or_b64 exec, exec, s[72:73]
.LBB14_1872:                            ;   in Loop: Header=BB14_17 Depth=1
	s_or_b64 exec, exec, s[70:71]
	s_andn2_b64 s[62:63], s[62:63], exec
	s_andn2_b64 s[60:61], s[60:61], exec
	s_or_b64 vcc, vcc, exec
	s_or_b64 exec, exec, s[68:69]
	s_mov_b64 s[70:71], 0
	s_and_saveexec_b64 s[68:69], vcc
	s_cbranch_execz .LBB14_1878
.LBB14_1873:                            ;   in Loop: Header=BB14_17 Depth=1
	v_mul_lo_u32 v14, v64, v10
	v_readlane_b32 s70, v44, 0
	v_add_co_u32_e32 v14, vcc, v4, v14
	v_add_u32_e32 v65, s70, v17
	v_addc_co_u32_e32 v15, vcc, 0, v5, vcc
	v_cmp_gt_i16_sdwa s[70:71], v8, v18 src0_sel:BYTE_0 src1_sel:DWORD
	s_mov_b64 s[74:75], 0
	s_waitcnt vmcnt(0) lgkmcnt(0)
	buffer_store_dword v66, v65, s[0:3], 0 offen offset:68
                                        ; implicit-def: $vcc
                                        ; implicit-def: $sgpr72_sgpr73
                                        ; implicit-def: $vgpr64
	s_and_saveexec_b64 s[76:77], s[70:71]
	s_xor_b64 s[70:71], exec, s[76:77]
	s_cbranch_execnz .LBB14_1900
; %bb.1874:                             ;   in Loop: Header=BB14_17 Depth=1
	s_andn2_saveexec_b64 s[70:71], s[70:71]
	s_cbranch_execnz .LBB14_1959
.LBB14_1875:                            ;   in Loop: Header=BB14_17 Depth=1
	s_or_b64 exec, exec, s[70:71]
	s_mov_b64 s[70:71], 0
	s_and_saveexec_b64 s[76:77], s[74:75]
	s_cbranch_execz .LBB14_1877
.LBB14_1876:                            ;   in Loop: Header=BB14_17 Depth=1
	s_mov_b64 s[70:71], exec
	v_add_u32_e32 v55, 0x200, v55
	s_andn2_b64 s[72:73], s[72:73], exec
	s_andn2_b64 vcc, vcc, exec
	s_waitcnt vmcnt(0) lgkmcnt(0)
	buffer_store_dword v64, v65, s[0:3], 0 offen offset:64
.LBB14_1877:                            ;   in Loop: Header=BB14_17 Depth=1
	s_or_b64 exec, exec, s[76:77]
	s_andn2_b64 s[62:63], s[62:63], exec
	s_and_b64 s[72:73], s[72:73], exec
	s_andn2_b64 s[60:61], s[60:61], exec
	s_and_b64 vcc, vcc, exec
	s_or_b64 s[62:63], s[62:63], s[72:73]
	s_or_b64 s[60:61], s[60:61], vcc
	s_and_b64 s[70:71], s[70:71], exec
.LBB14_1878:                            ;   in Loop: Header=BB14_17 Depth=1
	s_or_b64 exec, exec, s[68:69]
	s_and_b64 vcc, s[62:63], exec
	v_writelane_b32 v44, vcc_lo, 2
	v_writelane_b32 v44, vcc_hi, 3
	s_and_b64 s[60:61], s[60:61], exec
	s_orn2_b64 s[68:69], s[70:71], exec
.LBB14_1879:                            ;   in Loop: Header=BB14_17 Depth=1
	s_or_b64 exec, exec, s[64:65]
	s_and_saveexec_b64 s[64:65], s[68:69]
	s_cbranch_execz .LBB14_8
; %bb.1880:                             ;   in Loop: Header=BB14_17 Depth=1
	v_writelane_b32 v44, s60, 4
	v_cmp_lt_i32_e32 vcc, v55, v6
	s_mov_b64 s[72:73], -1
	v_writelane_b32 v44, s61, 5
                                        ; implicit-def: $sgpr62_sgpr63
                                        ; implicit-def: $sgpr60_sgpr61
                                        ; kill: killed $sgpr60_sgpr61
	s_and_saveexec_b64 s[70:71], vcc
	s_cbranch_execz .LBB14_2106
; %bb.1881:                             ;   in Loop: Header=BB14_17 Depth=1
	v_readlane_b32 vcc_lo, v44, 1
	s_waitcnt vmcnt(0) lgkmcnt(0)
	v_add_u32_e32 v64, vcc_lo, v55
	v_mul_lo_u32 v14, v64, v9
	v_add_co_u32_e32 v14, vcc, v2, v14
	v_addc_co_u32_e32 v15, vcc, 0, v3, vcc
	v_cmp_gt_i16_sdwa s[60:61], v7, v18 src0_sel:BYTE_0 src1_sel:DWORD
	s_mov_b64 vcc, 0
                                        ; implicit-def: $sgpr66_sgpr67
                                        ; implicit-def: $sgpr68_sgpr69
                                        ; implicit-def: $vgpr66
	s_and_saveexec_b64 s[74:75], s[60:61]
	s_xor_b64 s[74:75], exec, s[74:75]
	s_cbranch_execnz .LBB14_2000
; %bb.1882:                             ;   in Loop: Header=BB14_17 Depth=1
	s_andn2_saveexec_b64 s[74:75], s[74:75]
	s_cbranch_execnz .LBB14_2059
.LBB14_1883:                            ;   in Loop: Header=BB14_17 Depth=1
	s_or_b64 exec, exec, s[74:75]
	s_mov_b64 s[76:77], 0
	s_and_saveexec_b64 s[74:75], vcc
	s_cbranch_execnz .LBB14_2100
	s_branch .LBB14_2105
.LBB14_1884:                            ;   in Loop: Header=BB14_17 Depth=1
	s_movk_i32 vcc_lo, 0x80
	v_cmp_eq_u16_e32 vcc, vcc_lo, v14
	s_mov_b64 s[56:57], -1
                                        ; implicit-def: $sgpr62
	s_and_saveexec_b64 s[60:61], vcc
; %bb.1885:                             ;   in Loop: Header=BB14_17 Depth=1
	s_mov_b32 s62, 0x7f800001
	s_xor_b64 s[56:57], exec, -1
; %bb.1886:                             ;   in Loop: Header=BB14_17 Depth=1
	s_or_b64 exec, exec, s[60:61]
	s_and_b64 s[56:57], s[56:57], exec
	s_or_saveexec_b64 s[58:59], s[58:59]
	v_mov_b32_e32 v64, s62
	s_xor_b64 exec, exec, s[58:59]
	s_cbranch_execz .LBB14_807
.LBB14_1887:                            ;   in Loop: Header=BB14_17 Depth=1
	v_cmp_ne_u16_e32 vcc, 0, v14
	s_andn2_b64 s[56:57], s[56:57], exec
	s_and_b64 vcc, vcc, exec
	v_mov_b32_e32 v64, 0
	s_or_b64 s[56:57], s[56:57], vcc
	s_or_b64 exec, exec, s[58:59]
	s_and_saveexec_b64 s[58:59], s[56:57]
	s_cbranch_execnz .LBB14_808
	s_branch .LBB14_809
.LBB14_1888:                            ;   in Loop: Header=BB14_17 Depth=1
	s_movk_i32 vcc_lo, 0x80
	v_cmp_eq_u16_e32 vcc, vcc_lo, v14
	s_mov_b64 s[56:57], -1
                                        ; implicit-def: $sgpr62
	s_and_saveexec_b64 s[60:61], vcc
; %bb.1889:                             ;   in Loop: Header=BB14_17 Depth=1
	s_mov_b32 s62, 0x7f800001
	s_xor_b64 s[56:57], exec, -1
; %bb.1890:                             ;   in Loop: Header=BB14_17 Depth=1
	s_or_b64 exec, exec, s[60:61]
	s_and_b64 s[56:57], s[56:57], exec
	s_or_saveexec_b64 s[58:59], s[58:59]
	v_mov_b32_e32 v66, s62
	s_xor_b64 exec, exec, s[58:59]
	s_cbranch_execz .LBB14_907
.LBB14_1891:                            ;   in Loop: Header=BB14_17 Depth=1
	v_cmp_ne_u16_e32 vcc, 0, v14
	s_andn2_b64 s[56:57], s[56:57], exec
	s_and_b64 vcc, vcc, exec
	v_mov_b32_e32 v66, 0
	s_or_b64 s[56:57], s[56:57], vcc
	s_or_b64 exec, exec, s[58:59]
	s_and_saveexec_b64 s[58:59], s[56:57]
	s_cbranch_execnz .LBB14_908
	s_branch .LBB14_909
.LBB14_1892:                            ;   in Loop: Header=BB14_17 Depth=1
	s_movk_i32 vcc_lo, 0x80
	v_cmp_eq_u16_e32 vcc, vcc_lo, v14
	s_mov_b64 s[60:61], -1
                                        ; implicit-def: $sgpr66
	s_and_saveexec_b64 s[64:65], vcc
; %bb.1893:                             ;   in Loop: Header=BB14_17 Depth=1
	s_mov_b32 s66, 0x7f800001
	s_xor_b64 s[60:61], exec, -1
; %bb.1894:                             ;   in Loop: Header=BB14_17 Depth=1
	s_or_b64 exec, exec, s[64:65]
	s_and_b64 s[60:61], s[60:61], exec
	s_or_saveexec_b64 s[62:63], s[62:63]
	v_mov_b32_e32 v64, s66
	s_xor_b64 exec, exec, s[62:63]
	s_cbranch_execz .LBB14_1019
.LBB14_1895:                            ;   in Loop: Header=BB14_17 Depth=1
	v_cmp_ne_u16_e32 vcc, 0, v14
	s_andn2_b64 s[60:61], s[60:61], exec
	s_and_b64 vcc, vcc, exec
	v_mov_b32_e32 v64, 0
	s_or_b64 s[60:61], s[60:61], vcc
	s_or_b64 exec, exec, s[62:63]
	s_and_saveexec_b64 s[62:63], s[60:61]
	s_cbranch_execnz .LBB14_1020
	s_branch .LBB14_1021
.LBB14_1896:                            ;   in Loop: Header=BB14_17 Depth=1
	s_movk_i32 vcc_lo, 0x80
	v_cmp_eq_u16_e32 vcc, vcc_lo, v14
	s_mov_b64 s[60:61], -1
                                        ; implicit-def: $sgpr66
	s_and_saveexec_b64 s[64:65], vcc
; %bb.1897:                             ;   in Loop: Header=BB14_17 Depth=1
	s_mov_b32 s66, 0x7f800001
	s_xor_b64 s[60:61], exec, -1
; %bb.1898:                             ;   in Loop: Header=BB14_17 Depth=1
	s_or_b64 exec, exec, s[64:65]
	s_and_b64 s[60:61], s[60:61], exec
	s_or_saveexec_b64 s[62:63], s[62:63]
	v_mov_b32_e32 v66, s66
	s_xor_b64 exec, exec, s[62:63]
	s_cbranch_execz .LBB14_1119
.LBB14_1899:                            ;   in Loop: Header=BB14_17 Depth=1
	v_cmp_ne_u16_e32 vcc, 0, v14
	s_andn2_b64 s[60:61], s[60:61], exec
	s_and_b64 vcc, vcc, exec
	v_mov_b32_e32 v66, 0
	s_or_b64 s[60:61], s[60:61], vcc
	s_or_b64 exec, exec, s[62:63]
	s_and_saveexec_b64 s[62:63], s[60:61]
	s_cbranch_execnz .LBB14_1120
	s_branch .LBB14_1121
.LBB14_1900:                            ;   in Loop: Header=BB14_17 Depth=1
	v_cmp_gt_i16_sdwa vcc, v8, v19 src0_sel:BYTE_0 src1_sel:DWORD
                                        ; implicit-def: $sgpr76_sgpr77
                                        ; implicit-def: $sgpr78_sgpr79
                                        ; implicit-def: $vgpr64
	s_and_saveexec_b64 s[72:73], vcc
	s_xor_b64 s[72:73], exec, s[72:73]
	s_cbranch_execz .LBB14_1932
; %bb.1901:                             ;   in Loop: Header=BB14_17 Depth=1
	v_cmp_gt_i16_sdwa vcc, v8, v20 src0_sel:BYTE_0 src1_sel:DWORD
                                        ; implicit-def: $sgpr76_sgpr77
                                        ; implicit-def: $sgpr80_sgpr81
                                        ; implicit-def: $vgpr64
	s_and_saveexec_b64 s[78:79], vcc
	s_xor_b64 s[78:79], exec, s[78:79]
	s_cbranch_execz .LBB14_1917
; %bb.1902:                             ;   in Loop: Header=BB14_17 Depth=1
	v_cmp_gt_i16_sdwa s[74:75], v8, v21 src0_sel:BYTE_0 src1_sel:DWORD
	s_mov_b64 s[82:83], 0
                                        ; implicit-def: $vcc
                                        ; implicit-def: $sgpr80_sgpr81
                                        ; implicit-def: $vgpr64
	s_and_saveexec_b64 s[76:77], s[74:75]
	s_xor_b64 s[74:75], exec, s[76:77]
	s_cbranch_execz .LBB14_1912
; %bb.1903:                             ;   in Loop: Header=BB14_17 Depth=1
	v_cmp_gt_i16_sdwa vcc, v8, v22 src0_sel:BYTE_0 src1_sel:DWORD
                                        ; implicit-def: $sgpr80_sgpr81
                                        ; implicit-def: $sgpr76_sgpr77
                                        ; implicit-def: $vgpr64
	s_and_saveexec_b64 s[84:85], vcc
	s_xor_b64 vcc, exec, s[84:85]
	s_cbranch_execz .LBB14_1907
; %bb.1904:                             ;   in Loop: Header=BB14_17 Depth=1
	v_cmp_eq_u16_sdwa s[84:85], v8, v23 src0_sel:BYTE_0 src1_sel:DWORD
	s_mov_b64 s[76:77], 0
                                        ; implicit-def: $vgpr64
	s_and_saveexec_b64 s[80:81], s[84:85]
	s_cbranch_execz .LBB14_1906
; %bb.1905:                             ;   in Loop: Header=BB14_17 Depth=1
	flat_load_dword v14, v[14:15]
	s_mov_b64 s[82:83], exec
	s_waitcnt vmcnt(0) lgkmcnt(0)
	v_lshlrev_b32_e32 v64, 16, v14
.LBB14_1906:                            ;   in Loop: Header=BB14_17 Depth=1
	s_or_b64 exec, exec, s[80:81]
	s_mov_b64 s[80:81], -1
	s_and_b64 s[82:83], s[82:83], exec
                                        ; implicit-def: $vgpr14_vgpr15
.LBB14_1907:                            ;   in Loop: Header=BB14_17 Depth=1
	s_andn2_saveexec_b64 s[84:85], vcc
	s_cbranch_execz .LBB14_1911
; %bb.1908:                             ;   in Loop: Header=BB14_17 Depth=1
	v_cmp_eq_u16_sdwa s[88:89], v8, v24 src0_sel:BYTE_0 src1_sel:DWORD
	s_mov_b64 vcc, s[82:83]
                                        ; implicit-def: $vgpr64
	s_and_saveexec_b64 s[86:87], s[88:89]
	s_cbranch_execz .LBB14_1910
; %bb.1909:                             ;   in Loop: Header=BB14_17 Depth=1
	flat_load_ubyte v14, v[14:15]
	s_movk_i32 vcc_lo, 0xff
	s_waitcnt vmcnt(0) lgkmcnt(0)
	v_lshlrev_b32_e32 v15, 23, v14
	v_cmp_ne_u32_e32 vcc, vcc_lo, v14
	v_cndmask_b32_e32 v15, v25, v15, vcc
	v_cmp_ne_u32_e32 vcc, 0, v14
	v_cndmask_b32_e32 v64, v26, v15, vcc
	s_or_b64 vcc, s[82:83], exec
.LBB14_1910:                            ;   in Loop: Header=BB14_17 Depth=1
	s_or_b64 exec, exec, s[86:87]
	s_andn2_b64 s[82:83], s[82:83], exec
	s_and_b64 vcc, vcc, exec
	s_or_b64 s[80:81], s[80:81], exec
	s_andn2_b64 s[76:77], s[76:77], exec
	s_or_b64 s[82:83], s[82:83], vcc
.LBB14_1911:                            ;   in Loop: Header=BB14_17 Depth=1
	s_or_b64 exec, exec, s[84:85]
	s_and_b64 s[80:81], s[80:81], exec
	s_and_b64 vcc, s[76:77], exec
	s_and_b64 s[82:83], s[82:83], exec
                                        ; implicit-def: $vgpr14_vgpr15
.LBB14_1912:                            ;   in Loop: Header=BB14_17 Depth=1
	s_andn2_saveexec_b64 s[74:75], s[74:75]
	s_cbranch_execz .LBB14_1916
; %bb.1913:                             ;   in Loop: Header=BB14_17 Depth=1
	v_cmp_eq_u16_sdwa s[86:87], v8, v27 src0_sel:BYTE_0 src1_sel:DWORD
	s_mov_b64 s[84:85], s[82:83]
                                        ; implicit-def: $vgpr64
	s_and_saveexec_b64 s[76:77], s[86:87]
	s_cbranch_execz .LBB14_1915
; %bb.1914:                             ;   in Loop: Header=BB14_17 Depth=1
	flat_load_dwordx2 v[14:15], v[14:15]
	s_or_b64 s[84:85], s[82:83], exec
	s_waitcnt vmcnt(0) lgkmcnt(0)
	v_ffbh_u32_e32 v64, v15
	v_min_u32_e32 v64, 32, v64
	v_lshlrev_b64 v[14:15], v64, v[14:15]
	v_min_u32_e32 v14, 1, v14
	v_or_b32_e32 v14, v15, v14
	v_cvt_f32_u32_e32 v14, v14
	v_sub_u32_e32 v15, 32, v64
	v_ldexp_f32 v64, v14, v15
.LBB14_1915:                            ;   in Loop: Header=BB14_17 Depth=1
	s_or_b64 exec, exec, s[76:77]
	s_andn2_b64 s[76:77], s[82:83], exec
	s_and_b64 s[82:83], s[84:85], exec
	s_or_b64 s[80:81], s[80:81], exec
	s_andn2_b64 vcc, vcc, exec
	s_or_b64 s[82:83], s[76:77], s[82:83]
.LBB14_1916:                            ;   in Loop: Header=BB14_17 Depth=1
	s_or_b64 exec, exec, s[74:75]
	s_and_b64 s[80:81], s[80:81], exec
	s_and_b64 s[76:77], vcc, exec
	s_and_b64 s[74:75], s[82:83], exec
                                        ; implicit-def: $vgpr14_vgpr15
.LBB14_1917:                            ;   in Loop: Header=BB14_17 Depth=1
	s_andn2_saveexec_b64 s[78:79], s[78:79]
	s_cbranch_execz .LBB14_1931
; %bb.1918:                             ;   in Loop: Header=BB14_17 Depth=1
	v_cmp_gt_i16_sdwa vcc, v8, v28 src0_sel:BYTE_0 src1_sel:DWORD
                                        ; implicit-def: $vgpr64
	s_and_saveexec_b64 s[82:83], vcc
	s_xor_b64 vcc, exec, s[82:83]
	s_cbranch_execz .LBB14_1924
; %bb.1919:                             ;   in Loop: Header=BB14_17 Depth=1
	v_cmp_gt_i16_sdwa s[82:83], v8, v29 src0_sel:BYTE_0 src1_sel:DWORD
                                        ; implicit-def: $vgpr64
	s_and_saveexec_b64 s[84:85], s[82:83]
	s_xor_b64 s[82:83], exec, s[84:85]
	s_cbranch_execz .LBB14_1921
; %bb.1920:                             ;   in Loop: Header=BB14_17 Depth=1
	flat_load_dword v14, v[14:15]
	s_waitcnt vmcnt(0) lgkmcnt(0)
	v_cvt_f32_u32_e32 v64, v14
                                        ; implicit-def: $vgpr14_vgpr15
.LBB14_1921:                            ;   in Loop: Header=BB14_17 Depth=1
	s_andn2_saveexec_b64 s[82:83], s[82:83]
	s_cbranch_execz .LBB14_1923
; %bb.1922:                             ;   in Loop: Header=BB14_17 Depth=1
	flat_load_ushort v14, v[14:15]
	s_waitcnt vmcnt(0) lgkmcnt(0)
	v_cvt_f32_u32_e32 v64, v14
.LBB14_1923:                            ;   in Loop: Header=BB14_17 Depth=1
	s_or_b64 exec, exec, s[82:83]
                                        ; implicit-def: $vgpr14_vgpr15
.LBB14_1924:                            ;   in Loop: Header=BB14_17 Depth=1
	s_andn2_saveexec_b64 s[82:83], vcc
	s_cbranch_execz .LBB14_1930
; %bb.1925:                             ;   in Loop: Header=BB14_17 Depth=1
	flat_load_ubyte v14, v[14:15]
	s_movk_i32 vcc_lo, 0x7f
	s_mov_b64 s[84:85], 0
                                        ; implicit-def: $sgpr90
	s_waitcnt vmcnt(0) lgkmcnt(0)
	v_cmp_lt_i16_e32 vcc, vcc_lo, v14
	s_and_saveexec_b64 s[86:87], vcc
	s_xor_b64 s[86:87], exec, s[86:87]
	s_cbranch_execnz .LBB14_2900
; %bb.1926:                             ;   in Loop: Header=BB14_17 Depth=1
	s_or_saveexec_b64 s[86:87], s[86:87]
	v_mov_b32_e32 v64, s90
	s_xor_b64 exec, exec, s[86:87]
	s_cbranch_execnz .LBB14_2903
.LBB14_1927:                            ;   in Loop: Header=BB14_17 Depth=1
	s_or_b64 exec, exec, s[86:87]
	s_and_saveexec_b64 s[86:87], s[84:85]
	s_cbranch_execz .LBB14_1929
.LBB14_1928:                            ;   in Loop: Header=BB14_17 Depth=1
	v_lshlrev_b32_e32 v15, 24, v14
	v_and_b32_e32 v14, 0xffff, v14
	v_and_b32_e32 v64, 7, v14
	v_ffbh_u32_e32 v67, v64
	v_min_u32_e32 v67, 32, v67
	v_subrev_u32_e32 v68, 28, v67
	v_bfe_u32 v66, v14, 3, 4
	v_lshlrev_b32_e32 v14, v68, v14
	v_sub_u32_e32 v67, 29, v67
	v_and_b32_e32 v14, 7, v14
	v_cmp_eq_u32_e32 vcc, 0, v66
	v_cndmask_b32_e32 v66, v66, v67, vcc
	v_cndmask_b32_e32 v14, v64, v14, vcc
	v_lshlrev_b32_e32 v14, 20, v14
	v_and_b32_e32 v15, 0x80000000, v15
	v_lshl_add_u32 v64, v66, 23, v30
	v_or3_b32 v64, v15, v64, v14
.LBB14_1929:                            ;   in Loop: Header=BB14_17 Depth=1
	s_or_b64 exec, exec, s[86:87]
.LBB14_1930:                            ;   in Loop: Header=BB14_17 Depth=1
	s_or_b64 exec, exec, s[82:83]
	s_andn2_b64 s[80:81], s[80:81], exec
	s_andn2_b64 s[76:77], s[76:77], exec
	s_or_b64 s[74:75], s[74:75], exec
.LBB14_1931:                            ;   in Loop: Header=BB14_17 Depth=1
	s_or_b64 exec, exec, s[78:79]
	s_and_b64 s[78:79], s[80:81], exec
	s_and_b64 s[76:77], s[76:77], exec
	;; [unrolled: 1-line block ×3, first 2 shown]
                                        ; implicit-def: $vgpr14_vgpr15
.LBB14_1932:                            ;   in Loop: Header=BB14_17 Depth=1
	s_andn2_saveexec_b64 s[72:73], s[72:73]
	s_cbranch_execz .LBB14_1958
; %bb.1933:                             ;   in Loop: Header=BB14_17 Depth=1
	v_cmp_gt_i16_sdwa vcc, v8, v31 src0_sel:BYTE_0 src1_sel:DWORD
	s_mov_b64 s[82:83], s[74:75]
                                        ; implicit-def: $vgpr64
	s_and_saveexec_b64 s[80:81], vcc
	s_xor_b64 s[80:81], exec, s[80:81]
	s_cbranch_execz .LBB14_1947
; %bb.1934:                             ;   in Loop: Header=BB14_17 Depth=1
	v_cmp_gt_i16_sdwa vcc, v8, v32 src0_sel:BYTE_0 src1_sel:DWORD
                                        ; implicit-def: $vgpr64
	s_and_saveexec_b64 s[82:83], vcc
	s_xor_b64 s[82:83], exec, s[82:83]
	s_cbranch_execz .LBB14_1944
; %bb.1935:                             ;   in Loop: Header=BB14_17 Depth=1
	v_cmp_gt_i16_sdwa vcc, v8, v33 src0_sel:BYTE_0 src1_sel:DWORD
                                        ; implicit-def: $vgpr64
	s_and_saveexec_b64 s[84:85], vcc
	s_xor_b64 s[84:85], exec, s[84:85]
	s_cbranch_execz .LBB14_1941
; %bb.1936:                             ;   in Loop: Header=BB14_17 Depth=1
	flat_load_ubyte v14, v[14:15]
	s_movk_i32 vcc_lo, 0x7f
	s_mov_b64 s[86:87], 0
                                        ; implicit-def: $sgpr92
	s_waitcnt vmcnt(0) lgkmcnt(0)
	v_cmp_lt_i16_e32 vcc, vcc_lo, v14
	s_and_saveexec_b64 s[88:89], vcc
	s_xor_b64 s[88:89], exec, s[88:89]
	s_cbranch_execnz .LBB14_3119
; %bb.1937:                             ;   in Loop: Header=BB14_17 Depth=1
	s_or_saveexec_b64 s[88:89], s[88:89]
	v_mov_b32_e32 v64, s92
	s_xor_b64 exec, exec, s[88:89]
	s_cbranch_execnz .LBB14_3122
.LBB14_1938:                            ;   in Loop: Header=BB14_17 Depth=1
	s_or_b64 exec, exec, s[88:89]
	s_and_saveexec_b64 s[88:89], s[86:87]
	s_cbranch_execz .LBB14_1940
.LBB14_1939:                            ;   in Loop: Header=BB14_17 Depth=1
	v_lshlrev_b32_e32 v15, 24, v14
	v_and_b32_e32 v14, 0xffff, v14
	v_and_b32_e32 v64, 3, v14
	v_ffbh_u32_e32 v67, v64
	v_min_u32_e32 v67, 32, v67
	v_subrev_u32_e32 v68, 29, v67
	v_bfe_u32 v66, v14, 2, 5
	v_lshlrev_b32_e32 v14, v68, v14
	v_sub_u32_e32 v67, 30, v67
	v_and_b32_e32 v14, 3, v14
	v_cmp_eq_u32_e32 vcc, 0, v66
	v_cndmask_b32_e32 v66, v66, v67, vcc
	v_cndmask_b32_e32 v14, v64, v14, vcc
	v_lshlrev_b32_e32 v14, 21, v14
	v_and_b32_e32 v15, 0x80000000, v15
	v_lshl_add_u32 v64, v66, 23, v34
	v_or3_b32 v64, v15, v64, v14
.LBB14_1940:                            ;   in Loop: Header=BB14_17 Depth=1
	s_or_b64 exec, exec, s[88:89]
                                        ; implicit-def: $vgpr14_vgpr15
.LBB14_1941:                            ;   in Loop: Header=BB14_17 Depth=1
	s_andn2_saveexec_b64 s[84:85], s[84:85]
	s_cbranch_execz .LBB14_1943
; %bb.1942:                             ;   in Loop: Header=BB14_17 Depth=1
	flat_load_ubyte v14, v[14:15]
	s_mov_b32 vcc_lo, 0x7f800000
	s_waitcnt vmcnt(0) lgkmcnt(0)
	v_lshlrev_b32_e32 v14, 24, v14
	v_and_b32_e32 v15, 0x7f000000, v14
	v_ffbh_u32_e32 v64, v15
	v_min_u32_e32 v64, 32, v64
	v_sub_u32_e64 v64, v64, 4 clamp
	v_lshlrev_b32_e32 v67, v64, v15
	v_lshlrev_b32_e32 v64, 23, v64
	v_lshrrev_b32_e32 v67, 4, v67
	v_add_u32_e32 v66, 0x1000000, v15
	v_sub_u32_e32 v64, v67, v64
	v_ashrrev_i32_e32 v66, 8, v66
	v_add_u32_e32 v64, 0x3c000000, v64
	v_and_or_b32 v64, v66, vcc_lo, v64
	v_cmp_ne_u32_e32 vcc, 0, v15
	v_cndmask_b32_e32 v15, 0, v64, vcc
	s_brev_b32 vcc_lo, 1
	v_and_or_b32 v64, v14, vcc_lo, v15
.LBB14_1943:                            ;   in Loop: Header=BB14_17 Depth=1
	s_or_b64 exec, exec, s[84:85]
                                        ; implicit-def: $vgpr14_vgpr15
.LBB14_1944:                            ;   in Loop: Header=BB14_17 Depth=1
	s_andn2_saveexec_b64 s[82:83], s[82:83]
	s_cbranch_execz .LBB14_1946
; %bb.1945:                             ;   in Loop: Header=BB14_17 Depth=1
	flat_load_ubyte v14, v[14:15]
	s_movk_i32 vcc_lo, 0x7f00
	s_waitcnt vmcnt(0) lgkmcnt(0)
	v_lshlrev_b16_e32 v15, 8, v14
	v_lshlrev_b32_e32 v14, 25, v14
	v_lshrrev_b32_e32 v64, 4, v14
	v_and_or_b32 v66, v15, vcc_lo, 0.5
	v_or_b32_e32 v64, 0x70000000, v64
	s_brev_b32 vcc_lo, 16
	v_add_f32_e32 v66, -0.5, v66
	v_mul_f32_e32 v64, 0x7800000, v64
	v_cmp_gt_u32_e32 vcc, vcc_lo, v14
	v_cndmask_b32_e32 v14, v64, v66, vcc
	v_bfe_i32 v15, v15, 0, 16
	s_brev_b32 vcc_lo, 1
	v_and_or_b32 v64, v15, vcc_lo, v14
.LBB14_1946:                            ;   in Loop: Header=BB14_17 Depth=1
	s_or_b64 exec, exec, s[82:83]
	s_or_b64 s[82:83], s[74:75], exec
                                        ; implicit-def: $vgpr14_vgpr15
.LBB14_1947:                            ;   in Loop: Header=BB14_17 Depth=1
	s_or_saveexec_b64 s[80:81], s[80:81]
                                        ; implicit-def: $vcc
                                        ; implicit-def: $sgpr88_sgpr89
	s_xor_b64 exec, exec, s[80:81]
	s_cbranch_execz .LBB14_1957
; %bb.1948:                             ;   in Loop: Header=BB14_17 Depth=1
	v_cmp_gt_i16_sdwa vcc, v8, v35 src0_sel:BYTE_0 src1_sel:DWORD
	s_mov_b64 s[86:87], s[82:83]
                                        ; implicit-def: $sgpr88_sgpr89
                                        ; implicit-def: $sgpr84_sgpr85
                                        ; implicit-def: $vgpr64
	s_and_saveexec_b64 s[90:91], vcc
	s_xor_b64 vcc, exec, s[90:91]
	s_cbranch_execz .LBB14_1952
; %bb.1949:                             ;   in Loop: Header=BB14_17 Depth=1
	v_cmp_eq_u16_sdwa s[88:89], v8, v36 src0_sel:BYTE_0 src1_sel:DWORD
	s_mov_b64 s[86:87], s[82:83]
                                        ; implicit-def: $vgpr64
	s_and_saveexec_b64 s[84:85], s[88:89]
	s_cbranch_execz .LBB14_1951
; %bb.1950:                             ;   in Loop: Header=BB14_17 Depth=1
	flat_load_ushort v14, v[14:15]
	s_or_b64 s[86:87], s[82:83], exec
	s_waitcnt vmcnt(0) lgkmcnt(0)
	v_lshlrev_b32_e32 v64, 16, v14
.LBB14_1951:                            ;   in Loop: Header=BB14_17 Depth=1
	s_or_b64 exec, exec, s[84:85]
	s_andn2_b64 s[90:91], s[82:83], exec
	s_and_b64 s[86:87], s[86:87], exec
	s_mov_b64 s[84:85], 0
	s_mov_b64 s[88:89], -1
	s_or_b64 s[86:87], s[90:91], s[86:87]
                                        ; implicit-def: $vgpr14_vgpr15
.LBB14_1952:                            ;   in Loop: Header=BB14_17 Depth=1
	s_andn2_saveexec_b64 s[90:91], vcc
	s_cbranch_execz .LBB14_1956
; %bb.1953:                             ;   in Loop: Header=BB14_17 Depth=1
	v_cmp_eq_u16_sdwa s[94:95], v8, v37 src0_sel:BYTE_0 src1_sel:DWORD
	s_mov_b64 vcc, s[86:87]
                                        ; implicit-def: $vgpr64
	s_and_saveexec_b64 s[92:93], s[94:95]
	s_cbranch_execz .LBB14_1955
; %bb.1954:                             ;   in Loop: Header=BB14_17 Depth=1
	flat_load_ubyte v14, v[14:15]
	s_waitcnt vmcnt(0) lgkmcnt(0)
	v_cmp_ne_u16_e32 vcc, 0, v14
	v_cndmask_b32_e64 v64, 0, 1.0, vcc
	s_or_b64 vcc, s[86:87], exec
.LBB14_1955:                            ;   in Loop: Header=BB14_17 Depth=1
	s_or_b64 exec, exec, s[92:93]
	s_andn2_b64 s[86:87], s[86:87], exec
	s_and_b64 vcc, vcc, exec
	s_or_b64 s[88:89], s[88:89], exec
	s_andn2_b64 s[84:85], s[84:85], exec
	s_or_b64 s[86:87], s[86:87], vcc
.LBB14_1956:                            ;   in Loop: Header=BB14_17 Depth=1
	s_or_b64 exec, exec, s[90:91]
	s_and_b64 vcc, s[84:85], exec
	s_andn2_b64 s[82:83], s[82:83], exec
	s_and_b64 s[84:85], s[86:87], exec
	s_and_b64 s[88:89], s[88:89], exec
	s_or_b64 s[82:83], s[82:83], s[84:85]
.LBB14_1957:                            ;   in Loop: Header=BB14_17 Depth=1
	s_or_b64 exec, exec, s[80:81]
	s_andn2_b64 s[76:77], s[76:77], exec
	s_and_b64 vcc, vcc, exec
	s_andn2_b64 s[78:79], s[78:79], exec
	s_and_b64 s[80:81], s[88:89], exec
	s_or_b64 s[76:77], s[76:77], vcc
	s_andn2_b64 vcc, s[74:75], exec
	s_and_b64 s[74:75], s[82:83], exec
	s_or_b64 s[78:79], s[78:79], s[80:81]
	s_or_b64 s[74:75], vcc, s[74:75]
.LBB14_1958:                            ;   in Loop: Header=BB14_17 Depth=1
	s_or_b64 exec, exec, s[72:73]
	s_and_b64 s[72:73], s[78:79], exec
	s_and_b64 vcc, s[76:77], exec
	s_and_b64 s[74:75], s[74:75], exec
                                        ; implicit-def: $vgpr14_vgpr15
	s_andn2_saveexec_b64 s[70:71], s[70:71]
	s_cbranch_execz .LBB14_1875
.LBB14_1959:                            ;   in Loop: Header=BB14_17 Depth=1
	v_cmp_gt_i16_sdwa s[76:77], v8, v38 src0_sel:BYTE_0 src1_sel:DWORD
                                        ; implicit-def: $vgpr64
	s_and_saveexec_b64 s[78:79], s[76:77]
	s_xor_b64 s[76:77], exec, s[78:79]
	s_cbranch_execz .LBB14_1981
; %bb.1960:                             ;   in Loop: Header=BB14_17 Depth=1
	v_cmp_gt_i16_sdwa s[78:79], v8, v39 src0_sel:BYTE_0 src1_sel:DWORD
                                        ; implicit-def: $vgpr64
	s_and_saveexec_b64 s[80:81], s[78:79]
	s_xor_b64 s[78:79], exec, s[80:81]
	s_cbranch_execz .LBB14_1970
; %bb.1961:                             ;   in Loop: Header=BB14_17 Depth=1
	;; [unrolled: 6-line block ×4, first 2 shown]
	flat_load_dwordx2 v[14:15], v[14:15]
	s_waitcnt vmcnt(0) lgkmcnt(0)
	v_cvt_f32_f64_e32 v64, v[14:15]
                                        ; implicit-def: $vgpr14_vgpr15
.LBB14_1964:                            ;   in Loop: Header=BB14_17 Depth=1
	s_andn2_saveexec_b64 s[82:83], s[82:83]
	s_cbranch_execz .LBB14_1966
; %bb.1965:                             ;   in Loop: Header=BB14_17 Depth=1
	flat_load_dword v64, v[14:15]
.LBB14_1966:                            ;   in Loop: Header=BB14_17 Depth=1
	s_or_b64 exec, exec, s[82:83]
                                        ; implicit-def: $vgpr14_vgpr15
.LBB14_1967:                            ;   in Loop: Header=BB14_17 Depth=1
	s_andn2_saveexec_b64 s[80:81], s[80:81]
	s_cbranch_execz .LBB14_1969
; %bb.1968:                             ;   in Loop: Header=BB14_17 Depth=1
	flat_load_dword v14, v[14:15]
	s_waitcnt vmcnt(0) lgkmcnt(0)
	v_cvt_f32_f16_e32 v64, v14
.LBB14_1969:                            ;   in Loop: Header=BB14_17 Depth=1
	s_or_b64 exec, exec, s[80:81]
                                        ; implicit-def: $vgpr14_vgpr15
.LBB14_1970:                            ;   in Loop: Header=BB14_17 Depth=1
	s_andn2_saveexec_b64 s[78:79], s[78:79]
	s_cbranch_execz .LBB14_1980
; %bb.1971:                             ;   in Loop: Header=BB14_17 Depth=1
	v_cmp_gt_i16_sdwa s[80:81], v8, v50 src0_sel:BYTE_0 src1_sel:DWORD
                                        ; implicit-def: $vgpr64
	s_and_saveexec_b64 s[82:83], s[80:81]
	s_xor_b64 s[80:81], exec, s[82:83]
	s_cbranch_execz .LBB14_1977
; %bb.1972:                             ;   in Loop: Header=BB14_17 Depth=1
	v_cmp_gt_i16_sdwa s[82:83], v8, v51 src0_sel:BYTE_0 src1_sel:DWORD
                                        ; implicit-def: $vgpr64
	s_and_saveexec_b64 s[84:85], s[82:83]
	s_xor_b64 s[82:83], exec, s[84:85]
	s_cbranch_execz .LBB14_1974
; %bb.1973:                             ;   in Loop: Header=BB14_17 Depth=1
	flat_load_dwordx2 v[14:15], v[14:15]
	s_waitcnt vmcnt(0) lgkmcnt(0)
	v_cvt_f32_f64_e32 v64, v[14:15]
                                        ; implicit-def: $vgpr14_vgpr15
.LBB14_1974:                            ;   in Loop: Header=BB14_17 Depth=1
	s_andn2_saveexec_b64 s[82:83], s[82:83]
	s_cbranch_execz .LBB14_1976
; %bb.1975:                             ;   in Loop: Header=BB14_17 Depth=1
	s_waitcnt vmcnt(0) lgkmcnt(0)
	flat_load_dword v64, v[14:15]
.LBB14_1976:                            ;   in Loop: Header=BB14_17 Depth=1
	s_or_b64 exec, exec, s[82:83]
                                        ; implicit-def: $vgpr14_vgpr15
.LBB14_1977:                            ;   in Loop: Header=BB14_17 Depth=1
	s_andn2_saveexec_b64 s[80:81], s[80:81]
	s_cbranch_execz .LBB14_1979
; %bb.1978:                             ;   in Loop: Header=BB14_17 Depth=1
	flat_load_ushort v14, v[14:15]
	s_waitcnt vmcnt(0) lgkmcnt(0)
	v_cvt_f32_f16_e32 v64, v14
.LBB14_1979:                            ;   in Loop: Header=BB14_17 Depth=1
	s_or_b64 exec, exec, s[80:81]
.LBB14_1980:                            ;   in Loop: Header=BB14_17 Depth=1
	s_or_b64 exec, exec, s[78:79]
                                        ; implicit-def: $vgpr14_vgpr15
.LBB14_1981:                            ;   in Loop: Header=BB14_17 Depth=1
	s_andn2_saveexec_b64 s[76:77], s[76:77]
	s_cbranch_execz .LBB14_1999
; %bb.1982:                             ;   in Loop: Header=BB14_17 Depth=1
	v_cmp_gt_i16_sdwa s[78:79], v8, v52 src0_sel:BYTE_0 src1_sel:DWORD
                                        ; implicit-def: $vgpr64
	s_and_saveexec_b64 s[80:81], s[78:79]
	s_xor_b64 s[78:79], exec, s[80:81]
	s_cbranch_execz .LBB14_1992
; %bb.1983:                             ;   in Loop: Header=BB14_17 Depth=1
	v_cmp_gt_i16_sdwa s[80:81], v8, v53 src0_sel:BYTE_0 src1_sel:DWORD
                                        ; implicit-def: $vgpr64
	s_and_saveexec_b64 s[82:83], s[80:81]
	s_xor_b64 s[80:81], exec, s[82:83]
	s_cbranch_execz .LBB14_1989
; %bb.1984:                             ;   in Loop: Header=BB14_17 Depth=1
	v_cmp_gt_i16_sdwa s[82:83], v8, v54 src0_sel:BYTE_0 src1_sel:DWORD
                                        ; implicit-def: $vgpr64
	s_and_saveexec_b64 s[84:85], s[82:83]
	s_xor_b64 s[82:83], exec, s[84:85]
	s_cbranch_execz .LBB14_1986
; %bb.1985:                             ;   in Loop: Header=BB14_17 Depth=1
	flat_load_dwordx2 v[14:15], v[14:15]
	s_waitcnt vmcnt(0) lgkmcnt(0)
	v_xor_b32_e32 v66, v14, v15
	v_ffbh_i32_e32 v64, v15
	v_ashrrev_i32_e32 v66, 31, v66
	v_add_u32_e32 v64, -1, v64
	v_add_u32_e32 v66, 32, v66
	v_min_u32_e32 v64, v64, v66
	v_lshlrev_b64 v[14:15], v64, v[14:15]
	v_min_u32_e32 v14, 1, v14
	v_or_b32_e32 v14, v15, v14
	v_cvt_f32_i32_e32 v14, v14
	v_sub_u32_e32 v15, 32, v64
	v_ldexp_f32 v64, v14, v15
                                        ; implicit-def: $vgpr14_vgpr15
.LBB14_1986:                            ;   in Loop: Header=BB14_17 Depth=1
	s_andn2_saveexec_b64 s[82:83], s[82:83]
	s_cbranch_execz .LBB14_1988
; %bb.1987:                             ;   in Loop: Header=BB14_17 Depth=1
	flat_load_dword v14, v[14:15]
	s_waitcnt vmcnt(0) lgkmcnt(0)
	v_cvt_f32_i32_e32 v64, v14
.LBB14_1988:                            ;   in Loop: Header=BB14_17 Depth=1
	s_or_b64 exec, exec, s[82:83]
                                        ; implicit-def: $vgpr14_vgpr15
.LBB14_1989:                            ;   in Loop: Header=BB14_17 Depth=1
	s_andn2_saveexec_b64 s[80:81], s[80:81]
	s_cbranch_execz .LBB14_1991
; %bb.1990:                             ;   in Loop: Header=BB14_17 Depth=1
	flat_load_sshort v14, v[14:15]
	s_waitcnt vmcnt(0) lgkmcnt(0)
	v_cvt_f32_i32_e32 v64, v14
.LBB14_1991:                            ;   in Loop: Header=BB14_17 Depth=1
	s_or_b64 exec, exec, s[80:81]
                                        ; implicit-def: $vgpr14_vgpr15
.LBB14_1992:                            ;   in Loop: Header=BB14_17 Depth=1
	s_andn2_saveexec_b64 s[78:79], s[78:79]
	s_cbranch_execz .LBB14_1998
; %bb.1993:                             ;   in Loop: Header=BB14_17 Depth=1
	v_cmp_gt_i16_sdwa s[80:81], v8, v16 src0_sel:BYTE_0 src1_sel:DWORD
                                        ; implicit-def: $vgpr64
	s_and_saveexec_b64 s[82:83], s[80:81]
	s_xor_b64 s[80:81], exec, s[82:83]
	s_cbranch_execz .LBB14_1995
; %bb.1994:                             ;   in Loop: Header=BB14_17 Depth=1
	flat_load_sbyte v14, v[14:15]
	s_waitcnt vmcnt(0) lgkmcnt(0)
	v_cvt_f32_i32_e32 v64, v14
                                        ; implicit-def: $vgpr14_vgpr15
.LBB14_1995:                            ;   in Loop: Header=BB14_17 Depth=1
	s_andn2_saveexec_b64 s[80:81], s[80:81]
	s_cbranch_execz .LBB14_1997
; %bb.1996:                             ;   in Loop: Header=BB14_17 Depth=1
	flat_load_ubyte v14, v[14:15]
	s_waitcnt vmcnt(0) lgkmcnt(0)
	v_cvt_f32_ubyte0_e32 v64, v14
.LBB14_1997:                            ;   in Loop: Header=BB14_17 Depth=1
	s_or_b64 exec, exec, s[80:81]
.LBB14_1998:                            ;   in Loop: Header=BB14_17 Depth=1
	s_or_b64 exec, exec, s[78:79]
.LBB14_1999:                            ;   in Loop: Header=BB14_17 Depth=1
	s_or_b64 exec, exec, s[76:77]
	s_andn2_b64 s[72:73], s[72:73], exec
	s_andn2_b64 vcc, vcc, exec
	s_or_b64 s[74:75], s[74:75], exec
	s_or_b64 exec, exec, s[70:71]
	s_mov_b64 s[70:71], 0
	s_and_saveexec_b64 s[76:77], s[74:75]
	s_cbranch_execnz .LBB14_1876
	s_branch .LBB14_1877
.LBB14_2000:                            ;   in Loop: Header=BB14_17 Depth=1
	v_cmp_gt_i16_sdwa vcc, v7, v19 src0_sel:BYTE_0 src1_sel:DWORD
	s_mov_b64 s[76:77], 0
                                        ; implicit-def: $sgpr78_sgpr79
                                        ; implicit-def: $sgpr68_sgpr69
                                        ; implicit-def: $vgpr66
	s_and_saveexec_b64 s[60:61], vcc
	s_xor_b64 s[66:67], exec, s[60:61]
	s_cbranch_execz .LBB14_2032
; %bb.2001:                             ;   in Loop: Header=BB14_17 Depth=1
	v_cmp_gt_i16_sdwa vcc, v7, v20 src0_sel:BYTE_0 src1_sel:DWORD
                                        ; implicit-def: $sgpr78_sgpr79
                                        ; implicit-def: $sgpr80_sgpr81
                                        ; implicit-def: $vgpr66
	s_and_saveexec_b64 s[60:61], vcc
	s_xor_b64 s[68:69], exec, s[60:61]
	s_cbranch_execz .LBB14_2017
; %bb.2002:                             ;   in Loop: Header=BB14_17 Depth=1
	v_cmp_gt_i16_sdwa s[60:61], v7, v21 src0_sel:BYTE_0 src1_sel:DWORD
	s_mov_b64 s[82:83], 0
                                        ; implicit-def: $vcc
                                        ; implicit-def: $sgpr78_sgpr79
                                        ; implicit-def: $vgpr66
	s_and_saveexec_b64 s[76:77], s[60:61]
	s_xor_b64 s[76:77], exec, s[76:77]
	s_cbranch_execz .LBB14_2012
; %bb.2003:                             ;   in Loop: Header=BB14_17 Depth=1
	v_cmp_gt_i16_sdwa vcc, v7, v22 src0_sel:BYTE_0 src1_sel:DWORD
	s_mov_b64 s[80:81], 0
                                        ; implicit-def: $sgpr78_sgpr79
                                        ; implicit-def: $sgpr82_sgpr83
                                        ; implicit-def: $vgpr66
	s_and_saveexec_b64 s[60:61], vcc
	s_xor_b64 vcc, exec, s[60:61]
	s_cbranch_execz .LBB14_2007
; %bb.2004:                             ;   in Loop: Header=BB14_17 Depth=1
	v_cmp_eq_u16_sdwa s[60:61], v7, v23 src0_sel:BYTE_0 src1_sel:DWORD
	s_mov_b64 s[78:79], 0
                                        ; implicit-def: $vgpr66
	s_and_saveexec_b64 s[82:83], s[60:61]
	s_cbranch_execz .LBB14_2006
; %bb.2005:                             ;   in Loop: Header=BB14_17 Depth=1
	flat_load_dword v14, v[14:15]
	s_mov_b64 s[80:81], exec
	s_waitcnt vmcnt(0) lgkmcnt(0)
	v_lshlrev_b32_e32 v66, 16, v14
.LBB14_2006:                            ;   in Loop: Header=BB14_17 Depth=1
	s_or_b64 exec, exec, s[82:83]
	s_mov_b64 s[82:83], -1
	s_and_b64 s[80:81], s[80:81], exec
                                        ; implicit-def: $vgpr14_vgpr15
.LBB14_2007:                            ;   in Loop: Header=BB14_17 Depth=1
	s_andn2_saveexec_b64 s[84:85], vcc
	s_cbranch_execz .LBB14_2011
; %bb.2008:                             ;   in Loop: Header=BB14_17 Depth=1
	v_cmp_eq_u16_sdwa s[60:61], v7, v24 src0_sel:BYTE_0 src1_sel:DWORD
	s_mov_b64 vcc, s[80:81]
                                        ; implicit-def: $vgpr66
	s_and_saveexec_b64 s[86:87], s[60:61]
	s_cbranch_execz .LBB14_2010
; %bb.2009:                             ;   in Loop: Header=BB14_17 Depth=1
	flat_load_ubyte v14, v[14:15]
	s_movk_i32 vcc_lo, 0xff
	s_waitcnt vmcnt(0) lgkmcnt(0)
	v_lshlrev_b32_e32 v15, 23, v14
	v_cmp_ne_u32_e32 vcc, vcc_lo, v14
	v_cndmask_b32_e32 v15, v25, v15, vcc
	v_cmp_ne_u32_e32 vcc, 0, v14
	v_cndmask_b32_e32 v66, v26, v15, vcc
	s_or_b64 vcc, s[80:81], exec
.LBB14_2010:                            ;   in Loop: Header=BB14_17 Depth=1
	s_or_b64 exec, exec, s[86:87]
	s_andn2_b64 s[60:61], s[80:81], exec
	s_and_b64 vcc, vcc, exec
	s_andn2_b64 s[78:79], s[78:79], exec
	s_or_b64 s[82:83], s[82:83], exec
	s_or_b64 s[80:81], s[60:61], vcc
.LBB14_2011:                            ;   in Loop: Header=BB14_17 Depth=1
	s_or_b64 exec, exec, s[84:85]
	s_and_b64 s[78:79], s[78:79], exec
	s_and_b64 vcc, s[82:83], exec
	s_and_b64 s[82:83], s[80:81], exec
                                        ; implicit-def: $vgpr14_vgpr15
.LBB14_2012:                            ;   in Loop: Header=BB14_17 Depth=1
	s_andn2_saveexec_b64 s[76:77], s[76:77]
	s_cbranch_execz .LBB14_2016
; %bb.2013:                             ;   in Loop: Header=BB14_17 Depth=1
	v_cmp_eq_u16_sdwa s[60:61], v7, v27 src0_sel:BYTE_0 src1_sel:DWORD
	s_mov_b64 s[84:85], s[82:83]
                                        ; implicit-def: $vgpr66
	s_and_saveexec_b64 s[80:81], s[60:61]
	s_cbranch_execz .LBB14_2015
; %bb.2014:                             ;   in Loop: Header=BB14_17 Depth=1
	flat_load_dwordx2 v[14:15], v[14:15]
	s_or_b64 s[84:85], s[82:83], exec
	s_waitcnt vmcnt(0) lgkmcnt(0)
	v_ffbh_u32_e32 v65, v15
	v_min_u32_e32 v65, 32, v65
	v_lshlrev_b64 v[14:15], v65, v[14:15]
	v_min_u32_e32 v14, 1, v14
	v_or_b32_e32 v14, v15, v14
	v_cvt_f32_u32_e32 v14, v14
	v_sub_u32_e32 v15, 32, v65
	v_ldexp_f32 v66, v14, v15
.LBB14_2015:                            ;   in Loop: Header=BB14_17 Depth=1
	s_or_b64 exec, exec, s[80:81]
	s_andn2_b64 s[60:61], s[82:83], exec
	s_and_b64 s[80:81], s[84:85], exec
	s_andn2_b64 s[78:79], s[78:79], exec
	s_or_b64 vcc, vcc, exec
	s_or_b64 s[82:83], s[60:61], s[80:81]
.LBB14_2016:                            ;   in Loop: Header=BB14_17 Depth=1
	s_or_b64 exec, exec, s[76:77]
	s_and_b64 s[80:81], s[78:79], exec
	s_and_b64 s[78:79], vcc, exec
	s_and_b64 s[76:77], s[82:83], exec
                                        ; implicit-def: $vgpr14_vgpr15
.LBB14_2017:                            ;   in Loop: Header=BB14_17 Depth=1
	s_andn2_saveexec_b64 s[68:69], s[68:69]
	s_cbranch_execz .LBB14_2031
; %bb.2018:                             ;   in Loop: Header=BB14_17 Depth=1
	v_cmp_gt_i16_sdwa vcc, v7, v28 src0_sel:BYTE_0 src1_sel:DWORD
                                        ; implicit-def: $vgpr66
	s_and_saveexec_b64 s[60:61], vcc
	s_xor_b64 vcc, exec, s[60:61]
	s_cbranch_execz .LBB14_2024
; %bb.2019:                             ;   in Loop: Header=BB14_17 Depth=1
	v_cmp_gt_i16_sdwa s[60:61], v7, v29 src0_sel:BYTE_0 src1_sel:DWORD
                                        ; implicit-def: $vgpr66
	s_and_saveexec_b64 s[82:83], s[60:61]
	s_xor_b64 s[60:61], exec, s[82:83]
	s_cbranch_execz .LBB14_2021
; %bb.2020:                             ;   in Loop: Header=BB14_17 Depth=1
	flat_load_dword v14, v[14:15]
	s_waitcnt vmcnt(0) lgkmcnt(0)
	v_cvt_f32_u32_e32 v66, v14
                                        ; implicit-def: $vgpr14_vgpr15
.LBB14_2021:                            ;   in Loop: Header=BB14_17 Depth=1
	s_andn2_saveexec_b64 s[82:83], s[60:61]
	s_cbranch_execz .LBB14_2023
; %bb.2022:                             ;   in Loop: Header=BB14_17 Depth=1
	flat_load_ushort v14, v[14:15]
	s_waitcnt vmcnt(0) lgkmcnt(0)
	v_cvt_f32_u32_e32 v66, v14
.LBB14_2023:                            ;   in Loop: Header=BB14_17 Depth=1
	s_or_b64 exec, exec, s[82:83]
                                        ; implicit-def: $vgpr14_vgpr15
.LBB14_2024:                            ;   in Loop: Header=BB14_17 Depth=1
	s_andn2_saveexec_b64 s[82:83], vcc
	s_cbranch_execz .LBB14_2030
; %bb.2025:                             ;   in Loop: Header=BB14_17 Depth=1
	flat_load_ubyte v14, v[14:15]
	s_movk_i32 vcc_lo, 0x7f
	s_mov_b64 s[84:85], 0
                                        ; implicit-def: $sgpr88
	s_waitcnt vmcnt(0) lgkmcnt(0)
	v_cmp_lt_i16_e32 vcc, vcc_lo, v14
	s_and_saveexec_b64 s[60:61], vcc
	s_xor_b64 s[86:87], exec, s[60:61]
	s_cbranch_execnz .LBB14_2904
; %bb.2026:                             ;   in Loop: Header=BB14_17 Depth=1
	s_or_saveexec_b64 s[86:87], s[86:87]
	v_mov_b32_e32 v66, s88
	s_xor_b64 exec, exec, s[86:87]
	s_cbranch_execnz .LBB14_2907
.LBB14_2027:                            ;   in Loop: Header=BB14_17 Depth=1
	s_or_b64 exec, exec, s[86:87]
	s_and_saveexec_b64 s[86:87], s[84:85]
	s_cbranch_execz .LBB14_2029
.LBB14_2028:                            ;   in Loop: Header=BB14_17 Depth=1
	v_lshlrev_b32_e32 v15, 24, v14
	v_and_b32_e32 v14, 0xffff, v14
	v_and_b32_e32 v65, 7, v14
	v_ffbh_u32_e32 v67, v65
	v_min_u32_e32 v67, 32, v67
	v_subrev_u32_e32 v68, 28, v67
	v_bfe_u32 v66, v14, 3, 4
	v_lshlrev_b32_e32 v14, v68, v14
	v_sub_u32_e32 v67, 29, v67
	v_and_b32_e32 v14, 7, v14
	v_cmp_eq_u32_e32 vcc, 0, v66
	v_cndmask_b32_e32 v66, v66, v67, vcc
	v_cndmask_b32_e32 v14, v65, v14, vcc
	v_lshlrev_b32_e32 v14, 20, v14
	v_and_b32_e32 v15, 0x80000000, v15
	v_lshl_add_u32 v65, v66, 23, v30
	v_or3_b32 v66, v15, v65, v14
.LBB14_2029:                            ;   in Loop: Header=BB14_17 Depth=1
	s_or_b64 exec, exec, s[86:87]
.LBB14_2030:                            ;   in Loop: Header=BB14_17 Depth=1
	s_or_b64 exec, exec, s[82:83]
	s_andn2_b64 s[80:81], s[80:81], exec
	s_andn2_b64 s[78:79], s[78:79], exec
	s_or_b64 s[76:77], s[76:77], exec
.LBB14_2031:                            ;   in Loop: Header=BB14_17 Depth=1
	s_or_b64 exec, exec, s[68:69]
	s_and_b64 s[68:69], s[80:81], exec
	s_and_b64 s[78:79], s[78:79], exec
	;; [unrolled: 1-line block ×3, first 2 shown]
                                        ; implicit-def: $vgpr14_vgpr15
.LBB14_2032:                            ;   in Loop: Header=BB14_17 Depth=1
	s_andn2_saveexec_b64 s[66:67], s[66:67]
	s_cbranch_execz .LBB14_2058
; %bb.2033:                             ;   in Loop: Header=BB14_17 Depth=1
	v_cmp_gt_i16_sdwa vcc, v7, v31 src0_sel:BYTE_0 src1_sel:DWORD
	s_mov_b64 s[82:83], s[76:77]
                                        ; implicit-def: $vgpr66
	s_and_saveexec_b64 s[60:61], vcc
	s_xor_b64 s[80:81], exec, s[60:61]
	s_cbranch_execz .LBB14_2047
; %bb.2034:                             ;   in Loop: Header=BB14_17 Depth=1
	v_cmp_gt_i16_sdwa vcc, v7, v32 src0_sel:BYTE_0 src1_sel:DWORD
                                        ; implicit-def: $vgpr66
	s_and_saveexec_b64 s[60:61], vcc
	s_xor_b64 s[82:83], exec, s[60:61]
	s_cbranch_execz .LBB14_2044
; %bb.2035:                             ;   in Loop: Header=BB14_17 Depth=1
	v_cmp_gt_i16_sdwa vcc, v7, v33 src0_sel:BYTE_0 src1_sel:DWORD
                                        ; implicit-def: $vgpr66
	s_and_saveexec_b64 s[60:61], vcc
	s_xor_b64 s[84:85], exec, s[60:61]
	s_cbranch_execz .LBB14_2041
; %bb.2036:                             ;   in Loop: Header=BB14_17 Depth=1
	flat_load_ubyte v14, v[14:15]
	s_movk_i32 vcc_lo, 0x7f
	s_mov_b64 s[86:87], 0
                                        ; implicit-def: $sgpr90
	s_waitcnt vmcnt(0) lgkmcnt(0)
	v_cmp_lt_i16_e32 vcc, vcc_lo, v14
	s_and_saveexec_b64 s[60:61], vcc
	s_xor_b64 s[88:89], exec, s[60:61]
	s_cbranch_execnz .LBB14_3123
; %bb.2037:                             ;   in Loop: Header=BB14_17 Depth=1
	s_or_saveexec_b64 s[88:89], s[88:89]
	v_mov_b32_e32 v66, s90
	s_xor_b64 exec, exec, s[88:89]
	s_cbranch_execnz .LBB14_3126
.LBB14_2038:                            ;   in Loop: Header=BB14_17 Depth=1
	s_or_b64 exec, exec, s[88:89]
	s_and_saveexec_b64 s[88:89], s[86:87]
	s_cbranch_execz .LBB14_2040
.LBB14_2039:                            ;   in Loop: Header=BB14_17 Depth=1
	v_lshlrev_b32_e32 v15, 24, v14
	v_and_b32_e32 v14, 0xffff, v14
	v_and_b32_e32 v65, 3, v14
	v_ffbh_u32_e32 v67, v65
	v_min_u32_e32 v67, 32, v67
	v_subrev_u32_e32 v68, 29, v67
	v_bfe_u32 v66, v14, 2, 5
	v_lshlrev_b32_e32 v14, v68, v14
	v_sub_u32_e32 v67, 30, v67
	v_and_b32_e32 v14, 3, v14
	v_cmp_eq_u32_e32 vcc, 0, v66
	v_cndmask_b32_e32 v66, v66, v67, vcc
	v_cndmask_b32_e32 v14, v65, v14, vcc
	v_lshlrev_b32_e32 v14, 21, v14
	v_and_b32_e32 v15, 0x80000000, v15
	v_lshl_add_u32 v65, v66, 23, v34
	v_or3_b32 v66, v15, v65, v14
.LBB14_2040:                            ;   in Loop: Header=BB14_17 Depth=1
	s_or_b64 exec, exec, s[88:89]
                                        ; implicit-def: $vgpr14_vgpr15
.LBB14_2041:                            ;   in Loop: Header=BB14_17 Depth=1
	s_andn2_saveexec_b64 s[84:85], s[84:85]
	s_cbranch_execz .LBB14_2043
; %bb.2042:                             ;   in Loop: Header=BB14_17 Depth=1
	flat_load_ubyte v14, v[14:15]
	s_mov_b32 vcc_lo, 0x7f800000
	s_waitcnt vmcnt(0) lgkmcnt(0)
	v_lshlrev_b32_e32 v14, 24, v14
	v_and_b32_e32 v15, 0x7f000000, v14
	v_ffbh_u32_e32 v65, v15
	v_min_u32_e32 v65, 32, v65
	v_sub_u32_e64 v65, v65, 4 clamp
	v_lshlrev_b32_e32 v67, v65, v15
	v_lshlrev_b32_e32 v65, 23, v65
	v_lshrrev_b32_e32 v67, 4, v67
	v_add_u32_e32 v66, 0x1000000, v15
	v_sub_u32_e32 v65, v67, v65
	v_ashrrev_i32_e32 v66, 8, v66
	v_add_u32_e32 v65, 0x3c000000, v65
	v_and_or_b32 v65, v66, vcc_lo, v65
	v_cmp_ne_u32_e32 vcc, 0, v15
	v_cndmask_b32_e32 v15, 0, v65, vcc
	s_brev_b32 vcc_lo, 1
	v_and_or_b32 v66, v14, vcc_lo, v15
.LBB14_2043:                            ;   in Loop: Header=BB14_17 Depth=1
	s_or_b64 exec, exec, s[84:85]
                                        ; implicit-def: $vgpr14_vgpr15
.LBB14_2044:                            ;   in Loop: Header=BB14_17 Depth=1
	s_andn2_saveexec_b64 s[82:83], s[82:83]
	s_cbranch_execz .LBB14_2046
; %bb.2045:                             ;   in Loop: Header=BB14_17 Depth=1
	flat_load_ubyte v14, v[14:15]
	s_movk_i32 vcc_lo, 0x7f00
	s_waitcnt vmcnt(0) lgkmcnt(0)
	v_lshlrev_b16_e32 v15, 8, v14
	v_lshlrev_b32_e32 v14, 25, v14
	v_lshrrev_b32_e32 v65, 4, v14
	v_and_or_b32 v66, v15, vcc_lo, 0.5
	v_or_b32_e32 v65, 0x70000000, v65
	s_brev_b32 vcc_lo, 16
	v_add_f32_e32 v66, -0.5, v66
	v_mul_f32_e32 v65, 0x7800000, v65
	v_cmp_gt_u32_e32 vcc, vcc_lo, v14
	v_cndmask_b32_e32 v14, v65, v66, vcc
	v_bfe_i32 v15, v15, 0, 16
	s_brev_b32 vcc_lo, 1
	v_and_or_b32 v66, v15, vcc_lo, v14
.LBB14_2046:                            ;   in Loop: Header=BB14_17 Depth=1
	s_or_b64 exec, exec, s[82:83]
	s_or_b64 s[82:83], s[76:77], exec
                                        ; implicit-def: $vgpr14_vgpr15
.LBB14_2047:                            ;   in Loop: Header=BB14_17 Depth=1
	s_or_saveexec_b64 s[80:81], s[80:81]
                                        ; implicit-def: $vcc
                                        ; implicit-def: $sgpr88_sgpr89
	s_xor_b64 exec, exec, s[80:81]
	s_cbranch_execz .LBB14_2057
; %bb.2048:                             ;   in Loop: Header=BB14_17 Depth=1
	v_cmp_gt_i16_sdwa vcc, v7, v35 src0_sel:BYTE_0 src1_sel:DWORD
	s_mov_b64 s[86:87], s[82:83]
                                        ; implicit-def: $sgpr88_sgpr89
                                        ; implicit-def: $sgpr84_sgpr85
                                        ; implicit-def: $vgpr66
	s_and_saveexec_b64 s[60:61], vcc
	s_xor_b64 vcc, exec, s[60:61]
	s_cbranch_execz .LBB14_2052
; %bb.2049:                             ;   in Loop: Header=BB14_17 Depth=1
	v_cmp_eq_u16_sdwa s[84:85], v7, v36 src0_sel:BYTE_0 src1_sel:DWORD
	s_mov_b64 s[86:87], s[82:83]
                                        ; implicit-def: $vgpr66
	s_and_saveexec_b64 s[60:61], s[84:85]
	s_cbranch_execz .LBB14_2051
; %bb.2050:                             ;   in Loop: Header=BB14_17 Depth=1
	flat_load_ushort v14, v[14:15]
	s_or_b64 s[86:87], s[82:83], exec
	s_waitcnt vmcnt(0) lgkmcnt(0)
	v_lshlrev_b32_e32 v66, 16, v14
.LBB14_2051:                            ;   in Loop: Header=BB14_17 Depth=1
	s_or_b64 exec, exec, s[60:61]
	s_andn2_b64 s[60:61], s[82:83], exec
	s_and_b64 s[86:87], s[86:87], exec
	s_mov_b64 s[84:85], -1
	s_mov_b64 s[88:89], 0
	s_or_b64 s[86:87], s[60:61], s[86:87]
                                        ; implicit-def: $vgpr14_vgpr15
.LBB14_2052:                            ;   in Loop: Header=BB14_17 Depth=1
	s_andn2_saveexec_b64 s[90:91], vcc
	s_cbranch_execz .LBB14_2056
; %bb.2053:                             ;   in Loop: Header=BB14_17 Depth=1
	v_cmp_eq_u16_sdwa s[60:61], v7, v37 src0_sel:BYTE_0 src1_sel:DWORD
	s_mov_b64 vcc, s[86:87]
                                        ; implicit-def: $vgpr66
	s_and_saveexec_b64 s[92:93], s[60:61]
	s_cbranch_execz .LBB14_2055
; %bb.2054:                             ;   in Loop: Header=BB14_17 Depth=1
	flat_load_ubyte v14, v[14:15]
	s_waitcnt vmcnt(0) lgkmcnt(0)
	v_cmp_ne_u16_e32 vcc, 0, v14
	v_cndmask_b32_e64 v66, 0, 1.0, vcc
	s_or_b64 vcc, s[86:87], exec
.LBB14_2055:                            ;   in Loop: Header=BB14_17 Depth=1
	s_or_b64 exec, exec, s[92:93]
	s_andn2_b64 s[60:61], s[86:87], exec
	s_and_b64 vcc, vcc, exec
	s_andn2_b64 s[88:89], s[88:89], exec
	s_or_b64 s[84:85], s[84:85], exec
	s_or_b64 s[86:87], s[60:61], vcc
.LBB14_2056:                            ;   in Loop: Header=BB14_17 Depth=1
	s_or_b64 exec, exec, s[90:91]
	s_andn2_b64 s[60:61], s[82:83], exec
	s_and_b64 s[82:83], s[86:87], exec
	s_and_b64 s[88:89], s[88:89], exec
	s_and_b64 vcc, s[84:85], exec
	s_or_b64 s[82:83], s[60:61], s[82:83]
.LBB14_2057:                            ;   in Loop: Header=BB14_17 Depth=1
	s_or_b64 exec, exec, s[80:81]
	s_andn2_b64 s[60:61], s[68:69], exec
	s_and_b64 s[68:69], s[88:89], exec
	s_or_b64 s[68:69], s[60:61], s[68:69]
	s_andn2_b64 s[60:61], s[78:79], exec
	s_and_b64 vcc, vcc, exec
	s_or_b64 s[78:79], s[60:61], vcc
	s_andn2_b64 vcc, s[76:77], exec
	s_and_b64 s[60:61], s[82:83], exec
	s_or_b64 s[76:77], vcc, s[60:61]
.LBB14_2058:                            ;   in Loop: Header=BB14_17 Depth=1
	s_or_b64 exec, exec, s[66:67]
	s_and_b64 s[68:69], s[68:69], exec
	s_and_b64 s[66:67], s[78:79], exec
	s_and_b64 vcc, s[76:77], exec
                                        ; implicit-def: $vgpr14_vgpr15
	s_andn2_saveexec_b64 s[74:75], s[74:75]
	s_cbranch_execz .LBB14_1883
.LBB14_2059:                            ;   in Loop: Header=BB14_17 Depth=1
	v_cmp_gt_i16_sdwa s[60:61], v7, v38 src0_sel:BYTE_0 src1_sel:DWORD
                                        ; implicit-def: $vgpr66
	s_and_saveexec_b64 s[76:77], s[60:61]
	s_xor_b64 s[76:77], exec, s[76:77]
	s_cbranch_execz .LBB14_2081
; %bb.2060:                             ;   in Loop: Header=BB14_17 Depth=1
	v_cmp_gt_i16_sdwa s[60:61], v7, v39 src0_sel:BYTE_0 src1_sel:DWORD
                                        ; implicit-def: $vgpr66
	s_and_saveexec_b64 s[78:79], s[60:61]
	s_xor_b64 s[78:79], exec, s[78:79]
	s_cbranch_execz .LBB14_2070
; %bb.2061:                             ;   in Loop: Header=BB14_17 Depth=1
	;; [unrolled: 6-line block ×4, first 2 shown]
	flat_load_dwordx2 v[14:15], v[14:15]
	s_waitcnt vmcnt(0) lgkmcnt(0)
	v_cvt_f32_f64_e32 v66, v[14:15]
                                        ; implicit-def: $vgpr14_vgpr15
.LBB14_2064:                            ;   in Loop: Header=BB14_17 Depth=1
	s_andn2_saveexec_b64 s[60:61], s[60:61]
	s_cbranch_execz .LBB14_2066
; %bb.2065:                             ;   in Loop: Header=BB14_17 Depth=1
	flat_load_dword v66, v[14:15]
.LBB14_2066:                            ;   in Loop: Header=BB14_17 Depth=1
	s_or_b64 exec, exec, s[60:61]
                                        ; implicit-def: $vgpr14_vgpr15
.LBB14_2067:                            ;   in Loop: Header=BB14_17 Depth=1
	s_andn2_saveexec_b64 s[80:81], s[80:81]
	s_cbranch_execz .LBB14_2069
; %bb.2068:                             ;   in Loop: Header=BB14_17 Depth=1
	flat_load_dword v14, v[14:15]
	s_waitcnt vmcnt(0) lgkmcnt(0)
	v_cvt_f32_f16_e32 v66, v14
.LBB14_2069:                            ;   in Loop: Header=BB14_17 Depth=1
	s_or_b64 exec, exec, s[80:81]
                                        ; implicit-def: $vgpr14_vgpr15
.LBB14_2070:                            ;   in Loop: Header=BB14_17 Depth=1
	s_andn2_saveexec_b64 s[78:79], s[78:79]
	s_cbranch_execz .LBB14_2080
; %bb.2071:                             ;   in Loop: Header=BB14_17 Depth=1
	v_cmp_gt_i16_sdwa s[60:61], v7, v50 src0_sel:BYTE_0 src1_sel:DWORD
                                        ; implicit-def: $vgpr66
	s_and_saveexec_b64 s[80:81], s[60:61]
	s_xor_b64 s[80:81], exec, s[80:81]
	s_cbranch_execz .LBB14_2077
; %bb.2072:                             ;   in Loop: Header=BB14_17 Depth=1
	v_cmp_gt_i16_sdwa s[60:61], v7, v51 src0_sel:BYTE_0 src1_sel:DWORD
                                        ; implicit-def: $vgpr66
	s_and_saveexec_b64 s[82:83], s[60:61]
	s_xor_b64 s[60:61], exec, s[82:83]
	s_cbranch_execz .LBB14_2074
; %bb.2073:                             ;   in Loop: Header=BB14_17 Depth=1
	flat_load_dwordx2 v[14:15], v[14:15]
	s_waitcnt vmcnt(0) lgkmcnt(0)
	v_cvt_f32_f64_e32 v66, v[14:15]
                                        ; implicit-def: $vgpr14_vgpr15
.LBB14_2074:                            ;   in Loop: Header=BB14_17 Depth=1
	s_andn2_saveexec_b64 s[60:61], s[60:61]
	s_cbranch_execz .LBB14_2076
; %bb.2075:                             ;   in Loop: Header=BB14_17 Depth=1
	s_waitcnt vmcnt(0) lgkmcnt(0)
	flat_load_dword v66, v[14:15]
.LBB14_2076:                            ;   in Loop: Header=BB14_17 Depth=1
	s_or_b64 exec, exec, s[60:61]
                                        ; implicit-def: $vgpr14_vgpr15
.LBB14_2077:                            ;   in Loop: Header=BB14_17 Depth=1
	s_andn2_saveexec_b64 s[80:81], s[80:81]
	s_cbranch_execz .LBB14_2079
; %bb.2078:                             ;   in Loop: Header=BB14_17 Depth=1
	flat_load_ushort v14, v[14:15]
	s_waitcnt vmcnt(0) lgkmcnt(0)
	v_cvt_f32_f16_e32 v66, v14
.LBB14_2079:                            ;   in Loop: Header=BB14_17 Depth=1
	s_or_b64 exec, exec, s[80:81]
.LBB14_2080:                            ;   in Loop: Header=BB14_17 Depth=1
	s_or_b64 exec, exec, s[78:79]
                                        ; implicit-def: $vgpr14_vgpr15
.LBB14_2081:                            ;   in Loop: Header=BB14_17 Depth=1
	s_andn2_saveexec_b64 s[76:77], s[76:77]
	s_cbranch_execz .LBB14_2099
; %bb.2082:                             ;   in Loop: Header=BB14_17 Depth=1
	v_cmp_gt_i16_sdwa s[60:61], v7, v52 src0_sel:BYTE_0 src1_sel:DWORD
                                        ; implicit-def: $vgpr66
	s_and_saveexec_b64 s[78:79], s[60:61]
	s_xor_b64 s[78:79], exec, s[78:79]
	s_cbranch_execz .LBB14_2092
; %bb.2083:                             ;   in Loop: Header=BB14_17 Depth=1
	v_cmp_gt_i16_sdwa s[60:61], v7, v53 src0_sel:BYTE_0 src1_sel:DWORD
                                        ; implicit-def: $vgpr66
	s_and_saveexec_b64 s[80:81], s[60:61]
	s_xor_b64 s[80:81], exec, s[80:81]
	;; [unrolled: 6-line block ×3, first 2 shown]
	s_cbranch_execz .LBB14_2086
; %bb.2085:                             ;   in Loop: Header=BB14_17 Depth=1
	flat_load_dwordx2 v[14:15], v[14:15]
	s_waitcnt vmcnt(0) lgkmcnt(0)
	v_xor_b32_e32 v66, v14, v15
	v_ffbh_i32_e32 v65, v15
	v_ashrrev_i32_e32 v66, 31, v66
	v_add_u32_e32 v65, -1, v65
	v_add_u32_e32 v66, 32, v66
	v_min_u32_e32 v65, v65, v66
	v_lshlrev_b64 v[14:15], v65, v[14:15]
	v_min_u32_e32 v14, 1, v14
	v_or_b32_e32 v14, v15, v14
	v_cvt_f32_i32_e32 v14, v14
	v_sub_u32_e32 v15, 32, v65
	v_ldexp_f32 v66, v14, v15
                                        ; implicit-def: $vgpr14_vgpr15
.LBB14_2086:                            ;   in Loop: Header=BB14_17 Depth=1
	s_andn2_saveexec_b64 s[82:83], s[82:83]
	s_cbranch_execz .LBB14_2088
; %bb.2087:                             ;   in Loop: Header=BB14_17 Depth=1
	flat_load_dword v14, v[14:15]
	s_waitcnt vmcnt(0) lgkmcnt(0)
	v_cvt_f32_i32_e32 v66, v14
.LBB14_2088:                            ;   in Loop: Header=BB14_17 Depth=1
	s_or_b64 exec, exec, s[82:83]
                                        ; implicit-def: $vgpr14_vgpr15
.LBB14_2089:                            ;   in Loop: Header=BB14_17 Depth=1
	s_andn2_saveexec_b64 s[80:81], s[80:81]
	s_cbranch_execz .LBB14_2091
; %bb.2090:                             ;   in Loop: Header=BB14_17 Depth=1
	flat_load_sshort v14, v[14:15]
	s_waitcnt vmcnt(0) lgkmcnt(0)
	v_cvt_f32_i32_e32 v66, v14
.LBB14_2091:                            ;   in Loop: Header=BB14_17 Depth=1
	s_or_b64 exec, exec, s[80:81]
                                        ; implicit-def: $vgpr14_vgpr15
.LBB14_2092:                            ;   in Loop: Header=BB14_17 Depth=1
	s_andn2_saveexec_b64 s[78:79], s[78:79]
	s_cbranch_execz .LBB14_2098
; %bb.2093:                             ;   in Loop: Header=BB14_17 Depth=1
	v_cmp_gt_i16_sdwa s[60:61], v7, v16 src0_sel:BYTE_0 src1_sel:DWORD
                                        ; implicit-def: $vgpr66
	s_and_saveexec_b64 s[80:81], s[60:61]
	s_xor_b64 s[60:61], exec, s[80:81]
	s_cbranch_execz .LBB14_2095
; %bb.2094:                             ;   in Loop: Header=BB14_17 Depth=1
	flat_load_sbyte v14, v[14:15]
	s_waitcnt vmcnt(0) lgkmcnt(0)
	v_cvt_f32_i32_e32 v66, v14
                                        ; implicit-def: $vgpr14_vgpr15
.LBB14_2095:                            ;   in Loop: Header=BB14_17 Depth=1
	s_andn2_saveexec_b64 s[80:81], s[60:61]
	s_cbranch_execz .LBB14_2097
; %bb.2096:                             ;   in Loop: Header=BB14_17 Depth=1
	flat_load_ubyte v14, v[14:15]
	s_waitcnt vmcnt(0) lgkmcnt(0)
	v_cvt_f32_ubyte0_e32 v66, v14
.LBB14_2097:                            ;   in Loop: Header=BB14_17 Depth=1
	s_or_b64 exec, exec, s[80:81]
.LBB14_2098:                            ;   in Loop: Header=BB14_17 Depth=1
	s_or_b64 exec, exec, s[78:79]
.LBB14_2099:                            ;   in Loop: Header=BB14_17 Depth=1
	s_or_b64 exec, exec, s[76:77]
	s_andn2_b64 s[68:69], s[68:69], exec
	s_andn2_b64 s[66:67], s[66:67], exec
	s_or_b64 vcc, vcc, exec
	s_or_b64 exec, exec, s[74:75]
	s_mov_b64 s[76:77], 0
	s_and_saveexec_b64 s[74:75], vcc
	s_cbranch_execz .LBB14_2105
.LBB14_2100:                            ;   in Loop: Header=BB14_17 Depth=1
	v_mul_lo_u32 v14, v64, v10
	v_readlane_b32 s60, v44, 0
	v_add_co_u32_e32 v14, vcc, v4, v14
	v_add_u32_e32 v65, s60, v17
	v_addc_co_u32_e32 v15, vcc, 0, v5, vcc
	v_cmp_gt_i16_sdwa s[60:61], v8, v18 src0_sel:BYTE_0 src1_sel:DWORD
	s_mov_b64 s[80:81], 0
	s_waitcnt vmcnt(0) lgkmcnt(0)
	buffer_store_dword v66, v65, s[0:3], 0 offen offset:76
                                        ; implicit-def: $vcc
                                        ; implicit-def: $sgpr78_sgpr79
                                        ; implicit-def: $vgpr64
	s_and_saveexec_b64 s[76:77], s[60:61]
	s_xor_b64 s[76:77], exec, s[76:77]
	s_cbranch_execnz .LBB14_2127
; %bb.2101:                             ;   in Loop: Header=BB14_17 Depth=1
	s_andn2_saveexec_b64 s[76:77], s[76:77]
	s_cbranch_execnz .LBB14_2186
.LBB14_2102:                            ;   in Loop: Header=BB14_17 Depth=1
	s_or_b64 exec, exec, s[76:77]
	s_mov_b64 s[76:77], 0
	s_and_saveexec_b64 s[82:83], s[80:81]
	s_cbranch_execz .LBB14_2104
.LBB14_2103:                            ;   in Loop: Header=BB14_17 Depth=1
	s_mov_b64 s[76:77], exec
	v_add_u32_e32 v55, 0x200, v55
	s_andn2_b64 s[78:79], s[78:79], exec
	s_andn2_b64 vcc, vcc, exec
	s_waitcnt vmcnt(0) lgkmcnt(0)
	buffer_store_dword v64, v65, s[0:3], 0 offen offset:72
.LBB14_2104:                            ;   in Loop: Header=BB14_17 Depth=1
	s_or_b64 exec, exec, s[82:83]
	s_andn2_b64 s[60:61], s[68:69], exec
	s_and_b64 s[62:63], s[78:79], exec
	s_or_b64 s[68:69], s[60:61], s[62:63]
	s_andn2_b64 s[60:61], s[66:67], exec
	s_and_b64 vcc, vcc, exec
	s_or_b64 s[66:67], s[60:61], vcc
	s_and_b64 s[76:77], s[76:77], exec
.LBB14_2105:                            ;   in Loop: Header=BB14_17 Depth=1
	s_or_b64 exec, exec, s[74:75]
	s_and_b64 vcc, s[68:69], exec
	v_writelane_b32 v44, vcc_lo, 8
	v_writelane_b32 v44, vcc_hi, 9
	s_and_b64 s[62:63], s[66:67], exec
	s_orn2_b64 s[66:67], s[76:77], exec
.LBB14_2106:                            ;   in Loop: Header=BB14_17 Depth=1
	s_or_b64 exec, exec, s[70:71]
	s_mov_b64 vcc, exec
	v_writelane_b32 v44, vcc_lo, 6
	v_writelane_b32 v44, vcc_hi, 7
	s_and_b64 vcc, vcc, s[66:67]
	s_mov_b64 exec, vcc
	s_cbranch_execz .LBB14_7
; %bb.2107:                             ;   in Loop: Header=BB14_17 Depth=1
	v_writelane_b32 v44, s62, 10
	v_cmp_lt_i32_e32 vcc, v55, v6
	s_mov_b64 s[78:79], -1
	s_mov_b64 s[66:67], -1
	v_writelane_b32 v44, s63, 11
                                        ; implicit-def: $sgpr62_sgpr63
                                        ; implicit-def: $sgpr60_sgpr61
                                        ; kill: killed $sgpr60_sgpr61
	s_and_saveexec_b64 s[76:77], vcc
	s_cbranch_execz .LBB14_2333
; %bb.2108:                             ;   in Loop: Header=BB14_17 Depth=1
	v_readlane_b32 vcc_lo, v44, 1
	s_waitcnt vmcnt(0) lgkmcnt(0)
	v_add_u32_e32 v65, vcc_lo, v55
	v_mul_lo_u32 v14, v65, v9
	v_add_co_u32_e32 v14, vcc, v2, v14
	v_addc_co_u32_e32 v15, vcc, 0, v3, vcc
	v_cmp_gt_i16_sdwa s[60:61], v7, v18 src0_sel:BYTE_0 src1_sel:DWORD
	s_mov_b64 vcc, 0
                                        ; implicit-def: $sgpr72_sgpr73
                                        ; implicit-def: $sgpr74_sgpr75
                                        ; implicit-def: $vgpr66
	s_and_saveexec_b64 s[62:63], s[60:61]
	s_xor_b64 s[80:81], exec, s[62:63]
	s_cbranch_execnz .LBB14_2227
; %bb.2109:                             ;   in Loop: Header=BB14_17 Depth=1
	s_andn2_saveexec_b64 s[80:81], s[80:81]
	s_cbranch_execnz .LBB14_2286
.LBB14_2110:                            ;   in Loop: Header=BB14_17 Depth=1
	s_or_b64 exec, exec, s[80:81]
	s_mov_b64 s[66:67], 0
	s_and_saveexec_b64 s[80:81], vcc
	s_cbranch_execnz .LBB14_2327
	s_branch .LBB14_2332
.LBB14_2111:                            ;   in Loop: Header=BB14_17 Depth=1
	s_movk_i32 vcc_lo, 0x80
	v_cmp_eq_u16_e32 vcc, vcc_lo, v14
	s_mov_b64 s[62:63], -1
                                        ; implicit-def: $sgpr68
	s_and_saveexec_b64 s[66:67], vcc
; %bb.2112:                             ;   in Loop: Header=BB14_17 Depth=1
	s_mov_b32 s68, 0x7f800001
	s_xor_b64 s[62:63], exec, -1
; %bb.2113:                             ;   in Loop: Header=BB14_17 Depth=1
	s_or_b64 exec, exec, s[66:67]
	s_and_b64 s[62:63], s[62:63], exec
	s_or_saveexec_b64 s[64:65], s[64:65]
	v_mov_b32_e32 v64, s68
	s_xor_b64 exec, exec, s[64:65]
	s_cbranch_execz .LBB14_1030
.LBB14_2114:                            ;   in Loop: Header=BB14_17 Depth=1
	v_cmp_ne_u16_e32 vcc, 0, v14
	s_andn2_b64 s[62:63], s[62:63], exec
	s_and_b64 vcc, vcc, exec
	v_mov_b32_e32 v64, 0
	s_or_b64 s[62:63], s[62:63], vcc
	s_or_b64 exec, exec, s[64:65]
	s_and_saveexec_b64 s[64:65], s[62:63]
	s_cbranch_execnz .LBB14_1031
	s_branch .LBB14_1032
.LBB14_2115:                            ;   in Loop: Header=BB14_17 Depth=1
	s_movk_i32 vcc_lo, 0x80
	v_cmp_eq_u16_e32 vcc, vcc_lo, v14
	s_mov_b64 s[62:63], -1
                                        ; implicit-def: $sgpr68
	s_and_saveexec_b64 s[66:67], vcc
; %bb.2116:                             ;   in Loop: Header=BB14_17 Depth=1
	s_mov_b32 s68, 0x7f800001
	s_xor_b64 s[62:63], exec, -1
; %bb.2117:                             ;   in Loop: Header=BB14_17 Depth=1
	s_or_b64 exec, exec, s[66:67]
	s_and_b64 s[62:63], s[62:63], exec
	s_or_saveexec_b64 s[64:65], s[64:65]
	v_mov_b32_e32 v66, s68
	s_xor_b64 exec, exec, s[64:65]
	s_cbranch_execz .LBB14_1130
.LBB14_2118:                            ;   in Loop: Header=BB14_17 Depth=1
	v_cmp_ne_u16_e32 vcc, 0, v14
	s_andn2_b64 s[62:63], s[62:63], exec
	s_and_b64 vcc, vcc, exec
	v_mov_b32_e32 v66, 0
	s_or_b64 s[62:63], s[62:63], vcc
	s_or_b64 exec, exec, s[64:65]
	s_and_saveexec_b64 s[64:65], s[62:63]
	s_cbranch_execnz .LBB14_1131
	s_branch .LBB14_1132
.LBB14_2119:                            ;   in Loop: Header=BB14_17 Depth=1
	s_movk_i32 vcc_lo, 0x80
	v_cmp_eq_u16_e32 vcc, vcc_lo, v14
	s_mov_b64 s[66:67], -1
                                        ; implicit-def: $sgpr72
	s_and_saveexec_b64 s[70:71], vcc
; %bb.2120:                             ;   in Loop: Header=BB14_17 Depth=1
	s_mov_b32 s72, 0x7f800001
	s_xor_b64 s[66:67], exec, -1
; %bb.2121:                             ;   in Loop: Header=BB14_17 Depth=1
	s_or_b64 exec, exec, s[70:71]
	s_and_b64 s[66:67], s[66:67], exec
	s_or_saveexec_b64 s[68:69], s[68:69]
	v_mov_b32_e32 v64, s72
	s_xor_b64 exec, exec, s[68:69]
	s_cbranch_execz .LBB14_1246
.LBB14_2122:                            ;   in Loop: Header=BB14_17 Depth=1
	v_cmp_ne_u16_e32 vcc, 0, v14
	s_andn2_b64 s[66:67], s[66:67], exec
	s_and_b64 vcc, vcc, exec
	v_mov_b32_e32 v64, 0
	s_or_b64 s[66:67], s[66:67], vcc
	s_or_b64 exec, exec, s[68:69]
	s_and_saveexec_b64 s[68:69], s[66:67]
	s_cbranch_execnz .LBB14_1247
	s_branch .LBB14_1248
.LBB14_2123:                            ;   in Loop: Header=BB14_17 Depth=1
	s_movk_i32 vcc_lo, 0x80
	v_cmp_eq_u16_e32 vcc, vcc_lo, v14
	s_mov_b64 s[66:67], -1
                                        ; implicit-def: $sgpr72
	s_and_saveexec_b64 s[70:71], vcc
; %bb.2124:                             ;   in Loop: Header=BB14_17 Depth=1
	s_mov_b32 s72, 0x7f800001
	s_xor_b64 s[66:67], exec, -1
; %bb.2125:                             ;   in Loop: Header=BB14_17 Depth=1
	s_or_b64 exec, exec, s[70:71]
	s_and_b64 s[66:67], s[66:67], exec
	s_or_saveexec_b64 s[68:69], s[68:69]
	v_mov_b32_e32 v66, s72
	s_xor_b64 exec, exec, s[68:69]
	s_cbranch_execz .LBB14_1346
.LBB14_2126:                            ;   in Loop: Header=BB14_17 Depth=1
	v_cmp_ne_u16_e32 vcc, 0, v14
	s_andn2_b64 s[66:67], s[66:67], exec
	s_and_b64 vcc, vcc, exec
	v_mov_b32_e32 v66, 0
	s_or_b64 s[66:67], s[66:67], vcc
	s_or_b64 exec, exec, s[68:69]
	s_and_saveexec_b64 s[68:69], s[66:67]
	s_cbranch_execnz .LBB14_1347
	s_branch .LBB14_1348
.LBB14_2127:                            ;   in Loop: Header=BB14_17 Depth=1
	v_cmp_gt_i16_sdwa vcc, v8, v19 src0_sel:BYTE_0 src1_sel:DWORD
                                        ; implicit-def: $sgpr82_sgpr83
                                        ; implicit-def: $sgpr84_sgpr85
                                        ; implicit-def: $vgpr64
	s_and_saveexec_b64 s[60:61], vcc
	s_xor_b64 s[78:79], exec, s[60:61]
	s_cbranch_execz .LBB14_2159
; %bb.2128:                             ;   in Loop: Header=BB14_17 Depth=1
	v_cmp_gt_i16_sdwa vcc, v8, v20 src0_sel:BYTE_0 src1_sel:DWORD
                                        ; implicit-def: $sgpr82_sgpr83
                                        ; implicit-def: $sgpr86_sgpr87
                                        ; implicit-def: $vgpr64
	s_and_saveexec_b64 s[60:61], vcc
	s_xor_b64 s[84:85], exec, s[60:61]
	s_cbranch_execz .LBB14_2144
; %bb.2129:                             ;   in Loop: Header=BB14_17 Depth=1
	v_cmp_gt_i16_sdwa s[60:61], v8, v21 src0_sel:BYTE_0 src1_sel:DWORD
	s_mov_b64 s[88:89], 0
                                        ; implicit-def: $vcc
                                        ; implicit-def: $sgpr86_sgpr87
                                        ; implicit-def: $vgpr64
	s_and_saveexec_b64 s[80:81], s[60:61]
	s_xor_b64 s[80:81], exec, s[80:81]
	s_cbranch_execz .LBB14_2139
; %bb.2130:                             ;   in Loop: Header=BB14_17 Depth=1
	v_cmp_gt_i16_sdwa vcc, v8, v22 src0_sel:BYTE_0 src1_sel:DWORD
                                        ; implicit-def: $sgpr86_sgpr87
                                        ; implicit-def: $sgpr82_sgpr83
                                        ; implicit-def: $vgpr64
	s_and_saveexec_b64 s[60:61], vcc
	s_xor_b64 vcc, exec, s[60:61]
	s_cbranch_execz .LBB14_2134
; %bb.2131:                             ;   in Loop: Header=BB14_17 Depth=1
	v_cmp_eq_u16_sdwa s[60:61], v8, v23 src0_sel:BYTE_0 src1_sel:DWORD
	s_mov_b64 s[82:83], 0
                                        ; implicit-def: $vgpr64
	s_and_saveexec_b64 s[86:87], s[60:61]
	s_cbranch_execz .LBB14_2133
; %bb.2132:                             ;   in Loop: Header=BB14_17 Depth=1
	flat_load_dword v14, v[14:15]
	s_mov_b64 s[88:89], exec
	s_waitcnt vmcnt(0) lgkmcnt(0)
	v_lshlrev_b32_e32 v64, 16, v14
.LBB14_2133:                            ;   in Loop: Header=BB14_17 Depth=1
	s_or_b64 exec, exec, s[86:87]
	s_mov_b64 s[86:87], -1
	s_and_b64 s[88:89], s[88:89], exec
                                        ; implicit-def: $vgpr14_vgpr15
.LBB14_2134:                            ;   in Loop: Header=BB14_17 Depth=1
	s_andn2_saveexec_b64 s[90:91], vcc
	s_cbranch_execz .LBB14_2138
; %bb.2135:                             ;   in Loop: Header=BB14_17 Depth=1
	v_cmp_eq_u16_sdwa s[60:61], v8, v24 src0_sel:BYTE_0 src1_sel:DWORD
	s_mov_b64 vcc, s[88:89]
                                        ; implicit-def: $vgpr64
	s_and_saveexec_b64 s[92:93], s[60:61]
	s_cbranch_execz .LBB14_2137
; %bb.2136:                             ;   in Loop: Header=BB14_17 Depth=1
	flat_load_ubyte v14, v[14:15]
	s_movk_i32 vcc_lo, 0xff
	s_waitcnt vmcnt(0) lgkmcnt(0)
	v_lshlrev_b32_e32 v15, 23, v14
	v_cmp_ne_u32_e32 vcc, vcc_lo, v14
	v_cndmask_b32_e32 v15, v25, v15, vcc
	v_cmp_ne_u32_e32 vcc, 0, v14
	v_cndmask_b32_e32 v64, v26, v15, vcc
	s_or_b64 vcc, s[88:89], exec
.LBB14_2137:                            ;   in Loop: Header=BB14_17 Depth=1
	s_or_b64 exec, exec, s[92:93]
	s_andn2_b64 s[60:61], s[88:89], exec
	s_and_b64 vcc, vcc, exec
	s_or_b64 s[86:87], s[86:87], exec
	s_andn2_b64 s[82:83], s[82:83], exec
	s_or_b64 s[88:89], s[60:61], vcc
.LBB14_2138:                            ;   in Loop: Header=BB14_17 Depth=1
	s_or_b64 exec, exec, s[90:91]
	s_and_b64 s[86:87], s[86:87], exec
	s_and_b64 vcc, s[82:83], exec
	s_and_b64 s[88:89], s[88:89], exec
                                        ; implicit-def: $vgpr14_vgpr15
.LBB14_2139:                            ;   in Loop: Header=BB14_17 Depth=1
	s_andn2_saveexec_b64 s[80:81], s[80:81]
	s_cbranch_execz .LBB14_2143
; %bb.2140:                             ;   in Loop: Header=BB14_17 Depth=1
	v_cmp_eq_u16_sdwa s[60:61], v8, v27 src0_sel:BYTE_0 src1_sel:DWORD
	s_mov_b64 s[90:91], s[88:89]
                                        ; implicit-def: $vgpr64
	s_and_saveexec_b64 s[82:83], s[60:61]
	s_cbranch_execz .LBB14_2142
; %bb.2141:                             ;   in Loop: Header=BB14_17 Depth=1
	flat_load_dwordx2 v[14:15], v[14:15]
	s_or_b64 s[90:91], s[88:89], exec
	s_waitcnt vmcnt(0) lgkmcnt(0)
	v_ffbh_u32_e32 v64, v15
	v_min_u32_e32 v64, 32, v64
	v_lshlrev_b64 v[14:15], v64, v[14:15]
	v_min_u32_e32 v14, 1, v14
	v_or_b32_e32 v14, v15, v14
	v_cvt_f32_u32_e32 v14, v14
	v_sub_u32_e32 v15, 32, v64
	v_ldexp_f32 v64, v14, v15
.LBB14_2142:                            ;   in Loop: Header=BB14_17 Depth=1
	s_or_b64 exec, exec, s[82:83]
	s_andn2_b64 s[60:61], s[88:89], exec
	s_and_b64 s[82:83], s[90:91], exec
	s_or_b64 s[86:87], s[86:87], exec
	s_andn2_b64 vcc, vcc, exec
	s_or_b64 s[88:89], s[60:61], s[82:83]
.LBB14_2143:                            ;   in Loop: Header=BB14_17 Depth=1
	s_or_b64 exec, exec, s[80:81]
	s_and_b64 s[86:87], s[86:87], exec
	s_and_b64 s[82:83], vcc, exec
	s_and_b64 s[80:81], s[88:89], exec
                                        ; implicit-def: $vgpr14_vgpr15
.LBB14_2144:                            ;   in Loop: Header=BB14_17 Depth=1
	s_andn2_saveexec_b64 s[84:85], s[84:85]
	s_cbranch_execz .LBB14_2158
; %bb.2145:                             ;   in Loop: Header=BB14_17 Depth=1
	v_cmp_gt_i16_sdwa vcc, v8, v28 src0_sel:BYTE_0 src1_sel:DWORD
                                        ; implicit-def: $vgpr64
	s_and_saveexec_b64 s[60:61], vcc
	s_xor_b64 vcc, exec, s[60:61]
	s_cbranch_execz .LBB14_2151
; %bb.2146:                             ;   in Loop: Header=BB14_17 Depth=1
	v_cmp_gt_i16_sdwa s[60:61], v8, v29 src0_sel:BYTE_0 src1_sel:DWORD
                                        ; implicit-def: $vgpr64
	s_and_saveexec_b64 s[88:89], s[60:61]
	s_xor_b64 s[60:61], exec, s[88:89]
	s_cbranch_execz .LBB14_2148
; %bb.2147:                             ;   in Loop: Header=BB14_17 Depth=1
	flat_load_dword v14, v[14:15]
	s_waitcnt vmcnt(0) lgkmcnt(0)
	v_cvt_f32_u32_e32 v64, v14
                                        ; implicit-def: $vgpr14_vgpr15
.LBB14_2148:                            ;   in Loop: Header=BB14_17 Depth=1
	s_andn2_saveexec_b64 s[60:61], s[60:61]
	s_cbranch_execz .LBB14_2150
; %bb.2149:                             ;   in Loop: Header=BB14_17 Depth=1
	flat_load_ushort v14, v[14:15]
	s_waitcnt vmcnt(0) lgkmcnt(0)
	v_cvt_f32_u32_e32 v64, v14
.LBB14_2150:                            ;   in Loop: Header=BB14_17 Depth=1
	s_or_b64 exec, exec, s[60:61]
                                        ; implicit-def: $vgpr14_vgpr15
.LBB14_2151:                            ;   in Loop: Header=BB14_17 Depth=1
	s_andn2_saveexec_b64 s[88:89], vcc
	s_cbranch_execz .LBB14_2157
; %bb.2152:                             ;   in Loop: Header=BB14_17 Depth=1
	flat_load_ubyte v14, v[14:15]
	s_movk_i32 vcc_lo, 0x7f
	s_mov_b64 s[90:91], 0
                                        ; implicit-def: $sgpr94
	s_waitcnt vmcnt(0) lgkmcnt(0)
	v_cmp_lt_i16_e32 vcc, vcc_lo, v14
	s_and_saveexec_b64 s[60:61], vcc
	s_xor_b64 s[92:93], exec, s[60:61]
	s_cbranch_execnz .LBB14_3127
; %bb.2153:                             ;   in Loop: Header=BB14_17 Depth=1
	s_or_saveexec_b64 s[92:93], s[92:93]
	v_mov_b32_e32 v64, s94
	s_xor_b64 exec, exec, s[92:93]
	s_cbranch_execnz .LBB14_3130
.LBB14_2154:                            ;   in Loop: Header=BB14_17 Depth=1
	s_or_b64 exec, exec, s[92:93]
	s_and_saveexec_b64 s[92:93], s[90:91]
	s_cbranch_execz .LBB14_2156
.LBB14_2155:                            ;   in Loop: Header=BB14_17 Depth=1
	v_lshlrev_b32_e32 v15, 24, v14
	v_and_b32_e32 v14, 0xffff, v14
	v_and_b32_e32 v64, 7, v14
	v_ffbh_u32_e32 v67, v64
	v_min_u32_e32 v67, 32, v67
	v_subrev_u32_e32 v68, 28, v67
	v_bfe_u32 v66, v14, 3, 4
	v_lshlrev_b32_e32 v14, v68, v14
	v_sub_u32_e32 v67, 29, v67
	v_and_b32_e32 v14, 7, v14
	v_cmp_eq_u32_e32 vcc, 0, v66
	v_cndmask_b32_e32 v66, v66, v67, vcc
	v_cndmask_b32_e32 v14, v64, v14, vcc
	v_lshlrev_b32_e32 v14, 20, v14
	v_and_b32_e32 v15, 0x80000000, v15
	v_lshl_add_u32 v64, v66, 23, v30
	v_or3_b32 v64, v15, v64, v14
.LBB14_2156:                            ;   in Loop: Header=BB14_17 Depth=1
	s_or_b64 exec, exec, s[92:93]
.LBB14_2157:                            ;   in Loop: Header=BB14_17 Depth=1
	s_or_b64 exec, exec, s[88:89]
	s_andn2_b64 s[86:87], s[86:87], exec
	s_andn2_b64 s[82:83], s[82:83], exec
	s_or_b64 s[80:81], s[80:81], exec
.LBB14_2158:                            ;   in Loop: Header=BB14_17 Depth=1
	s_or_b64 exec, exec, s[84:85]
	s_and_b64 s[84:85], s[86:87], exec
	s_and_b64 s[82:83], s[82:83], exec
	;; [unrolled: 1-line block ×3, first 2 shown]
                                        ; implicit-def: $vgpr14_vgpr15
.LBB14_2159:                            ;   in Loop: Header=BB14_17 Depth=1
	s_andn2_saveexec_b64 s[78:79], s[78:79]
	s_cbranch_execz .LBB14_2185
; %bb.2160:                             ;   in Loop: Header=BB14_17 Depth=1
	v_cmp_gt_i16_sdwa vcc, v8, v31 src0_sel:BYTE_0 src1_sel:DWORD
	s_mov_b64 s[88:89], s[80:81]
                                        ; implicit-def: $vgpr64
	s_and_saveexec_b64 s[60:61], vcc
	s_xor_b64 s[86:87], exec, s[60:61]
	s_cbranch_execz .LBB14_2174
; %bb.2161:                             ;   in Loop: Header=BB14_17 Depth=1
	v_cmp_gt_i16_sdwa vcc, v8, v32 src0_sel:BYTE_0 src1_sel:DWORD
                                        ; implicit-def: $vgpr64
	s_and_saveexec_b64 s[60:61], vcc
	s_xor_b64 s[88:89], exec, s[60:61]
	s_cbranch_execz .LBB14_2171
; %bb.2162:                             ;   in Loop: Header=BB14_17 Depth=1
	v_cmp_gt_i16_sdwa vcc, v8, v33 src0_sel:BYTE_0 src1_sel:DWORD
                                        ; implicit-def: $vgpr64
	s_and_saveexec_b64 s[60:61], vcc
	s_xor_b64 s[90:91], exec, s[60:61]
	s_cbranch_execz .LBB14_2168
; %bb.2163:                             ;   in Loop: Header=BB14_17 Depth=1
	flat_load_ubyte v14, v[14:15]
	s_movk_i32 vcc_lo, 0x7f
	s_mov_b64 s[92:93], 0
                                        ; implicit-def: $sgpr96
	s_waitcnt vmcnt(0) lgkmcnt(0)
	v_cmp_lt_i16_e32 vcc, vcc_lo, v14
	s_and_saveexec_b64 s[60:61], vcc
	s_xor_b64 s[94:95], exec, s[60:61]
	s_cbranch_execnz .LBB14_3346
; %bb.2164:                             ;   in Loop: Header=BB14_17 Depth=1
	s_or_saveexec_b64 s[94:95], s[94:95]
	v_mov_b32_e32 v64, s96
	s_xor_b64 exec, exec, s[94:95]
	s_cbranch_execnz .LBB14_3349
.LBB14_2165:                            ;   in Loop: Header=BB14_17 Depth=1
	s_or_b64 exec, exec, s[94:95]
	s_and_saveexec_b64 s[94:95], s[92:93]
	s_cbranch_execz .LBB14_2167
.LBB14_2166:                            ;   in Loop: Header=BB14_17 Depth=1
	v_lshlrev_b32_e32 v15, 24, v14
	v_and_b32_e32 v14, 0xffff, v14
	v_and_b32_e32 v64, 3, v14
	v_ffbh_u32_e32 v67, v64
	v_min_u32_e32 v67, 32, v67
	v_subrev_u32_e32 v68, 29, v67
	v_bfe_u32 v66, v14, 2, 5
	v_lshlrev_b32_e32 v14, v68, v14
	v_sub_u32_e32 v67, 30, v67
	v_and_b32_e32 v14, 3, v14
	v_cmp_eq_u32_e32 vcc, 0, v66
	v_cndmask_b32_e32 v66, v66, v67, vcc
	v_cndmask_b32_e32 v14, v64, v14, vcc
	v_lshlrev_b32_e32 v14, 21, v14
	v_and_b32_e32 v15, 0x80000000, v15
	v_lshl_add_u32 v64, v66, 23, v34
	v_or3_b32 v64, v15, v64, v14
.LBB14_2167:                            ;   in Loop: Header=BB14_17 Depth=1
	s_or_b64 exec, exec, s[94:95]
                                        ; implicit-def: $vgpr14_vgpr15
.LBB14_2168:                            ;   in Loop: Header=BB14_17 Depth=1
	s_andn2_saveexec_b64 s[90:91], s[90:91]
	s_cbranch_execz .LBB14_2170
; %bb.2169:                             ;   in Loop: Header=BB14_17 Depth=1
	flat_load_ubyte v14, v[14:15]
	s_mov_b32 vcc_lo, 0x7f800000
	s_waitcnt vmcnt(0) lgkmcnt(0)
	v_lshlrev_b32_e32 v14, 24, v14
	v_and_b32_e32 v15, 0x7f000000, v14
	v_ffbh_u32_e32 v64, v15
	v_min_u32_e32 v64, 32, v64
	v_sub_u32_e64 v64, v64, 4 clamp
	v_lshlrev_b32_e32 v67, v64, v15
	v_lshlrev_b32_e32 v64, 23, v64
	v_lshrrev_b32_e32 v67, 4, v67
	v_add_u32_e32 v66, 0x1000000, v15
	v_sub_u32_e32 v64, v67, v64
	v_ashrrev_i32_e32 v66, 8, v66
	v_add_u32_e32 v64, 0x3c000000, v64
	v_and_or_b32 v64, v66, vcc_lo, v64
	v_cmp_ne_u32_e32 vcc, 0, v15
	v_cndmask_b32_e32 v15, 0, v64, vcc
	s_brev_b32 vcc_lo, 1
	v_and_or_b32 v64, v14, vcc_lo, v15
.LBB14_2170:                            ;   in Loop: Header=BB14_17 Depth=1
	s_or_b64 exec, exec, s[90:91]
                                        ; implicit-def: $vgpr14_vgpr15
.LBB14_2171:                            ;   in Loop: Header=BB14_17 Depth=1
	s_andn2_saveexec_b64 s[88:89], s[88:89]
	s_cbranch_execz .LBB14_2173
; %bb.2172:                             ;   in Loop: Header=BB14_17 Depth=1
	flat_load_ubyte v14, v[14:15]
	s_movk_i32 vcc_lo, 0x7f00
	s_waitcnt vmcnt(0) lgkmcnt(0)
	v_lshlrev_b16_e32 v15, 8, v14
	v_lshlrev_b32_e32 v14, 25, v14
	v_lshrrev_b32_e32 v64, 4, v14
	v_and_or_b32 v66, v15, vcc_lo, 0.5
	v_or_b32_e32 v64, 0x70000000, v64
	s_brev_b32 vcc_lo, 16
	v_add_f32_e32 v66, -0.5, v66
	v_mul_f32_e32 v64, 0x7800000, v64
	v_cmp_gt_u32_e32 vcc, vcc_lo, v14
	v_cndmask_b32_e32 v14, v64, v66, vcc
	v_bfe_i32 v15, v15, 0, 16
	s_brev_b32 vcc_lo, 1
	v_and_or_b32 v64, v15, vcc_lo, v14
.LBB14_2173:                            ;   in Loop: Header=BB14_17 Depth=1
	s_or_b64 exec, exec, s[88:89]
	s_or_b64 s[88:89], s[80:81], exec
                                        ; implicit-def: $vgpr14_vgpr15
.LBB14_2174:                            ;   in Loop: Header=BB14_17 Depth=1
	s_or_saveexec_b64 s[86:87], s[86:87]
                                        ; implicit-def: $vcc
                                        ; implicit-def: $sgpr94_sgpr95
	s_xor_b64 exec, exec, s[86:87]
	s_cbranch_execz .LBB14_2184
; %bb.2175:                             ;   in Loop: Header=BB14_17 Depth=1
	v_cmp_gt_i16_sdwa vcc, v8, v35 src0_sel:BYTE_0 src1_sel:DWORD
	s_mov_b64 s[92:93], s[88:89]
                                        ; implicit-def: $sgpr94_sgpr95
                                        ; implicit-def: $sgpr90_sgpr91
                                        ; implicit-def: $vgpr64
	s_and_saveexec_b64 s[60:61], vcc
	s_xor_b64 vcc, exec, s[60:61]
	s_cbranch_execz .LBB14_2179
; %bb.2176:                             ;   in Loop: Header=BB14_17 Depth=1
	v_cmp_eq_u16_sdwa s[90:91], v8, v36 src0_sel:BYTE_0 src1_sel:DWORD
	s_mov_b64 s[92:93], s[88:89]
                                        ; implicit-def: $vgpr64
	s_and_saveexec_b64 s[60:61], s[90:91]
	s_cbranch_execz .LBB14_2178
; %bb.2177:                             ;   in Loop: Header=BB14_17 Depth=1
	flat_load_ushort v14, v[14:15]
	s_or_b64 s[92:93], s[88:89], exec
	s_waitcnt vmcnt(0) lgkmcnt(0)
	v_lshlrev_b32_e32 v64, 16, v14
.LBB14_2178:                            ;   in Loop: Header=BB14_17 Depth=1
	s_or_b64 exec, exec, s[60:61]
	s_andn2_b64 s[60:61], s[88:89], exec
	s_and_b64 s[92:93], s[92:93], exec
	s_mov_b64 s[90:91], 0
	s_mov_b64 s[94:95], -1
	s_or_b64 s[92:93], s[60:61], s[92:93]
                                        ; implicit-def: $vgpr14_vgpr15
.LBB14_2179:                            ;   in Loop: Header=BB14_17 Depth=1
	s_andn2_saveexec_b64 s[96:97], vcc
	s_cbranch_execz .LBB14_2183
; %bb.2180:                             ;   in Loop: Header=BB14_17 Depth=1
	v_cmp_eq_u16_sdwa s[62:63], v8, v37 src0_sel:BYTE_0 src1_sel:DWORD
	s_mov_b64 vcc, s[92:93]
                                        ; implicit-def: $vgpr64
	s_and_saveexec_b64 s[60:61], s[62:63]
	s_cbranch_execz .LBB14_2182
; %bb.2181:                             ;   in Loop: Header=BB14_17 Depth=1
	flat_load_ubyte v14, v[14:15]
	s_waitcnt vmcnt(0) lgkmcnt(0)
	v_cmp_ne_u16_e32 vcc, 0, v14
	v_cndmask_b32_e64 v64, 0, 1.0, vcc
	s_or_b64 vcc, s[92:93], exec
.LBB14_2182:                            ;   in Loop: Header=BB14_17 Depth=1
	s_or_b64 exec, exec, s[60:61]
	s_andn2_b64 s[60:61], s[92:93], exec
	s_and_b64 vcc, vcc, exec
	s_or_b64 s[94:95], s[94:95], exec
	s_andn2_b64 s[90:91], s[90:91], exec
	s_or_b64 s[92:93], s[60:61], vcc
.LBB14_2183:                            ;   in Loop: Header=BB14_17 Depth=1
	s_or_b64 exec, exec, s[96:97]
	s_andn2_b64 s[60:61], s[88:89], exec
	s_and_b64 s[62:63], s[92:93], exec
	s_and_b64 s[94:95], s[94:95], exec
	s_and_b64 vcc, s[90:91], exec
	s_or_b64 s[88:89], s[60:61], s[62:63]
.LBB14_2184:                            ;   in Loop: Header=BB14_17 Depth=1
	s_or_b64 exec, exec, s[86:87]
	s_andn2_b64 s[60:61], s[84:85], exec
	s_and_b64 s[84:85], s[94:95], exec
	s_or_b64 s[84:85], s[60:61], s[84:85]
	s_andn2_b64 s[60:61], s[82:83], exec
	s_and_b64 vcc, vcc, exec
	s_or_b64 s[82:83], s[60:61], vcc
	s_andn2_b64 vcc, s[80:81], exec
	s_and_b64 s[60:61], s[88:89], exec
	s_or_b64 s[80:81], vcc, s[60:61]
.LBB14_2185:                            ;   in Loop: Header=BB14_17 Depth=1
	s_or_b64 exec, exec, s[78:79]
	s_and_b64 s[78:79], s[84:85], exec
	s_and_b64 vcc, s[82:83], exec
	s_and_b64 s[80:81], s[80:81], exec
                                        ; implicit-def: $vgpr14_vgpr15
	s_andn2_saveexec_b64 s[76:77], s[76:77]
	s_cbranch_execz .LBB14_2102
.LBB14_2186:                            ;   in Loop: Header=BB14_17 Depth=1
	v_cmp_gt_i16_sdwa s[60:61], v8, v38 src0_sel:BYTE_0 src1_sel:DWORD
                                        ; implicit-def: $vgpr64
	s_and_saveexec_b64 s[62:63], s[60:61]
	s_xor_b64 s[82:83], exec, s[62:63]
	s_cbranch_execz .LBB14_2208
; %bb.2187:                             ;   in Loop: Header=BB14_17 Depth=1
	v_cmp_gt_i16_sdwa s[60:61], v8, v39 src0_sel:BYTE_0 src1_sel:DWORD
                                        ; implicit-def: $vgpr64
	s_and_saveexec_b64 s[62:63], s[60:61]
	s_xor_b64 s[84:85], exec, s[62:63]
	s_cbranch_execz .LBB14_2197
; %bb.2188:                             ;   in Loop: Header=BB14_17 Depth=1
	;; [unrolled: 6-line block ×4, first 2 shown]
	flat_load_dwordx2 v[14:15], v[14:15]
	s_waitcnt vmcnt(0) lgkmcnt(0)
	v_cvt_f32_f64_e32 v64, v[14:15]
                                        ; implicit-def: $vgpr14_vgpr15
.LBB14_2191:                            ;   in Loop: Header=BB14_17 Depth=1
	s_andn2_saveexec_b64 s[60:61], s[60:61]
	s_cbranch_execz .LBB14_2193
; %bb.2192:                             ;   in Loop: Header=BB14_17 Depth=1
	flat_load_dword v64, v[14:15]
.LBB14_2193:                            ;   in Loop: Header=BB14_17 Depth=1
	s_or_b64 exec, exec, s[60:61]
                                        ; implicit-def: $vgpr14_vgpr15
.LBB14_2194:                            ;   in Loop: Header=BB14_17 Depth=1
	s_andn2_saveexec_b64 s[60:61], s[86:87]
	s_cbranch_execz .LBB14_2196
; %bb.2195:                             ;   in Loop: Header=BB14_17 Depth=1
	flat_load_dword v14, v[14:15]
	s_waitcnt vmcnt(0) lgkmcnt(0)
	v_cvt_f32_f16_e32 v64, v14
.LBB14_2196:                            ;   in Loop: Header=BB14_17 Depth=1
	s_or_b64 exec, exec, s[60:61]
                                        ; implicit-def: $vgpr14_vgpr15
.LBB14_2197:                            ;   in Loop: Header=BB14_17 Depth=1
	s_andn2_saveexec_b64 s[84:85], s[84:85]
	s_cbranch_execz .LBB14_2207
; %bb.2198:                             ;   in Loop: Header=BB14_17 Depth=1
	v_cmp_gt_i16_sdwa s[60:61], v8, v50 src0_sel:BYTE_0 src1_sel:DWORD
                                        ; implicit-def: $vgpr64
	s_and_saveexec_b64 s[62:63], s[60:61]
	s_xor_b64 s[86:87], exec, s[62:63]
	s_cbranch_execz .LBB14_2204
; %bb.2199:                             ;   in Loop: Header=BB14_17 Depth=1
	v_cmp_gt_i16_sdwa s[60:61], v8, v51 src0_sel:BYTE_0 src1_sel:DWORD
                                        ; implicit-def: $vgpr64
	s_and_saveexec_b64 s[62:63], s[60:61]
	s_xor_b64 s[60:61], exec, s[62:63]
	s_cbranch_execz .LBB14_2201
; %bb.2200:                             ;   in Loop: Header=BB14_17 Depth=1
	flat_load_dwordx2 v[14:15], v[14:15]
	s_waitcnt vmcnt(0) lgkmcnt(0)
	v_cvt_f32_f64_e32 v64, v[14:15]
                                        ; implicit-def: $vgpr14_vgpr15
.LBB14_2201:                            ;   in Loop: Header=BB14_17 Depth=1
	s_andn2_saveexec_b64 s[60:61], s[60:61]
	s_cbranch_execz .LBB14_2203
; %bb.2202:                             ;   in Loop: Header=BB14_17 Depth=1
	s_waitcnt vmcnt(0) lgkmcnt(0)
	flat_load_dword v64, v[14:15]
.LBB14_2203:                            ;   in Loop: Header=BB14_17 Depth=1
	s_or_b64 exec, exec, s[60:61]
                                        ; implicit-def: $vgpr14_vgpr15
.LBB14_2204:                            ;   in Loop: Header=BB14_17 Depth=1
	s_andn2_saveexec_b64 s[60:61], s[86:87]
	s_cbranch_execz .LBB14_2206
; %bb.2205:                             ;   in Loop: Header=BB14_17 Depth=1
	flat_load_ushort v14, v[14:15]
	s_waitcnt vmcnt(0) lgkmcnt(0)
	v_cvt_f32_f16_e32 v64, v14
.LBB14_2206:                            ;   in Loop: Header=BB14_17 Depth=1
	s_or_b64 exec, exec, s[60:61]
.LBB14_2207:                            ;   in Loop: Header=BB14_17 Depth=1
	s_or_b64 exec, exec, s[84:85]
                                        ; implicit-def: $vgpr14_vgpr15
.LBB14_2208:                            ;   in Loop: Header=BB14_17 Depth=1
	s_andn2_saveexec_b64 s[82:83], s[82:83]
	s_cbranch_execz .LBB14_2226
; %bb.2209:                             ;   in Loop: Header=BB14_17 Depth=1
	v_cmp_gt_i16_sdwa s[60:61], v8, v52 src0_sel:BYTE_0 src1_sel:DWORD
                                        ; implicit-def: $vgpr64
	s_and_saveexec_b64 s[62:63], s[60:61]
	s_xor_b64 s[84:85], exec, s[62:63]
	s_cbranch_execz .LBB14_2219
; %bb.2210:                             ;   in Loop: Header=BB14_17 Depth=1
	v_cmp_gt_i16_sdwa s[60:61], v8, v53 src0_sel:BYTE_0 src1_sel:DWORD
                                        ; implicit-def: $vgpr64
	s_and_saveexec_b64 s[62:63], s[60:61]
	s_xor_b64 s[86:87], exec, s[62:63]
	;; [unrolled: 6-line block ×3, first 2 shown]
	s_cbranch_execz .LBB14_2213
; %bb.2212:                             ;   in Loop: Header=BB14_17 Depth=1
	flat_load_dwordx2 v[14:15], v[14:15]
	s_waitcnt vmcnt(0) lgkmcnt(0)
	v_xor_b32_e32 v66, v14, v15
	v_ffbh_i32_e32 v64, v15
	v_ashrrev_i32_e32 v66, 31, v66
	v_add_u32_e32 v64, -1, v64
	v_add_u32_e32 v66, 32, v66
	v_min_u32_e32 v64, v64, v66
	v_lshlrev_b64 v[14:15], v64, v[14:15]
	v_min_u32_e32 v14, 1, v14
	v_or_b32_e32 v14, v15, v14
	v_cvt_f32_i32_e32 v14, v14
	v_sub_u32_e32 v15, 32, v64
	v_ldexp_f32 v64, v14, v15
                                        ; implicit-def: $vgpr14_vgpr15
.LBB14_2213:                            ;   in Loop: Header=BB14_17 Depth=1
	s_andn2_saveexec_b64 s[60:61], s[88:89]
	s_cbranch_execz .LBB14_2215
; %bb.2214:                             ;   in Loop: Header=BB14_17 Depth=1
	flat_load_dword v14, v[14:15]
	s_waitcnt vmcnt(0) lgkmcnt(0)
	v_cvt_f32_i32_e32 v64, v14
.LBB14_2215:                            ;   in Loop: Header=BB14_17 Depth=1
	s_or_b64 exec, exec, s[60:61]
                                        ; implicit-def: $vgpr14_vgpr15
.LBB14_2216:                            ;   in Loop: Header=BB14_17 Depth=1
	s_andn2_saveexec_b64 s[60:61], s[86:87]
	s_cbranch_execz .LBB14_2218
; %bb.2217:                             ;   in Loop: Header=BB14_17 Depth=1
	flat_load_sshort v14, v[14:15]
	s_waitcnt vmcnt(0) lgkmcnt(0)
	v_cvt_f32_i32_e32 v64, v14
.LBB14_2218:                            ;   in Loop: Header=BB14_17 Depth=1
	s_or_b64 exec, exec, s[60:61]
                                        ; implicit-def: $vgpr14_vgpr15
.LBB14_2219:                            ;   in Loop: Header=BB14_17 Depth=1
	s_andn2_saveexec_b64 s[84:85], s[84:85]
	s_cbranch_execz .LBB14_2225
; %bb.2220:                             ;   in Loop: Header=BB14_17 Depth=1
	v_cmp_gt_i16_sdwa s[60:61], v8, v16 src0_sel:BYTE_0 src1_sel:DWORD
                                        ; implicit-def: $vgpr64
	s_and_saveexec_b64 s[62:63], s[60:61]
	s_xor_b64 s[60:61], exec, s[62:63]
	s_cbranch_execz .LBB14_2222
; %bb.2221:                             ;   in Loop: Header=BB14_17 Depth=1
	flat_load_sbyte v14, v[14:15]
	s_waitcnt vmcnt(0) lgkmcnt(0)
	v_cvt_f32_i32_e32 v64, v14
                                        ; implicit-def: $vgpr14_vgpr15
.LBB14_2222:                            ;   in Loop: Header=BB14_17 Depth=1
	s_andn2_saveexec_b64 s[60:61], s[60:61]
	s_cbranch_execz .LBB14_2224
; %bb.2223:                             ;   in Loop: Header=BB14_17 Depth=1
	flat_load_ubyte v14, v[14:15]
	s_waitcnt vmcnt(0) lgkmcnt(0)
	v_cvt_f32_ubyte0_e32 v64, v14
.LBB14_2224:                            ;   in Loop: Header=BB14_17 Depth=1
	s_or_b64 exec, exec, s[60:61]
.LBB14_2225:                            ;   in Loop: Header=BB14_17 Depth=1
	s_or_b64 exec, exec, s[84:85]
.LBB14_2226:                            ;   in Loop: Header=BB14_17 Depth=1
	s_or_b64 exec, exec, s[82:83]
	s_andn2_b64 s[78:79], s[78:79], exec
	s_andn2_b64 vcc, vcc, exec
	s_or_b64 s[80:81], s[80:81], exec
	s_or_b64 exec, exec, s[76:77]
	s_mov_b64 s[76:77], 0
	s_and_saveexec_b64 s[82:83], s[80:81]
	s_cbranch_execnz .LBB14_2103
	s_branch .LBB14_2104
.LBB14_2227:                            ;   in Loop: Header=BB14_17 Depth=1
	v_cmp_gt_i16_sdwa vcc, v7, v19 src0_sel:BYTE_0 src1_sel:DWORD
	s_mov_b64 s[82:83], 0
                                        ; implicit-def: $sgpr84_sgpr85
                                        ; implicit-def: $sgpr74_sgpr75
                                        ; implicit-def: $vgpr66
	s_and_saveexec_b64 s[60:61], vcc
	s_xor_b64 s[72:73], exec, s[60:61]
	s_cbranch_execz .LBB14_2259
; %bb.2228:                             ;   in Loop: Header=BB14_17 Depth=1
	v_cmp_gt_i16_sdwa vcc, v7, v20 src0_sel:BYTE_0 src1_sel:DWORD
                                        ; implicit-def: $sgpr84_sgpr85
                                        ; implicit-def: $sgpr86_sgpr87
                                        ; implicit-def: $vgpr66
	s_and_saveexec_b64 s[60:61], vcc
	s_xor_b64 s[74:75], exec, s[60:61]
	s_cbranch_execz .LBB14_2244
; %bb.2229:                             ;   in Loop: Header=BB14_17 Depth=1
	v_cmp_gt_i16_sdwa s[60:61], v7, v21 src0_sel:BYTE_0 src1_sel:DWORD
	s_mov_b64 s[88:89], 0
                                        ; implicit-def: $vcc
                                        ; implicit-def: $sgpr84_sgpr85
                                        ; implicit-def: $vgpr66
	s_and_saveexec_b64 s[62:63], s[60:61]
	s_xor_b64 s[82:83], exec, s[62:63]
	s_cbranch_execz .LBB14_2239
; %bb.2230:                             ;   in Loop: Header=BB14_17 Depth=1
	v_cmp_gt_i16_sdwa vcc, v7, v22 src0_sel:BYTE_0 src1_sel:DWORD
	s_mov_b64 s[86:87], 0
                                        ; implicit-def: $sgpr84_sgpr85
                                        ; implicit-def: $sgpr88_sgpr89
                                        ; implicit-def: $vgpr66
	s_and_saveexec_b64 s[60:61], vcc
	s_xor_b64 vcc, exec, s[60:61]
	s_cbranch_execz .LBB14_2234
; %bb.2231:                             ;   in Loop: Header=BB14_17 Depth=1
	v_cmp_eq_u16_sdwa s[62:63], v7, v23 src0_sel:BYTE_0 src1_sel:DWORD
	s_mov_b64 s[84:85], 0
	s_mov_b64 s[66:67], 0
                                        ; implicit-def: $vgpr66
	s_and_saveexec_b64 s[60:61], s[62:63]
	s_cbranch_execz .LBB14_2233
; %bb.2232:                             ;   in Loop: Header=BB14_17 Depth=1
	flat_load_dword v14, v[14:15]
	s_mov_b64 s[66:67], exec
	s_waitcnt vmcnt(0) lgkmcnt(0)
	v_lshlrev_b32_e32 v66, 16, v14
.LBB14_2233:                            ;   in Loop: Header=BB14_17 Depth=1
	s_or_b64 exec, exec, s[60:61]
	s_mov_b64 s[88:89], -1
	s_and_b64 s[86:87], s[66:67], exec
                                        ; implicit-def: $vgpr14_vgpr15
.LBB14_2234:                            ;   in Loop: Header=BB14_17 Depth=1
	s_andn2_saveexec_b64 s[66:67], vcc
	s_cbranch_execz .LBB14_2238
; %bb.2235:                             ;   in Loop: Header=BB14_17 Depth=1
	v_cmp_eq_u16_sdwa s[60:61], v7, v24 src0_sel:BYTE_0 src1_sel:DWORD
	s_mov_b64 vcc, s[86:87]
                                        ; implicit-def: $vgpr66
	s_and_saveexec_b64 s[68:69], s[60:61]
	s_cbranch_execz .LBB14_2237
; %bb.2236:                             ;   in Loop: Header=BB14_17 Depth=1
	flat_load_ubyte v14, v[14:15]
	s_movk_i32 vcc_lo, 0xff
	s_waitcnt vmcnt(0) lgkmcnt(0)
	v_lshlrev_b32_e32 v15, 23, v14
	v_cmp_ne_u32_e32 vcc, vcc_lo, v14
	v_cndmask_b32_e32 v15, v25, v15, vcc
	v_cmp_ne_u32_e32 vcc, 0, v14
	v_cndmask_b32_e32 v66, v26, v15, vcc
	s_or_b64 vcc, s[86:87], exec
.LBB14_2237:                            ;   in Loop: Header=BB14_17 Depth=1
	s_or_b64 exec, exec, s[68:69]
	s_andn2_b64 s[60:61], s[86:87], exec
	s_and_b64 vcc, vcc, exec
	s_andn2_b64 s[84:85], s[84:85], exec
	s_or_b64 s[88:89], s[88:89], exec
	s_or_b64 s[86:87], s[60:61], vcc
.LBB14_2238:                            ;   in Loop: Header=BB14_17 Depth=1
	s_or_b64 exec, exec, s[66:67]
	s_and_b64 s[84:85], s[84:85], exec
	s_and_b64 vcc, s[88:89], exec
	s_and_b64 s[88:89], s[86:87], exec
                                        ; implicit-def: $vgpr14_vgpr15
.LBB14_2239:                            ;   in Loop: Header=BB14_17 Depth=1
	s_andn2_saveexec_b64 s[66:67], s[82:83]
	s_cbranch_execz .LBB14_2243
; %bb.2240:                             ;   in Loop: Header=BB14_17 Depth=1
	v_cmp_eq_u16_sdwa s[60:61], v7, v27 src0_sel:BYTE_0 src1_sel:DWORD
	s_mov_b64 s[70:71], s[88:89]
                                        ; implicit-def: $vgpr66
	s_and_saveexec_b64 s[68:69], s[60:61]
	s_cbranch_execz .LBB14_2242
; %bb.2241:                             ;   in Loop: Header=BB14_17 Depth=1
	flat_load_dwordx2 v[14:15], v[14:15]
	s_or_b64 s[70:71], s[88:89], exec
	s_waitcnt vmcnt(0) lgkmcnt(0)
	v_ffbh_u32_e32 v64, v15
	v_min_u32_e32 v64, 32, v64
	v_lshlrev_b64 v[14:15], v64, v[14:15]
	v_min_u32_e32 v14, 1, v14
	v_or_b32_e32 v14, v15, v14
	v_cvt_f32_u32_e32 v14, v14
	v_sub_u32_e32 v15, 32, v64
	v_ldexp_f32 v66, v14, v15
.LBB14_2242:                            ;   in Loop: Header=BB14_17 Depth=1
	s_or_b64 exec, exec, s[68:69]
	s_andn2_b64 s[60:61], s[88:89], exec
	s_and_b64 s[62:63], s[70:71], exec
	s_andn2_b64 s[84:85], s[84:85], exec
	s_or_b64 vcc, vcc, exec
	s_or_b64 s[88:89], s[60:61], s[62:63]
.LBB14_2243:                            ;   in Loop: Header=BB14_17 Depth=1
	s_or_b64 exec, exec, s[66:67]
	s_and_b64 s[86:87], s[84:85], exec
	s_and_b64 s[84:85], vcc, exec
	s_and_b64 s[82:83], s[88:89], exec
                                        ; implicit-def: $vgpr14_vgpr15
.LBB14_2244:                            ;   in Loop: Header=BB14_17 Depth=1
	s_andn2_saveexec_b64 s[74:75], s[74:75]
	s_cbranch_execz .LBB14_2258
; %bb.2245:                             ;   in Loop: Header=BB14_17 Depth=1
	v_cmp_gt_i16_sdwa vcc, v7, v28 src0_sel:BYTE_0 src1_sel:DWORD
                                        ; implicit-def: $vgpr66
	s_and_saveexec_b64 s[60:61], vcc
	s_xor_b64 vcc, exec, s[60:61]
	s_cbranch_execz .LBB14_2251
; %bb.2246:                             ;   in Loop: Header=BB14_17 Depth=1
	v_cmp_gt_i16_sdwa s[60:61], v7, v29 src0_sel:BYTE_0 src1_sel:DWORD
                                        ; implicit-def: $vgpr66
	s_and_saveexec_b64 s[62:63], s[60:61]
	s_xor_b64 s[60:61], exec, s[62:63]
	s_cbranch_execz .LBB14_2248
; %bb.2247:                             ;   in Loop: Header=BB14_17 Depth=1
	flat_load_dword v14, v[14:15]
	s_waitcnt vmcnt(0) lgkmcnt(0)
	v_cvt_f32_u32_e32 v66, v14
                                        ; implicit-def: $vgpr14_vgpr15
.LBB14_2248:                            ;   in Loop: Header=BB14_17 Depth=1
	s_andn2_saveexec_b64 s[60:61], s[60:61]
	s_cbranch_execz .LBB14_2250
; %bb.2249:                             ;   in Loop: Header=BB14_17 Depth=1
	flat_load_ushort v14, v[14:15]
	s_waitcnt vmcnt(0) lgkmcnt(0)
	v_cvt_f32_u32_e32 v66, v14
.LBB14_2250:                            ;   in Loop: Header=BB14_17 Depth=1
	s_or_b64 exec, exec, s[60:61]
                                        ; implicit-def: $vgpr14_vgpr15
.LBB14_2251:                            ;   in Loop: Header=BB14_17 Depth=1
	s_andn2_saveexec_b64 s[88:89], vcc
	s_cbranch_execz .LBB14_2257
; %bb.2252:                             ;   in Loop: Header=BB14_17 Depth=1
	flat_load_ubyte v14, v[14:15]
	s_movk_i32 vcc_lo, 0x7f
	s_mov_b64 s[66:67], 0
                                        ; implicit-def: $sgpr70
	s_waitcnt vmcnt(0) lgkmcnt(0)
	v_cmp_lt_i16_e32 vcc, vcc_lo, v14
	s_and_saveexec_b64 s[60:61], vcc
	s_xor_b64 s[68:69], exec, s[60:61]
	s_cbranch_execnz .LBB14_3131
; %bb.2253:                             ;   in Loop: Header=BB14_17 Depth=1
	s_or_saveexec_b64 s[68:69], s[68:69]
	v_mov_b32_e32 v66, s70
	s_xor_b64 exec, exec, s[68:69]
	s_cbranch_execnz .LBB14_3134
.LBB14_2254:                            ;   in Loop: Header=BB14_17 Depth=1
	s_or_b64 exec, exec, s[68:69]
	s_and_saveexec_b64 s[68:69], s[66:67]
	s_cbranch_execz .LBB14_2256
.LBB14_2255:                            ;   in Loop: Header=BB14_17 Depth=1
	v_lshlrev_b32_e32 v15, 24, v14
	v_and_b32_e32 v14, 0xffff, v14
	v_and_b32_e32 v64, 7, v14
	v_ffbh_u32_e32 v67, v64
	v_min_u32_e32 v67, 32, v67
	v_subrev_u32_e32 v68, 28, v67
	v_bfe_u32 v66, v14, 3, 4
	v_lshlrev_b32_e32 v14, v68, v14
	v_sub_u32_e32 v67, 29, v67
	v_and_b32_e32 v14, 7, v14
	v_cmp_eq_u32_e32 vcc, 0, v66
	v_cndmask_b32_e32 v66, v66, v67, vcc
	v_cndmask_b32_e32 v14, v64, v14, vcc
	v_lshlrev_b32_e32 v14, 20, v14
	v_and_b32_e32 v15, 0x80000000, v15
	v_lshl_add_u32 v64, v66, 23, v30
	v_or3_b32 v66, v15, v64, v14
.LBB14_2256:                            ;   in Loop: Header=BB14_17 Depth=1
	s_or_b64 exec, exec, s[68:69]
.LBB14_2257:                            ;   in Loop: Header=BB14_17 Depth=1
	s_or_b64 exec, exec, s[88:89]
	s_andn2_b64 s[86:87], s[86:87], exec
	s_andn2_b64 s[84:85], s[84:85], exec
	s_or_b64 s[82:83], s[82:83], exec
.LBB14_2258:                            ;   in Loop: Header=BB14_17 Depth=1
	s_or_b64 exec, exec, s[74:75]
	s_and_b64 s[74:75], s[86:87], exec
	s_and_b64 s[84:85], s[84:85], exec
	;; [unrolled: 1-line block ×3, first 2 shown]
                                        ; implicit-def: $vgpr14_vgpr15
.LBB14_2259:                            ;   in Loop: Header=BB14_17 Depth=1
	s_andn2_saveexec_b64 s[72:73], s[72:73]
	s_cbranch_execz .LBB14_2285
; %bb.2260:                             ;   in Loop: Header=BB14_17 Depth=1
	v_cmp_gt_i16_sdwa vcc, v7, v31 src0_sel:BYTE_0 src1_sel:DWORD
	s_mov_b64 s[88:89], s[82:83]
                                        ; implicit-def: $vgpr66
	s_and_saveexec_b64 s[60:61], vcc
	s_xor_b64 s[86:87], exec, s[60:61]
	s_cbranch_execz .LBB14_2274
; %bb.2261:                             ;   in Loop: Header=BB14_17 Depth=1
	v_cmp_gt_i16_sdwa vcc, v7, v32 src0_sel:BYTE_0 src1_sel:DWORD
                                        ; implicit-def: $vgpr66
	s_and_saveexec_b64 s[60:61], vcc
	s_xor_b64 s[88:89], exec, s[60:61]
	s_cbranch_execz .LBB14_2271
; %bb.2262:                             ;   in Loop: Header=BB14_17 Depth=1
	v_cmp_gt_i16_sdwa vcc, v7, v33 src0_sel:BYTE_0 src1_sel:DWORD
                                        ; implicit-def: $vgpr66
	s_and_saveexec_b64 s[60:61], vcc
	s_xor_b64 s[90:91], exec, s[60:61]
	s_cbranch_execz .LBB14_2268
; %bb.2263:                             ;   in Loop: Header=BB14_17 Depth=1
	flat_load_ubyte v14, v[14:15]
	s_movk_i32 vcc_lo, 0x7f
	s_mov_b64 s[66:67], 0
                                        ; implicit-def: $sgpr70
	s_waitcnt vmcnt(0) lgkmcnt(0)
	v_cmp_lt_i16_e32 vcc, vcc_lo, v14
	s_and_saveexec_b64 s[60:61], vcc
	s_xor_b64 s[68:69], exec, s[60:61]
	s_cbranch_execnz .LBB14_3350
; %bb.2264:                             ;   in Loop: Header=BB14_17 Depth=1
	s_or_saveexec_b64 s[68:69], s[68:69]
	v_mov_b32_e32 v66, s70
	s_xor_b64 exec, exec, s[68:69]
	s_cbranch_execnz .LBB14_3353
.LBB14_2265:                            ;   in Loop: Header=BB14_17 Depth=1
	s_or_b64 exec, exec, s[68:69]
	s_and_saveexec_b64 s[68:69], s[66:67]
	s_cbranch_execz .LBB14_2267
.LBB14_2266:                            ;   in Loop: Header=BB14_17 Depth=1
	v_lshlrev_b32_e32 v15, 24, v14
	v_and_b32_e32 v14, 0xffff, v14
	v_and_b32_e32 v64, 3, v14
	v_ffbh_u32_e32 v67, v64
	v_min_u32_e32 v67, 32, v67
	v_subrev_u32_e32 v68, 29, v67
	v_bfe_u32 v66, v14, 2, 5
	v_lshlrev_b32_e32 v14, v68, v14
	v_sub_u32_e32 v67, 30, v67
	v_and_b32_e32 v14, 3, v14
	v_cmp_eq_u32_e32 vcc, 0, v66
	v_cndmask_b32_e32 v66, v66, v67, vcc
	v_cndmask_b32_e32 v14, v64, v14, vcc
	v_lshlrev_b32_e32 v14, 21, v14
	v_and_b32_e32 v15, 0x80000000, v15
	v_lshl_add_u32 v64, v66, 23, v34
	v_or3_b32 v66, v15, v64, v14
.LBB14_2267:                            ;   in Loop: Header=BB14_17 Depth=1
	s_or_b64 exec, exec, s[68:69]
                                        ; implicit-def: $vgpr14_vgpr15
.LBB14_2268:                            ;   in Loop: Header=BB14_17 Depth=1
	s_andn2_saveexec_b64 s[66:67], s[90:91]
	s_cbranch_execz .LBB14_2270
; %bb.2269:                             ;   in Loop: Header=BB14_17 Depth=1
	flat_load_ubyte v14, v[14:15]
	s_mov_b32 vcc_lo, 0x7f800000
	s_waitcnt vmcnt(0) lgkmcnt(0)
	v_lshlrev_b32_e32 v14, 24, v14
	v_and_b32_e32 v15, 0x7f000000, v14
	v_ffbh_u32_e32 v64, v15
	v_min_u32_e32 v64, 32, v64
	v_sub_u32_e64 v64, v64, 4 clamp
	v_lshlrev_b32_e32 v67, v64, v15
	v_lshlrev_b32_e32 v64, 23, v64
	v_lshrrev_b32_e32 v67, 4, v67
	v_add_u32_e32 v66, 0x1000000, v15
	v_sub_u32_e32 v64, v67, v64
	v_ashrrev_i32_e32 v66, 8, v66
	v_add_u32_e32 v64, 0x3c000000, v64
	v_and_or_b32 v64, v66, vcc_lo, v64
	v_cmp_ne_u32_e32 vcc, 0, v15
	v_cndmask_b32_e32 v15, 0, v64, vcc
	s_brev_b32 vcc_lo, 1
	v_and_or_b32 v66, v14, vcc_lo, v15
.LBB14_2270:                            ;   in Loop: Header=BB14_17 Depth=1
	s_or_b64 exec, exec, s[66:67]
                                        ; implicit-def: $vgpr14_vgpr15
.LBB14_2271:                            ;   in Loop: Header=BB14_17 Depth=1
	s_andn2_saveexec_b64 s[66:67], s[88:89]
	s_cbranch_execz .LBB14_2273
; %bb.2272:                             ;   in Loop: Header=BB14_17 Depth=1
	flat_load_ubyte v14, v[14:15]
	s_movk_i32 vcc_lo, 0x7f00
	s_waitcnt vmcnt(0) lgkmcnt(0)
	v_lshlrev_b16_e32 v15, 8, v14
	v_lshlrev_b32_e32 v14, 25, v14
	v_lshrrev_b32_e32 v64, 4, v14
	v_and_or_b32 v66, v15, vcc_lo, 0.5
	v_or_b32_e32 v64, 0x70000000, v64
	s_brev_b32 vcc_lo, 16
	v_add_f32_e32 v66, -0.5, v66
	v_mul_f32_e32 v64, 0x7800000, v64
	v_cmp_gt_u32_e32 vcc, vcc_lo, v14
	v_cndmask_b32_e32 v14, v64, v66, vcc
	v_bfe_i32 v15, v15, 0, 16
	s_brev_b32 vcc_lo, 1
	v_and_or_b32 v66, v15, vcc_lo, v14
.LBB14_2273:                            ;   in Loop: Header=BB14_17 Depth=1
	s_or_b64 exec, exec, s[66:67]
	s_or_b64 s[88:89], s[82:83], exec
                                        ; implicit-def: $vgpr14_vgpr15
.LBB14_2274:                            ;   in Loop: Header=BB14_17 Depth=1
	s_or_saveexec_b64 s[86:87], s[86:87]
                                        ; implicit-def: $vcc
                                        ; implicit-def: $sgpr66_sgpr67
	s_xor_b64 exec, exec, s[86:87]
	s_cbranch_execz .LBB14_2284
; %bb.2275:                             ;   in Loop: Header=BB14_17 Depth=1
	v_cmp_gt_i16_sdwa vcc, v7, v35 src0_sel:BYTE_0 src1_sel:DWORD
	s_mov_b64 s[92:93], s[88:89]
                                        ; implicit-def: $sgpr66_sgpr67
                                        ; implicit-def: $sgpr90_sgpr91
                                        ; implicit-def: $vgpr66
	s_and_saveexec_b64 s[60:61], vcc
	s_xor_b64 vcc, exec, s[60:61]
	s_cbranch_execz .LBB14_2279
; %bb.2276:                             ;   in Loop: Header=BB14_17 Depth=1
	v_cmp_eq_u16_sdwa s[62:63], v7, v36 src0_sel:BYTE_0 src1_sel:DWORD
	s_mov_b64 s[68:69], s[88:89]
                                        ; implicit-def: $vgpr66
	s_and_saveexec_b64 s[60:61], s[62:63]
	s_cbranch_execz .LBB14_2278
; %bb.2277:                             ;   in Loop: Header=BB14_17 Depth=1
	flat_load_ushort v14, v[14:15]
	s_or_b64 s[68:69], s[88:89], exec
	s_waitcnt vmcnt(0) lgkmcnt(0)
	v_lshlrev_b32_e32 v66, 16, v14
.LBB14_2278:                            ;   in Loop: Header=BB14_17 Depth=1
	s_or_b64 exec, exec, s[60:61]
	s_andn2_b64 s[60:61], s[88:89], exec
	s_and_b64 s[62:63], s[68:69], exec
	s_mov_b64 s[90:91], -1
	s_mov_b64 s[66:67], 0
	s_or_b64 s[92:93], s[60:61], s[62:63]
                                        ; implicit-def: $vgpr14_vgpr15
.LBB14_2279:                            ;   in Loop: Header=BB14_17 Depth=1
	s_andn2_saveexec_b64 s[68:69], vcc
	s_cbranch_execz .LBB14_2283
; %bb.2280:                             ;   in Loop: Header=BB14_17 Depth=1
	v_cmp_eq_u16_sdwa s[62:63], v7, v37 src0_sel:BYTE_0 src1_sel:DWORD
	s_mov_b64 vcc, s[92:93]
                                        ; implicit-def: $vgpr66
	s_and_saveexec_b64 s[60:61], s[62:63]
	s_cbranch_execz .LBB14_2282
; %bb.2281:                             ;   in Loop: Header=BB14_17 Depth=1
	flat_load_ubyte v14, v[14:15]
	s_waitcnt vmcnt(0) lgkmcnt(0)
	v_cmp_ne_u16_e32 vcc, 0, v14
	v_cndmask_b32_e64 v66, 0, 1.0, vcc
	s_or_b64 vcc, s[92:93], exec
.LBB14_2282:                            ;   in Loop: Header=BB14_17 Depth=1
	s_or_b64 exec, exec, s[60:61]
	s_andn2_b64 s[60:61], s[92:93], exec
	s_and_b64 vcc, vcc, exec
	s_andn2_b64 s[66:67], s[66:67], exec
	s_or_b64 s[90:91], s[90:91], exec
	s_or_b64 s[92:93], s[60:61], vcc
.LBB14_2283:                            ;   in Loop: Header=BB14_17 Depth=1
	s_or_b64 exec, exec, s[68:69]
	s_andn2_b64 s[60:61], s[88:89], exec
	s_and_b64 s[62:63], s[92:93], exec
	s_and_b64 s[66:67], s[66:67], exec
	s_and_b64 vcc, s[90:91], exec
	s_or_b64 s[88:89], s[60:61], s[62:63]
.LBB14_2284:                            ;   in Loop: Header=BB14_17 Depth=1
	s_or_b64 exec, exec, s[86:87]
	s_andn2_b64 s[60:61], s[74:75], exec
	s_and_b64 s[62:63], s[66:67], exec
	s_or_b64 s[74:75], s[60:61], s[62:63]
	s_andn2_b64 s[60:61], s[84:85], exec
	s_and_b64 vcc, vcc, exec
	s_or_b64 s[84:85], s[60:61], vcc
	s_andn2_b64 vcc, s[82:83], exec
	s_and_b64 s[60:61], s[88:89], exec
	s_or_b64 s[82:83], vcc, s[60:61]
.LBB14_2285:                            ;   in Loop: Header=BB14_17 Depth=1
	s_or_b64 exec, exec, s[72:73]
	s_and_b64 s[74:75], s[74:75], exec
	s_and_b64 s[72:73], s[84:85], exec
	s_and_b64 vcc, s[82:83], exec
                                        ; implicit-def: $vgpr14_vgpr15
	s_andn2_saveexec_b64 s[80:81], s[80:81]
	s_cbranch_execz .LBB14_2110
.LBB14_2286:                            ;   in Loop: Header=BB14_17 Depth=1
	v_cmp_gt_i16_sdwa s[60:61], v7, v38 src0_sel:BYTE_0 src1_sel:DWORD
                                        ; implicit-def: $vgpr66
	s_and_saveexec_b64 s[62:63], s[60:61]
	s_xor_b64 s[82:83], exec, s[62:63]
	s_cbranch_execz .LBB14_2308
; %bb.2287:                             ;   in Loop: Header=BB14_17 Depth=1
	v_cmp_gt_i16_sdwa s[60:61], v7, v39 src0_sel:BYTE_0 src1_sel:DWORD
                                        ; implicit-def: $vgpr66
	s_and_saveexec_b64 s[62:63], s[60:61]
	s_xor_b64 s[66:67], exec, s[62:63]
	s_cbranch_execz .LBB14_2297
; %bb.2288:                             ;   in Loop: Header=BB14_17 Depth=1
	;; [unrolled: 6-line block ×4, first 2 shown]
	flat_load_dwordx2 v[14:15], v[14:15]
	s_waitcnt vmcnt(0) lgkmcnt(0)
	v_cvt_f32_f64_e32 v66, v[14:15]
                                        ; implicit-def: $vgpr14_vgpr15
.LBB14_2291:                            ;   in Loop: Header=BB14_17 Depth=1
	s_andn2_saveexec_b64 s[60:61], s[60:61]
	s_cbranch_execz .LBB14_2293
; %bb.2292:                             ;   in Loop: Header=BB14_17 Depth=1
	s_waitcnt vmcnt(0) lgkmcnt(0)
	flat_load_dword v66, v[14:15]
.LBB14_2293:                            ;   in Loop: Header=BB14_17 Depth=1
	s_or_b64 exec, exec, s[60:61]
                                        ; implicit-def: $vgpr14_vgpr15
.LBB14_2294:                            ;   in Loop: Header=BB14_17 Depth=1
	s_andn2_saveexec_b64 s[60:61], s[68:69]
	s_cbranch_execz .LBB14_2296
; %bb.2295:                             ;   in Loop: Header=BB14_17 Depth=1
	flat_load_dword v14, v[14:15]
	s_waitcnt vmcnt(0) lgkmcnt(0)
	v_cvt_f32_f16_e32 v66, v14
.LBB14_2296:                            ;   in Loop: Header=BB14_17 Depth=1
	s_or_b64 exec, exec, s[60:61]
                                        ; implicit-def: $vgpr14_vgpr15
.LBB14_2297:                            ;   in Loop: Header=BB14_17 Depth=1
	s_andn2_saveexec_b64 s[66:67], s[66:67]
	s_cbranch_execz .LBB14_2307
; %bb.2298:                             ;   in Loop: Header=BB14_17 Depth=1
	v_cmp_gt_i16_sdwa s[60:61], v7, v50 src0_sel:BYTE_0 src1_sel:DWORD
                                        ; implicit-def: $vgpr66
	s_and_saveexec_b64 s[62:63], s[60:61]
	s_xor_b64 s[68:69], exec, s[62:63]
	s_cbranch_execz .LBB14_2304
; %bb.2299:                             ;   in Loop: Header=BB14_17 Depth=1
	v_cmp_gt_i16_sdwa s[60:61], v7, v51 src0_sel:BYTE_0 src1_sel:DWORD
                                        ; implicit-def: $vgpr66
	s_and_saveexec_b64 s[62:63], s[60:61]
	s_xor_b64 s[60:61], exec, s[62:63]
	s_cbranch_execz .LBB14_2301
; %bb.2300:                             ;   in Loop: Header=BB14_17 Depth=1
	flat_load_dwordx2 v[14:15], v[14:15]
	s_waitcnt vmcnt(0) lgkmcnt(0)
	v_cvt_f32_f64_e32 v66, v[14:15]
                                        ; implicit-def: $vgpr14_vgpr15
.LBB14_2301:                            ;   in Loop: Header=BB14_17 Depth=1
	s_andn2_saveexec_b64 s[60:61], s[60:61]
	s_cbranch_execz .LBB14_2303
; %bb.2302:                             ;   in Loop: Header=BB14_17 Depth=1
	s_waitcnt vmcnt(0) lgkmcnt(0)
	flat_load_dword v66, v[14:15]
.LBB14_2303:                            ;   in Loop: Header=BB14_17 Depth=1
	s_or_b64 exec, exec, s[60:61]
                                        ; implicit-def: $vgpr14_vgpr15
.LBB14_2304:                            ;   in Loop: Header=BB14_17 Depth=1
	s_andn2_saveexec_b64 s[60:61], s[68:69]
	s_cbranch_execz .LBB14_2306
; %bb.2305:                             ;   in Loop: Header=BB14_17 Depth=1
	flat_load_ushort v14, v[14:15]
	s_waitcnt vmcnt(0) lgkmcnt(0)
	v_cvt_f32_f16_e32 v66, v14
.LBB14_2306:                            ;   in Loop: Header=BB14_17 Depth=1
	s_or_b64 exec, exec, s[60:61]
.LBB14_2307:                            ;   in Loop: Header=BB14_17 Depth=1
	s_or_b64 exec, exec, s[66:67]
                                        ; implicit-def: $vgpr14_vgpr15
.LBB14_2308:                            ;   in Loop: Header=BB14_17 Depth=1
	s_andn2_saveexec_b64 s[82:83], s[82:83]
	s_cbranch_execz .LBB14_2326
; %bb.2309:                             ;   in Loop: Header=BB14_17 Depth=1
	v_cmp_gt_i16_sdwa s[60:61], v7, v52 src0_sel:BYTE_0 src1_sel:DWORD
                                        ; implicit-def: $vgpr66
	s_and_saveexec_b64 s[62:63], s[60:61]
	s_xor_b64 s[84:85], exec, s[62:63]
	s_cbranch_execz .LBB14_2319
; %bb.2310:                             ;   in Loop: Header=BB14_17 Depth=1
	v_cmp_gt_i16_sdwa s[60:61], v7, v53 src0_sel:BYTE_0 src1_sel:DWORD
                                        ; implicit-def: $vgpr66
	s_and_saveexec_b64 s[62:63], s[60:61]
	s_xor_b64 s[66:67], exec, s[62:63]
	;; [unrolled: 6-line block ×3, first 2 shown]
	s_cbranch_execz .LBB14_2313
; %bb.2312:                             ;   in Loop: Header=BB14_17 Depth=1
	flat_load_dwordx2 v[14:15], v[14:15]
	s_waitcnt vmcnt(0) lgkmcnt(0)
	v_xor_b32_e32 v66, v14, v15
	v_ffbh_i32_e32 v64, v15
	v_ashrrev_i32_e32 v66, 31, v66
	v_add_u32_e32 v64, -1, v64
	v_add_u32_e32 v66, 32, v66
	v_min_u32_e32 v64, v64, v66
	v_lshlrev_b64 v[14:15], v64, v[14:15]
	v_min_u32_e32 v14, 1, v14
	v_or_b32_e32 v14, v15, v14
	v_cvt_f32_i32_e32 v14, v14
	v_sub_u32_e32 v15, 32, v64
	v_ldexp_f32 v66, v14, v15
                                        ; implicit-def: $vgpr14_vgpr15
.LBB14_2313:                            ;   in Loop: Header=BB14_17 Depth=1
	s_andn2_saveexec_b64 s[60:61], s[68:69]
	s_cbranch_execz .LBB14_2315
; %bb.2314:                             ;   in Loop: Header=BB14_17 Depth=1
	flat_load_dword v14, v[14:15]
	s_waitcnt vmcnt(0) lgkmcnt(0)
	v_cvt_f32_i32_e32 v66, v14
.LBB14_2315:                            ;   in Loop: Header=BB14_17 Depth=1
	s_or_b64 exec, exec, s[60:61]
                                        ; implicit-def: $vgpr14_vgpr15
.LBB14_2316:                            ;   in Loop: Header=BB14_17 Depth=1
	s_andn2_saveexec_b64 s[60:61], s[66:67]
	s_cbranch_execz .LBB14_2318
; %bb.2317:                             ;   in Loop: Header=BB14_17 Depth=1
	flat_load_sshort v14, v[14:15]
	s_waitcnt vmcnt(0) lgkmcnt(0)
	v_cvt_f32_i32_e32 v66, v14
.LBB14_2318:                            ;   in Loop: Header=BB14_17 Depth=1
	s_or_b64 exec, exec, s[60:61]
                                        ; implicit-def: $vgpr14_vgpr15
.LBB14_2319:                            ;   in Loop: Header=BB14_17 Depth=1
	s_andn2_saveexec_b64 s[66:67], s[84:85]
	s_cbranch_execz .LBB14_2325
; %bb.2320:                             ;   in Loop: Header=BB14_17 Depth=1
	v_cmp_gt_i16_sdwa s[60:61], v7, v16 src0_sel:BYTE_0 src1_sel:DWORD
                                        ; implicit-def: $vgpr66
	s_and_saveexec_b64 s[62:63], s[60:61]
	s_xor_b64 s[60:61], exec, s[62:63]
	s_cbranch_execz .LBB14_2322
; %bb.2321:                             ;   in Loop: Header=BB14_17 Depth=1
	flat_load_sbyte v14, v[14:15]
	s_waitcnt vmcnt(0) lgkmcnt(0)
	v_cvt_f32_i32_e32 v66, v14
                                        ; implicit-def: $vgpr14_vgpr15
.LBB14_2322:                            ;   in Loop: Header=BB14_17 Depth=1
	s_andn2_saveexec_b64 s[60:61], s[60:61]
	s_cbranch_execz .LBB14_2324
; %bb.2323:                             ;   in Loop: Header=BB14_17 Depth=1
	flat_load_ubyte v14, v[14:15]
	s_waitcnt vmcnt(0) lgkmcnt(0)
	v_cvt_f32_ubyte0_e32 v66, v14
.LBB14_2324:                            ;   in Loop: Header=BB14_17 Depth=1
	s_or_b64 exec, exec, s[60:61]
.LBB14_2325:                            ;   in Loop: Header=BB14_17 Depth=1
	s_or_b64 exec, exec, s[66:67]
.LBB14_2326:                            ;   in Loop: Header=BB14_17 Depth=1
	s_or_b64 exec, exec, s[82:83]
	s_andn2_b64 s[74:75], s[74:75], exec
	s_andn2_b64 s[72:73], s[72:73], exec
	s_or_b64 vcc, vcc, exec
	s_or_b64 exec, exec, s[80:81]
	s_mov_b64 s[66:67], 0
	s_and_saveexec_b64 s[80:81], vcc
	s_cbranch_execz .LBB14_2332
.LBB14_2327:                            ;   in Loop: Header=BB14_17 Depth=1
	v_mul_lo_u32 v14, v65, v10
	v_readlane_b32 s60, v44, 0
	v_add_co_u32_e32 v14, vcc, v4, v14
	s_waitcnt vmcnt(0) lgkmcnt(0)
	v_add_u32_e32 v64, s60, v17
	v_addc_co_u32_e32 v15, vcc, 0, v5, vcc
	v_cmp_gt_i16_sdwa s[60:61], v8, v18 src0_sel:BYTE_0 src1_sel:DWORD
	s_mov_b64 s[86:87], 0
	buffer_store_dword v66, v64, s[0:3], 0 offen offset:84
                                        ; implicit-def: $vcc
                                        ; implicit-def: $sgpr84_sgpr85
                                        ; implicit-def: $vgpr65
	s_and_saveexec_b64 s[62:63], s[60:61]
	s_xor_b64 s[82:83], exec, s[62:63]
	s_cbranch_execnz .LBB14_2354
; %bb.2328:                             ;   in Loop: Header=BB14_17 Depth=1
	s_andn2_saveexec_b64 s[82:83], s[82:83]
	s_cbranch_execnz .LBB14_2413
.LBB14_2329:                            ;   in Loop: Header=BB14_17 Depth=1
	s_or_b64 exec, exec, s[82:83]
	s_mov_b64 s[66:67], 0
	s_and_saveexec_b64 s[68:69], s[86:87]
	s_cbranch_execz .LBB14_2331
.LBB14_2330:                            ;   in Loop: Header=BB14_17 Depth=1
	s_mov_b64 s[66:67], exec
	v_add_u32_e32 v55, 0x200, v55
	s_andn2_b64 s[84:85], s[84:85], exec
	s_andn2_b64 vcc, vcc, exec
	s_waitcnt vmcnt(0) lgkmcnt(0)
	buffer_store_dword v65, v64, s[0:3], 0 offen offset:80
.LBB14_2331:                            ;   in Loop: Header=BB14_17 Depth=1
	s_or_b64 exec, exec, s[68:69]
	s_andn2_b64 s[60:61], s[74:75], exec
	s_and_b64 s[62:63], s[84:85], exec
	s_or_b64 s[74:75], s[60:61], s[62:63]
	s_andn2_b64 s[60:61], s[72:73], exec
	s_and_b64 vcc, vcc, exec
	s_or_b64 s[72:73], s[60:61], vcc
	s_and_b64 s[66:67], s[66:67], exec
.LBB14_2332:                            ;   in Loop: Header=BB14_17 Depth=1
	s_or_b64 exec, exec, s[80:81]
	s_and_b64 vcc, s[74:75], exec
	v_writelane_b32 v44, vcc_lo, 14
	v_writelane_b32 v44, vcc_hi, 15
	s_and_b64 s[62:63], s[72:73], exec
	s_orn2_b64 s[66:67], s[66:67], exec
.LBB14_2333:                            ;   in Loop: Header=BB14_17 Depth=1
	s_or_b64 exec, exec, s[76:77]
	s_mov_b64 vcc, exec
	v_writelane_b32 v44, vcc_lo, 12
	v_writelane_b32 v44, vcc_hi, 13
	s_and_b64 vcc, vcc, s[66:67]
	s_mov_b64 exec, vcc
	s_cbranch_execz .LBB14_6
; %bb.2334:                             ;   in Loop: Header=BB14_17 Depth=1
	v_writelane_b32 v44, s62, 16
	v_cmp_lt_i32_e32 vcc, v55, v6
	s_mov_b64 s[84:85], -1
	s_mov_b64 s[66:67], -1
	v_writelane_b32 v44, s63, 17
                                        ; implicit-def: $sgpr62_sgpr63
                                        ; implicit-def: $sgpr60_sgpr61
                                        ; kill: killed $sgpr60_sgpr61
	s_and_saveexec_b64 s[82:83], vcc
	s_cbranch_execz .LBB14_2560
; %bb.2335:                             ;   in Loop: Header=BB14_17 Depth=1
	v_readlane_b32 vcc_lo, v44, 1
	s_waitcnt vmcnt(0) lgkmcnt(0)
	v_add_u32_e32 v65, vcc_lo, v55
	v_mul_lo_u32 v14, v65, v9
	v_add_co_u32_e32 v14, vcc, v2, v14
	v_addc_co_u32_e32 v15, vcc, 0, v3, vcc
	v_cmp_gt_i16_sdwa s[60:61], v7, v18 src0_sel:BYTE_0 src1_sel:DWORD
	s_mov_b64 vcc, 0
                                        ; implicit-def: $sgpr78_sgpr79
                                        ; implicit-def: $sgpr80_sgpr81
                                        ; implicit-def: $vgpr66
	s_and_saveexec_b64 s[62:63], s[60:61]
	s_xor_b64 s[86:87], exec, s[62:63]
	s_cbranch_execnz .LBB14_2454
; %bb.2336:                             ;   in Loop: Header=BB14_17 Depth=1
	s_andn2_saveexec_b64 s[86:87], s[86:87]
	s_cbranch_execnz .LBB14_2513
.LBB14_2337:                            ;   in Loop: Header=BB14_17 Depth=1
	s_or_b64 exec, exec, s[86:87]
	s_mov_b64 s[66:67], 0
	s_and_saveexec_b64 s[86:87], vcc
	s_cbranch_execnz .LBB14_2554
	s_branch .LBB14_2559
.LBB14_2338:                            ;   in Loop: Header=BB14_17 Depth=1
	s_movk_i32 vcc_lo, 0x80
	v_cmp_eq_u16_e32 vcc, vcc_lo, v14
	s_mov_b64 s[68:69], -1
                                        ; implicit-def: $sgpr74
	s_and_saveexec_b64 s[72:73], vcc
; %bb.2339:                             ;   in Loop: Header=BB14_17 Depth=1
	s_mov_b32 s74, 0x7f800001
	s_xor_b64 s[68:69], exec, -1
; %bb.2340:                             ;   in Loop: Header=BB14_17 Depth=1
	s_or_b64 exec, exec, s[72:73]
	s_and_b64 s[68:69], s[68:69], exec
	s_or_saveexec_b64 s[70:71], s[70:71]
	v_mov_b32_e32 v64, s74
	s_xor_b64 exec, exec, s[70:71]
	s_cbranch_execz .LBB14_1257
.LBB14_2341:                            ;   in Loop: Header=BB14_17 Depth=1
	v_cmp_ne_u16_e32 vcc, 0, v14
	s_andn2_b64 s[68:69], s[68:69], exec
	s_and_b64 vcc, vcc, exec
	v_mov_b32_e32 v64, 0
	s_or_b64 s[68:69], s[68:69], vcc
	s_or_b64 exec, exec, s[70:71]
	s_and_saveexec_b64 s[70:71], s[68:69]
	s_cbranch_execnz .LBB14_1258
	s_branch .LBB14_1259
.LBB14_2342:                            ;   in Loop: Header=BB14_17 Depth=1
	s_movk_i32 vcc_lo, 0x80
	v_cmp_eq_u16_e32 vcc, vcc_lo, v14
	s_mov_b64 s[68:69], -1
                                        ; implicit-def: $sgpr74
	s_and_saveexec_b64 s[72:73], vcc
; %bb.2343:                             ;   in Loop: Header=BB14_17 Depth=1
	s_mov_b32 s74, 0x7f800001
	s_xor_b64 s[68:69], exec, -1
; %bb.2344:                             ;   in Loop: Header=BB14_17 Depth=1
	s_or_b64 exec, exec, s[72:73]
	s_and_b64 s[68:69], s[68:69], exec
	s_or_saveexec_b64 s[70:71], s[70:71]
	v_mov_b32_e32 v66, s74
	s_xor_b64 exec, exec, s[70:71]
	s_cbranch_execz .LBB14_1357
.LBB14_2345:                            ;   in Loop: Header=BB14_17 Depth=1
	v_cmp_ne_u16_e32 vcc, 0, v14
	s_andn2_b64 s[68:69], s[68:69], exec
	s_and_b64 vcc, vcc, exec
	v_mov_b32_e32 v66, 0
	s_or_b64 s[68:69], s[68:69], vcc
	s_or_b64 exec, exec, s[70:71]
	s_and_saveexec_b64 s[70:71], s[68:69]
	s_cbranch_execnz .LBB14_1358
	s_branch .LBB14_1359
.LBB14_2346:                            ;   in Loop: Header=BB14_17 Depth=1
	s_movk_i32 vcc_lo, 0x80
	v_cmp_eq_u16_e32 vcc, vcc_lo, v14
	s_mov_b64 s[72:73], -1
                                        ; implicit-def: $sgpr78
	s_and_saveexec_b64 s[76:77], vcc
; %bb.2347:                             ;   in Loop: Header=BB14_17 Depth=1
	s_mov_b32 s78, 0x7f800001
	s_xor_b64 s[72:73], exec, -1
; %bb.2348:                             ;   in Loop: Header=BB14_17 Depth=1
	s_or_b64 exec, exec, s[76:77]
	s_and_b64 s[72:73], s[72:73], exec
	s_or_saveexec_b64 s[74:75], s[74:75]
	v_mov_b32_e32 v64, s78
	s_xor_b64 exec, exec, s[74:75]
	s_cbranch_execz .LBB14_1473
.LBB14_2349:                            ;   in Loop: Header=BB14_17 Depth=1
	v_cmp_ne_u16_e32 vcc, 0, v14
	s_andn2_b64 s[72:73], s[72:73], exec
	s_and_b64 vcc, vcc, exec
	v_mov_b32_e32 v64, 0
	s_or_b64 s[72:73], s[72:73], vcc
	s_or_b64 exec, exec, s[74:75]
	s_and_saveexec_b64 s[74:75], s[72:73]
	s_cbranch_execnz .LBB14_1474
	s_branch .LBB14_1475
.LBB14_2350:                            ;   in Loop: Header=BB14_17 Depth=1
	s_movk_i32 vcc_lo, 0x80
	v_cmp_eq_u16_e32 vcc, vcc_lo, v14
	s_mov_b64 s[72:73], -1
                                        ; implicit-def: $sgpr78
	s_and_saveexec_b64 s[76:77], vcc
; %bb.2351:                             ;   in Loop: Header=BB14_17 Depth=1
	s_mov_b32 s78, 0x7f800001
	s_xor_b64 s[72:73], exec, -1
; %bb.2352:                             ;   in Loop: Header=BB14_17 Depth=1
	s_or_b64 exec, exec, s[76:77]
	s_and_b64 s[72:73], s[72:73], exec
	s_or_saveexec_b64 s[74:75], s[74:75]
	v_mov_b32_e32 v66, s78
	s_xor_b64 exec, exec, s[74:75]
	s_cbranch_execz .LBB14_1573
.LBB14_2353:                            ;   in Loop: Header=BB14_17 Depth=1
	v_cmp_ne_u16_e32 vcc, 0, v14
	s_andn2_b64 s[72:73], s[72:73], exec
	s_and_b64 vcc, vcc, exec
	v_mov_b32_e32 v66, 0
	s_or_b64 s[72:73], s[72:73], vcc
	s_or_b64 exec, exec, s[74:75]
	s_and_saveexec_b64 s[74:75], s[72:73]
	s_cbranch_execnz .LBB14_1574
	s_branch .LBB14_1575
.LBB14_2354:                            ;   in Loop: Header=BB14_17 Depth=1
	v_cmp_gt_i16_sdwa vcc, v8, v19 src0_sel:BYTE_0 src1_sel:DWORD
                                        ; implicit-def: $sgpr88_sgpr89
                                        ; implicit-def: $sgpr90_sgpr91
                                        ; implicit-def: $vgpr65
	s_and_saveexec_b64 s[60:61], vcc
	s_xor_b64 s[84:85], exec, s[60:61]
	s_cbranch_execz .LBB14_2386
; %bb.2355:                             ;   in Loop: Header=BB14_17 Depth=1
	v_cmp_gt_i16_sdwa vcc, v8, v20 src0_sel:BYTE_0 src1_sel:DWORD
                                        ; implicit-def: $sgpr92_sgpr93
                                        ; implicit-def: $sgpr90_sgpr91
                                        ; implicit-def: $vgpr65
	s_and_saveexec_b64 s[60:61], vcc
	s_xor_b64 s[88:89], exec, s[60:61]
	s_cbranch_execz .LBB14_2371
; %bb.2356:                             ;   in Loop: Header=BB14_17 Depth=1
	v_cmp_gt_i16_sdwa s[60:61], v8, v21 src0_sel:BYTE_0 src1_sel:DWORD
	s_mov_b64 s[94:95], 0
                                        ; implicit-def: $vcc
                                        ; implicit-def: $sgpr96_sgpr97
                                        ; implicit-def: $vgpr65
	s_and_saveexec_b64 s[62:63], s[60:61]
	s_xor_b64 s[86:87], exec, s[62:63]
	s_cbranch_execz .LBB14_2366
; %bb.2357:                             ;   in Loop: Header=BB14_17 Depth=1
	v_cmp_gt_i16_sdwa vcc, v8, v22 src0_sel:BYTE_0 src1_sel:DWORD
	s_mov_b64 s[92:93], 0
                                        ; implicit-def: $sgpr94_sgpr95
                                        ; implicit-def: $sgpr90_sgpr91
                                        ; implicit-def: $vgpr65
	s_and_saveexec_b64 s[60:61], vcc
	s_xor_b64 vcc, exec, s[60:61]
	s_cbranch_execz .LBB14_2361
; %bb.2358:                             ;   in Loop: Header=BB14_17 Depth=1
	v_cmp_eq_u16_sdwa s[62:63], v8, v23 src0_sel:BYTE_0 src1_sel:DWORD
	s_mov_b64 s[90:91], 0
                                        ; implicit-def: $vgpr65
	s_and_saveexec_b64 s[60:61], s[62:63]
	s_cbranch_execz .LBB14_2360
; %bb.2359:                             ;   in Loop: Header=BB14_17 Depth=1
	flat_load_dword v14, v[14:15]
	s_mov_b64 s[66:67], exec
	s_waitcnt vmcnt(0) lgkmcnt(0)
	v_lshlrev_b32_e32 v65, 16, v14
.LBB14_2360:                            ;   in Loop: Header=BB14_17 Depth=1
	s_or_b64 exec, exec, s[60:61]
	s_mov_b64 s[94:95], -1
	s_and_b64 s[92:93], s[66:67], exec
                                        ; implicit-def: $vgpr14_vgpr15
.LBB14_2361:                            ;   in Loop: Header=BB14_17 Depth=1
	s_andn2_saveexec_b64 s[66:67], vcc
	s_cbranch_execz .LBB14_2365
; %bb.2362:                             ;   in Loop: Header=BB14_17 Depth=1
	v_cmp_eq_u16_sdwa s[60:61], v8, v24 src0_sel:BYTE_0 src1_sel:DWORD
	s_mov_b64 vcc, s[92:93]
                                        ; implicit-def: $vgpr65
	s_and_saveexec_b64 s[68:69], s[60:61]
	s_cbranch_execz .LBB14_2364
; %bb.2363:                             ;   in Loop: Header=BB14_17 Depth=1
	flat_load_ubyte v14, v[14:15]
	s_movk_i32 vcc_lo, 0xff
	s_waitcnt vmcnt(0) lgkmcnt(0)
	v_lshlrev_b32_e32 v15, 23, v14
	v_cmp_ne_u32_e32 vcc, vcc_lo, v14
	v_cndmask_b32_e32 v15, v25, v15, vcc
	v_cmp_ne_u32_e32 vcc, 0, v14
	v_cndmask_b32_e32 v65, v26, v15, vcc
	s_or_b64 vcc, s[92:93], exec
.LBB14_2364:                            ;   in Loop: Header=BB14_17 Depth=1
	s_or_b64 exec, exec, s[68:69]
	s_andn2_b64 s[60:61], s[92:93], exec
	s_and_b64 vcc, vcc, exec
	s_or_b64 s[94:95], s[94:95], exec
	s_andn2_b64 s[90:91], s[90:91], exec
	s_or_b64 s[92:93], s[60:61], vcc
.LBB14_2365:                            ;   in Loop: Header=BB14_17 Depth=1
	s_or_b64 exec, exec, s[66:67]
	s_and_b64 s[96:97], s[94:95], exec
	s_and_b64 vcc, s[90:91], exec
	s_and_b64 s[94:95], s[92:93], exec
                                        ; implicit-def: $vgpr14_vgpr15
.LBB14_2366:                            ;   in Loop: Header=BB14_17 Depth=1
	s_andn2_saveexec_b64 s[66:67], s[86:87]
	s_cbranch_execz .LBB14_2370
; %bb.2367:                             ;   in Loop: Header=BB14_17 Depth=1
	v_cmp_eq_u16_sdwa s[60:61], v8, v27 src0_sel:BYTE_0 src1_sel:DWORD
	s_mov_b64 s[70:71], s[94:95]
                                        ; implicit-def: $vgpr65
	s_and_saveexec_b64 s[68:69], s[60:61]
	s_cbranch_execz .LBB14_2369
; %bb.2368:                             ;   in Loop: Header=BB14_17 Depth=1
	flat_load_dwordx2 v[14:15], v[14:15]
	s_or_b64 s[70:71], s[94:95], exec
	s_waitcnt vmcnt(0) lgkmcnt(0)
	v_ffbh_u32_e32 v65, v15
	v_min_u32_e32 v65, 32, v65
	v_lshlrev_b64 v[14:15], v65, v[14:15]
	v_min_u32_e32 v14, 1, v14
	v_or_b32_e32 v14, v15, v14
	v_cvt_f32_u32_e32 v14, v14
	v_sub_u32_e32 v15, 32, v65
	v_ldexp_f32 v65, v14, v15
.LBB14_2369:                            ;   in Loop: Header=BB14_17 Depth=1
	s_or_b64 exec, exec, s[68:69]
	s_andn2_b64 s[60:61], s[94:95], exec
	s_and_b64 s[62:63], s[70:71], exec
	s_or_b64 s[96:97], s[96:97], exec
	s_andn2_b64 vcc, vcc, exec
	s_or_b64 s[94:95], s[60:61], s[62:63]
.LBB14_2370:                            ;   in Loop: Header=BB14_17 Depth=1
	s_or_b64 exec, exec, s[66:67]
	s_and_b64 s[90:91], s[96:97], exec
	s_and_b64 s[92:93], vcc, exec
	s_and_b64 s[86:87], s[94:95], exec
                                        ; implicit-def: $vgpr14_vgpr15
.LBB14_2371:                            ;   in Loop: Header=BB14_17 Depth=1
	s_andn2_saveexec_b64 s[88:89], s[88:89]
	s_cbranch_execz .LBB14_2385
; %bb.2372:                             ;   in Loop: Header=BB14_17 Depth=1
	v_cmp_gt_i16_sdwa vcc, v8, v28 src0_sel:BYTE_0 src1_sel:DWORD
                                        ; implicit-def: $vgpr65
	s_and_saveexec_b64 s[60:61], vcc
	s_xor_b64 vcc, exec, s[60:61]
	s_cbranch_execz .LBB14_2378
; %bb.2373:                             ;   in Loop: Header=BB14_17 Depth=1
	v_cmp_gt_i16_sdwa s[60:61], v8, v29 src0_sel:BYTE_0 src1_sel:DWORD
                                        ; implicit-def: $vgpr65
	s_and_saveexec_b64 s[62:63], s[60:61]
	s_xor_b64 s[60:61], exec, s[62:63]
	s_cbranch_execz .LBB14_2375
; %bb.2374:                             ;   in Loop: Header=BB14_17 Depth=1
	flat_load_dword v14, v[14:15]
	s_waitcnt vmcnt(0) lgkmcnt(0)
	v_cvt_f32_u32_e32 v65, v14
                                        ; implicit-def: $vgpr14_vgpr15
.LBB14_2375:                            ;   in Loop: Header=BB14_17 Depth=1
	s_andn2_saveexec_b64 s[60:61], s[60:61]
	s_cbranch_execz .LBB14_2377
; %bb.2376:                             ;   in Loop: Header=BB14_17 Depth=1
	flat_load_ushort v14, v[14:15]
	s_waitcnt vmcnt(0) lgkmcnt(0)
	v_cvt_f32_u32_e32 v65, v14
.LBB14_2377:                            ;   in Loop: Header=BB14_17 Depth=1
	s_or_b64 exec, exec, s[60:61]
                                        ; implicit-def: $vgpr14_vgpr15
.LBB14_2378:                            ;   in Loop: Header=BB14_17 Depth=1
	s_andn2_saveexec_b64 s[94:95], vcc
	s_cbranch_execz .LBB14_2384
; %bb.2379:                             ;   in Loop: Header=BB14_17 Depth=1
	flat_load_ubyte v14, v[14:15]
	s_movk_i32 vcc_lo, 0x7f
	s_mov_b64 s[66:67], 0
                                        ; implicit-def: $sgpr70
	s_waitcnt vmcnt(0) lgkmcnt(0)
	v_cmp_lt_i16_e32 vcc, vcc_lo, v14
	s_and_saveexec_b64 s[60:61], vcc
	s_xor_b64 s[68:69], exec, s[60:61]
	s_cbranch_execnz .LBB14_3354
; %bb.2380:                             ;   in Loop: Header=BB14_17 Depth=1
	s_or_saveexec_b64 s[68:69], s[68:69]
	v_mov_b32_e32 v65, s70
	s_xor_b64 exec, exec, s[68:69]
	s_cbranch_execnz .LBB14_3357
.LBB14_2381:                            ;   in Loop: Header=BB14_17 Depth=1
	s_or_b64 exec, exec, s[68:69]
	s_and_saveexec_b64 s[68:69], s[66:67]
	s_cbranch_execz .LBB14_2383
.LBB14_2382:                            ;   in Loop: Header=BB14_17 Depth=1
	v_lshlrev_b32_e32 v15, 24, v14
	v_and_b32_e32 v14, 0xffff, v14
	v_and_b32_e32 v65, 7, v14
	v_ffbh_u32_e32 v67, v65
	v_min_u32_e32 v67, 32, v67
	v_subrev_u32_e32 v68, 28, v67
	v_bfe_u32 v66, v14, 3, 4
	v_lshlrev_b32_e32 v14, v68, v14
	v_sub_u32_e32 v67, 29, v67
	v_and_b32_e32 v14, 7, v14
	v_cmp_eq_u32_e32 vcc, 0, v66
	v_cndmask_b32_e32 v66, v66, v67, vcc
	v_cndmask_b32_e32 v14, v65, v14, vcc
	v_lshlrev_b32_e32 v14, 20, v14
	v_and_b32_e32 v15, 0x80000000, v15
	v_lshl_add_u32 v65, v66, 23, v30
	v_or3_b32 v65, v15, v65, v14
.LBB14_2383:                            ;   in Loop: Header=BB14_17 Depth=1
	s_or_b64 exec, exec, s[68:69]
.LBB14_2384:                            ;   in Loop: Header=BB14_17 Depth=1
	s_or_b64 exec, exec, s[94:95]
	s_andn2_b64 s[90:91], s[90:91], exec
	s_andn2_b64 s[92:93], s[92:93], exec
	s_or_b64 s[86:87], s[86:87], exec
.LBB14_2385:                            ;   in Loop: Header=BB14_17 Depth=1
	s_or_b64 exec, exec, s[88:89]
	s_and_b64 s[90:91], s[90:91], exec
	s_and_b64 s[88:89], s[92:93], exec
	;; [unrolled: 1-line block ×3, first 2 shown]
                                        ; implicit-def: $vgpr14_vgpr15
.LBB14_2386:                            ;   in Loop: Header=BB14_17 Depth=1
	s_andn2_saveexec_b64 s[84:85], s[84:85]
	s_cbranch_execz .LBB14_2412
; %bb.2387:                             ;   in Loop: Header=BB14_17 Depth=1
	v_cmp_gt_i16_sdwa vcc, v8, v31 src0_sel:BYTE_0 src1_sel:DWORD
	s_mov_b64 s[94:95], s[86:87]
                                        ; implicit-def: $vgpr65
	s_and_saveexec_b64 s[60:61], vcc
	s_xor_b64 s[92:93], exec, s[60:61]
	s_cbranch_execz .LBB14_2401
; %bb.2388:                             ;   in Loop: Header=BB14_17 Depth=1
	v_cmp_gt_i16_sdwa vcc, v8, v32 src0_sel:BYTE_0 src1_sel:DWORD
                                        ; implicit-def: $vgpr65
	s_and_saveexec_b64 s[60:61], vcc
	s_xor_b64 s[94:95], exec, s[60:61]
	s_cbranch_execz .LBB14_2398
; %bb.2389:                             ;   in Loop: Header=BB14_17 Depth=1
	v_cmp_gt_i16_sdwa vcc, v8, v33 src0_sel:BYTE_0 src1_sel:DWORD
                                        ; implicit-def: $vgpr65
	s_and_saveexec_b64 s[60:61], vcc
	s_xor_b64 s[96:97], exec, s[60:61]
	s_cbranch_execz .LBB14_2395
; %bb.2390:                             ;   in Loop: Header=BB14_17 Depth=1
	flat_load_ubyte v14, v[14:15]
	s_movk_i32 vcc_lo, 0x7f
	s_mov_b64 s[66:67], 0
                                        ; implicit-def: $sgpr70
	s_waitcnt vmcnt(0) lgkmcnt(0)
	v_cmp_lt_i16_e32 vcc, vcc_lo, v14
	s_and_saveexec_b64 s[60:61], vcc
	s_xor_b64 s[68:69], exec, s[60:61]
	s_cbranch_execnz .LBB14_3470
; %bb.2391:                             ;   in Loop: Header=BB14_17 Depth=1
	s_or_saveexec_b64 s[68:69], s[68:69]
	v_mov_b32_e32 v65, s70
	s_xor_b64 exec, exec, s[68:69]
	s_cbranch_execnz .LBB14_3473
.LBB14_2392:                            ;   in Loop: Header=BB14_17 Depth=1
	s_or_b64 exec, exec, s[68:69]
	s_and_saveexec_b64 s[68:69], s[66:67]
	s_cbranch_execz .LBB14_2394
.LBB14_2393:                            ;   in Loop: Header=BB14_17 Depth=1
	v_lshlrev_b32_e32 v15, 24, v14
	v_and_b32_e32 v14, 0xffff, v14
	v_and_b32_e32 v65, 3, v14
	v_ffbh_u32_e32 v67, v65
	v_min_u32_e32 v67, 32, v67
	v_subrev_u32_e32 v68, 29, v67
	v_bfe_u32 v66, v14, 2, 5
	v_lshlrev_b32_e32 v14, v68, v14
	v_sub_u32_e32 v67, 30, v67
	v_and_b32_e32 v14, 3, v14
	v_cmp_eq_u32_e32 vcc, 0, v66
	v_cndmask_b32_e32 v66, v66, v67, vcc
	v_cndmask_b32_e32 v14, v65, v14, vcc
	v_lshlrev_b32_e32 v14, 21, v14
	v_and_b32_e32 v15, 0x80000000, v15
	v_lshl_add_u32 v65, v66, 23, v34
	v_or3_b32 v65, v15, v65, v14
.LBB14_2394:                            ;   in Loop: Header=BB14_17 Depth=1
	s_or_b64 exec, exec, s[68:69]
                                        ; implicit-def: $vgpr14_vgpr15
.LBB14_2395:                            ;   in Loop: Header=BB14_17 Depth=1
	s_andn2_saveexec_b64 s[66:67], s[96:97]
	s_cbranch_execz .LBB14_2397
; %bb.2396:                             ;   in Loop: Header=BB14_17 Depth=1
	flat_load_ubyte v14, v[14:15]
	s_mov_b32 vcc_lo, 0x7f800000
	s_waitcnt vmcnt(0) lgkmcnt(0)
	v_lshlrev_b32_e32 v14, 24, v14
	v_and_b32_e32 v15, 0x7f000000, v14
	v_ffbh_u32_e32 v65, v15
	v_min_u32_e32 v65, 32, v65
	v_sub_u32_e64 v65, v65, 4 clamp
	v_lshlrev_b32_e32 v67, v65, v15
	v_lshlrev_b32_e32 v65, 23, v65
	v_lshrrev_b32_e32 v67, 4, v67
	v_add_u32_e32 v66, 0x1000000, v15
	v_sub_u32_e32 v65, v67, v65
	v_ashrrev_i32_e32 v66, 8, v66
	v_add_u32_e32 v65, 0x3c000000, v65
	v_and_or_b32 v65, v66, vcc_lo, v65
	v_cmp_ne_u32_e32 vcc, 0, v15
	v_cndmask_b32_e32 v15, 0, v65, vcc
	s_brev_b32 vcc_lo, 1
	v_and_or_b32 v65, v14, vcc_lo, v15
.LBB14_2397:                            ;   in Loop: Header=BB14_17 Depth=1
	s_or_b64 exec, exec, s[66:67]
                                        ; implicit-def: $vgpr14_vgpr15
.LBB14_2398:                            ;   in Loop: Header=BB14_17 Depth=1
	s_andn2_saveexec_b64 s[66:67], s[94:95]
	s_cbranch_execz .LBB14_2400
; %bb.2399:                             ;   in Loop: Header=BB14_17 Depth=1
	flat_load_ubyte v14, v[14:15]
	s_movk_i32 vcc_lo, 0x7f00
	s_waitcnt vmcnt(0) lgkmcnt(0)
	v_lshlrev_b16_e32 v15, 8, v14
	v_lshlrev_b32_e32 v14, 25, v14
	v_lshrrev_b32_e32 v65, 4, v14
	v_and_or_b32 v66, v15, vcc_lo, 0.5
	v_or_b32_e32 v65, 0x70000000, v65
	s_brev_b32 vcc_lo, 16
	v_add_f32_e32 v66, -0.5, v66
	v_mul_f32_e32 v65, 0x7800000, v65
	v_cmp_gt_u32_e32 vcc, vcc_lo, v14
	v_cndmask_b32_e32 v14, v65, v66, vcc
	v_bfe_i32 v15, v15, 0, 16
	s_brev_b32 vcc_lo, 1
	v_and_or_b32 v65, v15, vcc_lo, v14
.LBB14_2400:                            ;   in Loop: Header=BB14_17 Depth=1
	s_or_b64 exec, exec, s[66:67]
	s_or_b64 s[94:95], s[86:87], exec
                                        ; implicit-def: $vgpr14_vgpr15
.LBB14_2401:                            ;   in Loop: Header=BB14_17 Depth=1
	s_or_saveexec_b64 s[92:93], s[92:93]
                                        ; implicit-def: $vcc
                                        ; implicit-def: $sgpr68_sgpr69
	s_xor_b64 exec, exec, s[92:93]
	s_cbranch_execz .LBB14_2411
; %bb.2402:                             ;   in Loop: Header=BB14_17 Depth=1
	v_cmp_gt_i16_sdwa vcc, v8, v35 src0_sel:BYTE_0 src1_sel:DWORD
	s_mov_b64 s[66:67], s[94:95]
                                        ; implicit-def: $sgpr68_sgpr69
                                        ; implicit-def: $sgpr96_sgpr97
                                        ; implicit-def: $vgpr65
	s_and_saveexec_b64 s[60:61], vcc
	s_xor_b64 vcc, exec, s[60:61]
	s_cbranch_execz .LBB14_2406
; %bb.2403:                             ;   in Loop: Header=BB14_17 Depth=1
	v_cmp_eq_u16_sdwa s[62:63], v8, v36 src0_sel:BYTE_0 src1_sel:DWORD
	s_mov_b64 s[66:67], s[94:95]
                                        ; implicit-def: $vgpr65
	s_and_saveexec_b64 s[60:61], s[62:63]
	s_cbranch_execz .LBB14_2405
; %bb.2404:                             ;   in Loop: Header=BB14_17 Depth=1
	flat_load_ushort v14, v[14:15]
	s_or_b64 s[66:67], s[94:95], exec
	s_waitcnt vmcnt(0) lgkmcnt(0)
	v_lshlrev_b32_e32 v65, 16, v14
.LBB14_2405:                            ;   in Loop: Header=BB14_17 Depth=1
	s_or_b64 exec, exec, s[60:61]
	s_andn2_b64 s[60:61], s[94:95], exec
	s_and_b64 s[62:63], s[66:67], exec
	s_mov_b64 s[96:97], 0
	s_mov_b64 s[68:69], -1
	s_or_b64 s[66:67], s[60:61], s[62:63]
                                        ; implicit-def: $vgpr14_vgpr15
.LBB14_2406:                            ;   in Loop: Header=BB14_17 Depth=1
	s_andn2_saveexec_b64 s[70:71], vcc
	s_cbranch_execz .LBB14_2410
; %bb.2407:                             ;   in Loop: Header=BB14_17 Depth=1
	v_cmp_eq_u16_sdwa s[62:63], v8, v37 src0_sel:BYTE_0 src1_sel:DWORD
	s_mov_b64 vcc, s[66:67]
                                        ; implicit-def: $vgpr65
	s_and_saveexec_b64 s[60:61], s[62:63]
	s_cbranch_execz .LBB14_2409
; %bb.2408:                             ;   in Loop: Header=BB14_17 Depth=1
	flat_load_ubyte v14, v[14:15]
	s_waitcnt vmcnt(0) lgkmcnt(0)
	v_cmp_ne_u16_e32 vcc, 0, v14
	v_cndmask_b32_e64 v65, 0, 1.0, vcc
	s_or_b64 vcc, s[66:67], exec
.LBB14_2409:                            ;   in Loop: Header=BB14_17 Depth=1
	s_or_b64 exec, exec, s[60:61]
	s_andn2_b64 s[60:61], s[66:67], exec
	s_and_b64 vcc, vcc, exec
	s_or_b64 s[68:69], s[68:69], exec
	s_andn2_b64 s[96:97], s[96:97], exec
	s_or_b64 s[66:67], s[60:61], vcc
.LBB14_2410:                            ;   in Loop: Header=BB14_17 Depth=1
	s_or_b64 exec, exec, s[70:71]
	s_andn2_b64 s[60:61], s[94:95], exec
	s_and_b64 s[62:63], s[66:67], exec
	s_and_b64 s[68:69], s[68:69], exec
	s_and_b64 vcc, s[96:97], exec
	s_or_b64 s[94:95], s[60:61], s[62:63]
.LBB14_2411:                            ;   in Loop: Header=BB14_17 Depth=1
	s_or_b64 exec, exec, s[92:93]
	s_andn2_b64 s[60:61], s[90:91], exec
	s_and_b64 s[62:63], s[68:69], exec
	s_or_b64 s[90:91], s[60:61], s[62:63]
	s_andn2_b64 s[60:61], s[88:89], exec
	s_and_b64 vcc, vcc, exec
	s_or_b64 s[88:89], s[60:61], vcc
	s_andn2_b64 vcc, s[86:87], exec
	s_and_b64 s[60:61], s[94:95], exec
	s_or_b64 s[86:87], vcc, s[60:61]
.LBB14_2412:                            ;   in Loop: Header=BB14_17 Depth=1
	s_or_b64 exec, exec, s[84:85]
	s_and_b64 s[84:85], s[90:91], exec
	s_and_b64 vcc, s[88:89], exec
	s_and_b64 s[86:87], s[86:87], exec
                                        ; implicit-def: $vgpr14_vgpr15
	s_andn2_saveexec_b64 s[82:83], s[82:83]
	s_cbranch_execz .LBB14_2329
.LBB14_2413:                            ;   in Loop: Header=BB14_17 Depth=1
	v_cmp_gt_i16_sdwa s[60:61], v8, v38 src0_sel:BYTE_0 src1_sel:DWORD
                                        ; implicit-def: $vgpr65
	s_and_saveexec_b64 s[62:63], s[60:61]
	s_xor_b64 s[88:89], exec, s[62:63]
	s_cbranch_execz .LBB14_2435
; %bb.2414:                             ;   in Loop: Header=BB14_17 Depth=1
	v_cmp_gt_i16_sdwa s[60:61], v8, v39 src0_sel:BYTE_0 src1_sel:DWORD
                                        ; implicit-def: $vgpr65
	s_and_saveexec_b64 s[62:63], s[60:61]
	s_xor_b64 s[66:67], exec, s[62:63]
	s_cbranch_execz .LBB14_2424
; %bb.2415:                             ;   in Loop: Header=BB14_17 Depth=1
	;; [unrolled: 6-line block ×4, first 2 shown]
	flat_load_dwordx2 v[14:15], v[14:15]
	s_waitcnt vmcnt(0) lgkmcnt(0)
	v_cvt_f32_f64_e32 v65, v[14:15]
                                        ; implicit-def: $vgpr14_vgpr15
.LBB14_2418:                            ;   in Loop: Header=BB14_17 Depth=1
	s_andn2_saveexec_b64 s[60:61], s[60:61]
	s_cbranch_execz .LBB14_2420
; %bb.2419:                             ;   in Loop: Header=BB14_17 Depth=1
	flat_load_dword v65, v[14:15]
.LBB14_2420:                            ;   in Loop: Header=BB14_17 Depth=1
	s_or_b64 exec, exec, s[60:61]
                                        ; implicit-def: $vgpr14_vgpr15
.LBB14_2421:                            ;   in Loop: Header=BB14_17 Depth=1
	s_andn2_saveexec_b64 s[60:61], s[68:69]
	s_cbranch_execz .LBB14_2423
; %bb.2422:                             ;   in Loop: Header=BB14_17 Depth=1
	flat_load_dword v14, v[14:15]
	s_waitcnt vmcnt(0) lgkmcnt(0)
	v_cvt_f32_f16_e32 v65, v14
.LBB14_2423:                            ;   in Loop: Header=BB14_17 Depth=1
	s_or_b64 exec, exec, s[60:61]
                                        ; implicit-def: $vgpr14_vgpr15
.LBB14_2424:                            ;   in Loop: Header=BB14_17 Depth=1
	s_andn2_saveexec_b64 s[66:67], s[66:67]
	s_cbranch_execz .LBB14_2434
; %bb.2425:                             ;   in Loop: Header=BB14_17 Depth=1
	v_cmp_gt_i16_sdwa s[60:61], v8, v50 src0_sel:BYTE_0 src1_sel:DWORD
                                        ; implicit-def: $vgpr65
	s_and_saveexec_b64 s[62:63], s[60:61]
	s_xor_b64 s[68:69], exec, s[62:63]
	s_cbranch_execz .LBB14_2431
; %bb.2426:                             ;   in Loop: Header=BB14_17 Depth=1
	v_cmp_gt_i16_sdwa s[60:61], v8, v51 src0_sel:BYTE_0 src1_sel:DWORD
                                        ; implicit-def: $vgpr65
	s_and_saveexec_b64 s[62:63], s[60:61]
	s_xor_b64 s[60:61], exec, s[62:63]
	s_cbranch_execz .LBB14_2428
; %bb.2427:                             ;   in Loop: Header=BB14_17 Depth=1
	flat_load_dwordx2 v[14:15], v[14:15]
	s_waitcnt vmcnt(0) lgkmcnt(0)
	v_cvt_f32_f64_e32 v65, v[14:15]
                                        ; implicit-def: $vgpr14_vgpr15
.LBB14_2428:                            ;   in Loop: Header=BB14_17 Depth=1
	s_andn2_saveexec_b64 s[60:61], s[60:61]
	s_cbranch_execz .LBB14_2430
; %bb.2429:                             ;   in Loop: Header=BB14_17 Depth=1
	s_waitcnt vmcnt(0) lgkmcnt(0)
	flat_load_dword v65, v[14:15]
.LBB14_2430:                            ;   in Loop: Header=BB14_17 Depth=1
	s_or_b64 exec, exec, s[60:61]
                                        ; implicit-def: $vgpr14_vgpr15
.LBB14_2431:                            ;   in Loop: Header=BB14_17 Depth=1
	s_andn2_saveexec_b64 s[60:61], s[68:69]
	s_cbranch_execz .LBB14_2433
; %bb.2432:                             ;   in Loop: Header=BB14_17 Depth=1
	flat_load_ushort v14, v[14:15]
	s_waitcnt vmcnt(0) lgkmcnt(0)
	v_cvt_f32_f16_e32 v65, v14
.LBB14_2433:                            ;   in Loop: Header=BB14_17 Depth=1
	s_or_b64 exec, exec, s[60:61]
.LBB14_2434:                            ;   in Loop: Header=BB14_17 Depth=1
	s_or_b64 exec, exec, s[66:67]
                                        ; implicit-def: $vgpr14_vgpr15
.LBB14_2435:                            ;   in Loop: Header=BB14_17 Depth=1
	s_andn2_saveexec_b64 s[88:89], s[88:89]
	s_cbranch_execz .LBB14_2453
; %bb.2436:                             ;   in Loop: Header=BB14_17 Depth=1
	v_cmp_gt_i16_sdwa s[60:61], v8, v52 src0_sel:BYTE_0 src1_sel:DWORD
                                        ; implicit-def: $vgpr65
	s_and_saveexec_b64 s[62:63], s[60:61]
	s_xor_b64 s[90:91], exec, s[62:63]
	s_cbranch_execz .LBB14_2446
; %bb.2437:                             ;   in Loop: Header=BB14_17 Depth=1
	v_cmp_gt_i16_sdwa s[60:61], v8, v53 src0_sel:BYTE_0 src1_sel:DWORD
                                        ; implicit-def: $vgpr65
	s_and_saveexec_b64 s[62:63], s[60:61]
	s_xor_b64 s[66:67], exec, s[62:63]
	;; [unrolled: 6-line block ×3, first 2 shown]
	s_cbranch_execz .LBB14_2440
; %bb.2439:                             ;   in Loop: Header=BB14_17 Depth=1
	flat_load_dwordx2 v[14:15], v[14:15]
	s_waitcnt vmcnt(0) lgkmcnt(0)
	v_xor_b32_e32 v66, v14, v15
	v_ffbh_i32_e32 v65, v15
	v_ashrrev_i32_e32 v66, 31, v66
	v_add_u32_e32 v65, -1, v65
	v_add_u32_e32 v66, 32, v66
	v_min_u32_e32 v65, v65, v66
	v_lshlrev_b64 v[14:15], v65, v[14:15]
	v_min_u32_e32 v14, 1, v14
	v_or_b32_e32 v14, v15, v14
	v_cvt_f32_i32_e32 v14, v14
	v_sub_u32_e32 v15, 32, v65
	v_ldexp_f32 v65, v14, v15
                                        ; implicit-def: $vgpr14_vgpr15
.LBB14_2440:                            ;   in Loop: Header=BB14_17 Depth=1
	s_andn2_saveexec_b64 s[60:61], s[68:69]
	s_cbranch_execz .LBB14_2442
; %bb.2441:                             ;   in Loop: Header=BB14_17 Depth=1
	flat_load_dword v14, v[14:15]
	s_waitcnt vmcnt(0) lgkmcnt(0)
	v_cvt_f32_i32_e32 v65, v14
.LBB14_2442:                            ;   in Loop: Header=BB14_17 Depth=1
	s_or_b64 exec, exec, s[60:61]
                                        ; implicit-def: $vgpr14_vgpr15
.LBB14_2443:                            ;   in Loop: Header=BB14_17 Depth=1
	s_andn2_saveexec_b64 s[60:61], s[66:67]
	s_cbranch_execz .LBB14_2445
; %bb.2444:                             ;   in Loop: Header=BB14_17 Depth=1
	flat_load_sshort v14, v[14:15]
	s_waitcnt vmcnt(0) lgkmcnt(0)
	v_cvt_f32_i32_e32 v65, v14
.LBB14_2445:                            ;   in Loop: Header=BB14_17 Depth=1
	s_or_b64 exec, exec, s[60:61]
                                        ; implicit-def: $vgpr14_vgpr15
.LBB14_2446:                            ;   in Loop: Header=BB14_17 Depth=1
	s_andn2_saveexec_b64 s[66:67], s[90:91]
	s_cbranch_execz .LBB14_2452
; %bb.2447:                             ;   in Loop: Header=BB14_17 Depth=1
	v_cmp_gt_i16_sdwa s[60:61], v8, v16 src0_sel:BYTE_0 src1_sel:DWORD
                                        ; implicit-def: $vgpr65
	s_and_saveexec_b64 s[62:63], s[60:61]
	s_xor_b64 s[60:61], exec, s[62:63]
	s_cbranch_execz .LBB14_2449
; %bb.2448:                             ;   in Loop: Header=BB14_17 Depth=1
	flat_load_sbyte v14, v[14:15]
	s_waitcnt vmcnt(0) lgkmcnt(0)
	v_cvt_f32_i32_e32 v65, v14
                                        ; implicit-def: $vgpr14_vgpr15
.LBB14_2449:                            ;   in Loop: Header=BB14_17 Depth=1
	s_andn2_saveexec_b64 s[60:61], s[60:61]
	s_cbranch_execz .LBB14_2451
; %bb.2450:                             ;   in Loop: Header=BB14_17 Depth=1
	flat_load_ubyte v14, v[14:15]
	s_waitcnt vmcnt(0) lgkmcnt(0)
	v_cvt_f32_ubyte0_e32 v65, v14
.LBB14_2451:                            ;   in Loop: Header=BB14_17 Depth=1
	s_or_b64 exec, exec, s[60:61]
.LBB14_2452:                            ;   in Loop: Header=BB14_17 Depth=1
	s_or_b64 exec, exec, s[66:67]
.LBB14_2453:                            ;   in Loop: Header=BB14_17 Depth=1
	s_or_b64 exec, exec, s[88:89]
	s_andn2_b64 s[84:85], s[84:85], exec
	s_andn2_b64 vcc, vcc, exec
	s_or_b64 s[86:87], s[86:87], exec
	s_or_b64 exec, exec, s[82:83]
	s_mov_b64 s[66:67], 0
	s_and_saveexec_b64 s[68:69], s[86:87]
	s_cbranch_execnz .LBB14_2330
	s_branch .LBB14_2331
.LBB14_2454:                            ;   in Loop: Header=BB14_17 Depth=1
	v_cmp_gt_i16_sdwa vcc, v7, v19 src0_sel:BYTE_0 src1_sel:DWORD
	s_mov_b64 s[88:89], 0
                                        ; implicit-def: $sgpr90_sgpr91
                                        ; implicit-def: $sgpr80_sgpr81
                                        ; implicit-def: $vgpr66
	s_and_saveexec_b64 s[60:61], vcc
	s_xor_b64 s[78:79], exec, s[60:61]
	s_cbranch_execz .LBB14_2486
; %bb.2455:                             ;   in Loop: Header=BB14_17 Depth=1
	v_cmp_gt_i16_sdwa vcc, v7, v20 src0_sel:BYTE_0 src1_sel:DWORD
                                        ; implicit-def: $sgpr90_sgpr91
                                        ; implicit-def: $sgpr72_sgpr73
                                        ; implicit-def: $vgpr66
	s_and_saveexec_b64 s[60:61], vcc
	s_xor_b64 s[80:81], exec, s[60:61]
	s_cbranch_execz .LBB14_2471
; %bb.2456:                             ;   in Loop: Header=BB14_17 Depth=1
	v_cmp_gt_i16_sdwa s[60:61], v7, v21 src0_sel:BYTE_0 src1_sel:DWORD
	s_mov_b64 s[74:75], 0
                                        ; implicit-def: $vcc
                                        ; implicit-def: $sgpr90_sgpr91
                                        ; implicit-def: $vgpr66
	s_and_saveexec_b64 s[62:63], s[60:61]
	s_xor_b64 s[72:73], exec, s[62:63]
	s_cbranch_execz .LBB14_2466
; %bb.2457:                             ;   in Loop: Header=BB14_17 Depth=1
	v_cmp_gt_i16_sdwa vcc, v7, v22 src0_sel:BYTE_0 src1_sel:DWORD
                                        ; implicit-def: $sgpr74_sgpr75
                                        ; implicit-def: $sgpr92_sgpr93
                                        ; implicit-def: $vgpr66
	s_and_saveexec_b64 s[60:61], vcc
	s_xor_b64 vcc, exec, s[60:61]
	s_cbranch_execz .LBB14_2461
; %bb.2458:                             ;   in Loop: Header=BB14_17 Depth=1
	v_cmp_eq_u16_sdwa s[62:63], v7, v23 src0_sel:BYTE_0 src1_sel:DWORD
	s_mov_b64 s[74:75], 0
	s_mov_b64 s[66:67], 0
                                        ; implicit-def: $vgpr66
	s_and_saveexec_b64 s[60:61], s[62:63]
	s_cbranch_execz .LBB14_2460
; %bb.2459:                             ;   in Loop: Header=BB14_17 Depth=1
	flat_load_dword v14, v[14:15]
	s_mov_b64 s[66:67], exec
	s_waitcnt vmcnt(0) lgkmcnt(0)
	v_lshlrev_b32_e32 v66, 16, v14
.LBB14_2460:                            ;   in Loop: Header=BB14_17 Depth=1
	s_or_b64 exec, exec, s[60:61]
	s_mov_b64 s[92:93], -1
	s_and_b64 s[88:89], s[66:67], exec
                                        ; implicit-def: $vgpr14_vgpr15
.LBB14_2461:                            ;   in Loop: Header=BB14_17 Depth=1
	s_andn2_saveexec_b64 s[66:67], vcc
	s_cbranch_execz .LBB14_2465
; %bb.2462:                             ;   in Loop: Header=BB14_17 Depth=1
	v_cmp_eq_u16_sdwa s[60:61], v7, v24 src0_sel:BYTE_0 src1_sel:DWORD
	s_mov_b64 vcc, s[88:89]
                                        ; implicit-def: $vgpr66
	s_and_saveexec_b64 s[68:69], s[60:61]
	s_cbranch_execz .LBB14_2464
; %bb.2463:                             ;   in Loop: Header=BB14_17 Depth=1
	flat_load_ubyte v14, v[14:15]
	s_movk_i32 vcc_lo, 0xff
	s_waitcnt vmcnt(0) lgkmcnt(0)
	v_lshlrev_b32_e32 v15, 23, v14
	v_cmp_ne_u32_e32 vcc, vcc_lo, v14
	v_cndmask_b32_e32 v15, v25, v15, vcc
	v_cmp_ne_u32_e32 vcc, 0, v14
	v_cndmask_b32_e32 v66, v26, v15, vcc
	s_or_b64 vcc, s[88:89], exec
.LBB14_2464:                            ;   in Loop: Header=BB14_17 Depth=1
	s_or_b64 exec, exec, s[68:69]
	s_andn2_b64 s[60:61], s[88:89], exec
	s_and_b64 vcc, vcc, exec
	s_andn2_b64 s[74:75], s[74:75], exec
	s_or_b64 s[92:93], s[92:93], exec
	s_or_b64 s[88:89], s[60:61], vcc
.LBB14_2465:                            ;   in Loop: Header=BB14_17 Depth=1
	s_or_b64 exec, exec, s[66:67]
	s_and_b64 s[90:91], s[74:75], exec
	s_and_b64 vcc, s[92:93], exec
	s_and_b64 s[74:75], s[88:89], exec
                                        ; implicit-def: $vgpr14_vgpr15
.LBB14_2466:                            ;   in Loop: Header=BB14_17 Depth=1
	s_andn2_saveexec_b64 s[66:67], s[72:73]
	s_cbranch_execz .LBB14_2470
; %bb.2467:                             ;   in Loop: Header=BB14_17 Depth=1
	v_cmp_eq_u16_sdwa s[60:61], v7, v27 src0_sel:BYTE_0 src1_sel:DWORD
	s_mov_b64 s[70:71], s[74:75]
                                        ; implicit-def: $vgpr66
	s_and_saveexec_b64 s[68:69], s[60:61]
	s_cbranch_execz .LBB14_2469
; %bb.2468:                             ;   in Loop: Header=BB14_17 Depth=1
	flat_load_dwordx2 v[14:15], v[14:15]
	s_or_b64 s[70:71], s[74:75], exec
	s_waitcnt vmcnt(0) lgkmcnt(0)
	v_ffbh_u32_e32 v64, v15
	v_min_u32_e32 v64, 32, v64
	v_lshlrev_b64 v[14:15], v64, v[14:15]
	v_min_u32_e32 v14, 1, v14
	v_or_b32_e32 v14, v15, v14
	v_cvt_f32_u32_e32 v14, v14
	v_sub_u32_e32 v15, 32, v64
	v_ldexp_f32 v66, v14, v15
.LBB14_2469:                            ;   in Loop: Header=BB14_17 Depth=1
	s_or_b64 exec, exec, s[68:69]
	s_andn2_b64 s[60:61], s[74:75], exec
	s_and_b64 s[62:63], s[70:71], exec
	s_andn2_b64 s[90:91], s[90:91], exec
	s_or_b64 vcc, vcc, exec
	s_or_b64 s[74:75], s[60:61], s[62:63]
.LBB14_2470:                            ;   in Loop: Header=BB14_17 Depth=1
	s_or_b64 exec, exec, s[66:67]
	s_and_b64 s[72:73], s[90:91], exec
	s_and_b64 s[90:91], vcc, exec
	s_and_b64 s[88:89], s[74:75], exec
                                        ; implicit-def: $vgpr14_vgpr15
.LBB14_2471:                            ;   in Loop: Header=BB14_17 Depth=1
	s_andn2_saveexec_b64 s[80:81], s[80:81]
	s_cbranch_execz .LBB14_2485
; %bb.2472:                             ;   in Loop: Header=BB14_17 Depth=1
	v_cmp_gt_i16_sdwa vcc, v7, v28 src0_sel:BYTE_0 src1_sel:DWORD
                                        ; implicit-def: $vgpr66
	s_and_saveexec_b64 s[60:61], vcc
	s_xor_b64 vcc, exec, s[60:61]
	s_cbranch_execz .LBB14_2478
; %bb.2473:                             ;   in Loop: Header=BB14_17 Depth=1
	v_cmp_gt_i16_sdwa s[60:61], v7, v29 src0_sel:BYTE_0 src1_sel:DWORD
                                        ; implicit-def: $vgpr66
	s_and_saveexec_b64 s[62:63], s[60:61]
	s_xor_b64 s[60:61], exec, s[62:63]
	s_cbranch_execz .LBB14_2475
; %bb.2474:                             ;   in Loop: Header=BB14_17 Depth=1
	flat_load_dword v14, v[14:15]
	s_waitcnt vmcnt(0) lgkmcnt(0)
	v_cvt_f32_u32_e32 v66, v14
                                        ; implicit-def: $vgpr14_vgpr15
.LBB14_2475:                            ;   in Loop: Header=BB14_17 Depth=1
	s_andn2_saveexec_b64 s[60:61], s[60:61]
	s_cbranch_execz .LBB14_2477
; %bb.2476:                             ;   in Loop: Header=BB14_17 Depth=1
	flat_load_ushort v14, v[14:15]
	s_waitcnt vmcnt(0) lgkmcnt(0)
	v_cvt_f32_u32_e32 v66, v14
.LBB14_2477:                            ;   in Loop: Header=BB14_17 Depth=1
	s_or_b64 exec, exec, s[60:61]
                                        ; implicit-def: $vgpr14_vgpr15
.LBB14_2478:                            ;   in Loop: Header=BB14_17 Depth=1
	s_andn2_saveexec_b64 s[74:75], vcc
	s_cbranch_execz .LBB14_2484
; %bb.2479:                             ;   in Loop: Header=BB14_17 Depth=1
	flat_load_ubyte v14, v[14:15]
	s_movk_i32 vcc_lo, 0x7f
	s_mov_b64 s[66:67], 0
                                        ; implicit-def: $sgpr70
	s_waitcnt vmcnt(0) lgkmcnt(0)
	v_cmp_lt_i16_e32 vcc, vcc_lo, v14
	s_and_saveexec_b64 s[60:61], vcc
	s_xor_b64 s[68:69], exec, s[60:61]
	s_cbranch_execnz .LBB14_3358
; %bb.2480:                             ;   in Loop: Header=BB14_17 Depth=1
	s_or_saveexec_b64 s[68:69], s[68:69]
	v_mov_b32_e32 v66, s70
	s_xor_b64 exec, exec, s[68:69]
	s_cbranch_execnz .LBB14_3361
.LBB14_2481:                            ;   in Loop: Header=BB14_17 Depth=1
	s_or_b64 exec, exec, s[68:69]
	s_and_saveexec_b64 s[68:69], s[66:67]
	s_cbranch_execz .LBB14_2483
.LBB14_2482:                            ;   in Loop: Header=BB14_17 Depth=1
	v_lshlrev_b32_e32 v15, 24, v14
	v_and_b32_e32 v14, 0xffff, v14
	v_and_b32_e32 v64, 7, v14
	v_ffbh_u32_e32 v67, v64
	v_min_u32_e32 v67, 32, v67
	v_subrev_u32_e32 v68, 28, v67
	v_bfe_u32 v66, v14, 3, 4
	v_lshlrev_b32_e32 v14, v68, v14
	v_sub_u32_e32 v67, 29, v67
	v_and_b32_e32 v14, 7, v14
	v_cmp_eq_u32_e32 vcc, 0, v66
	v_cndmask_b32_e32 v66, v66, v67, vcc
	v_cndmask_b32_e32 v14, v64, v14, vcc
	v_lshlrev_b32_e32 v14, 20, v14
	v_and_b32_e32 v15, 0x80000000, v15
	v_lshl_add_u32 v64, v66, 23, v30
	v_or3_b32 v66, v15, v64, v14
.LBB14_2483:                            ;   in Loop: Header=BB14_17 Depth=1
	s_or_b64 exec, exec, s[68:69]
.LBB14_2484:                            ;   in Loop: Header=BB14_17 Depth=1
	s_or_b64 exec, exec, s[74:75]
	s_andn2_b64 s[72:73], s[72:73], exec
	s_andn2_b64 s[90:91], s[90:91], exec
	s_or_b64 s[88:89], s[88:89], exec
.LBB14_2485:                            ;   in Loop: Header=BB14_17 Depth=1
	s_or_b64 exec, exec, s[80:81]
	s_and_b64 s[80:81], s[72:73], exec
	s_and_b64 s[90:91], s[90:91], exec
	;; [unrolled: 1-line block ×3, first 2 shown]
                                        ; implicit-def: $vgpr14_vgpr15
.LBB14_2486:                            ;   in Loop: Header=BB14_17 Depth=1
	s_andn2_saveexec_b64 s[78:79], s[78:79]
	s_cbranch_execz .LBB14_2512
; %bb.2487:                             ;   in Loop: Header=BB14_17 Depth=1
	v_cmp_gt_i16_sdwa vcc, v7, v31 src0_sel:BYTE_0 src1_sel:DWORD
	s_mov_b64 s[92:93], s[88:89]
                                        ; implicit-def: $vgpr66
	s_and_saveexec_b64 s[60:61], vcc
	s_xor_b64 s[72:73], exec, s[60:61]
	s_cbranch_execz .LBB14_2501
; %bb.2488:                             ;   in Loop: Header=BB14_17 Depth=1
	v_cmp_gt_i16_sdwa vcc, v7, v32 src0_sel:BYTE_0 src1_sel:DWORD
                                        ; implicit-def: $vgpr66
	s_and_saveexec_b64 s[60:61], vcc
	s_xor_b64 s[92:93], exec, s[60:61]
	s_cbranch_execz .LBB14_2498
; %bb.2489:                             ;   in Loop: Header=BB14_17 Depth=1
	v_cmp_gt_i16_sdwa vcc, v7, v33 src0_sel:BYTE_0 src1_sel:DWORD
                                        ; implicit-def: $vgpr66
	s_and_saveexec_b64 s[60:61], vcc
	s_xor_b64 s[74:75], exec, s[60:61]
	s_cbranch_execz .LBB14_2495
; %bb.2490:                             ;   in Loop: Header=BB14_17 Depth=1
	flat_load_ubyte v14, v[14:15]
	s_movk_i32 vcc_lo, 0x7f
	s_mov_b64 s[66:67], 0
                                        ; implicit-def: $sgpr70
	s_waitcnt vmcnt(0) lgkmcnt(0)
	v_cmp_lt_i16_e32 vcc, vcc_lo, v14
	s_and_saveexec_b64 s[60:61], vcc
	s_xor_b64 s[68:69], exec, s[60:61]
	s_cbranch_execnz .LBB14_3474
; %bb.2491:                             ;   in Loop: Header=BB14_17 Depth=1
	s_or_saveexec_b64 s[68:69], s[68:69]
	v_mov_b32_e32 v66, s70
	s_xor_b64 exec, exec, s[68:69]
	s_cbranch_execnz .LBB14_3477
.LBB14_2492:                            ;   in Loop: Header=BB14_17 Depth=1
	s_or_b64 exec, exec, s[68:69]
	s_and_saveexec_b64 s[68:69], s[66:67]
	s_cbranch_execz .LBB14_2494
.LBB14_2493:                            ;   in Loop: Header=BB14_17 Depth=1
	v_lshlrev_b32_e32 v15, 24, v14
	v_and_b32_e32 v14, 0xffff, v14
	v_and_b32_e32 v64, 3, v14
	v_ffbh_u32_e32 v67, v64
	v_min_u32_e32 v67, 32, v67
	v_subrev_u32_e32 v68, 29, v67
	v_bfe_u32 v66, v14, 2, 5
	v_lshlrev_b32_e32 v14, v68, v14
	v_sub_u32_e32 v67, 30, v67
	v_and_b32_e32 v14, 3, v14
	v_cmp_eq_u32_e32 vcc, 0, v66
	v_cndmask_b32_e32 v66, v66, v67, vcc
	v_cndmask_b32_e32 v14, v64, v14, vcc
	v_lshlrev_b32_e32 v14, 21, v14
	v_and_b32_e32 v15, 0x80000000, v15
	v_lshl_add_u32 v64, v66, 23, v34
	v_or3_b32 v66, v15, v64, v14
.LBB14_2494:                            ;   in Loop: Header=BB14_17 Depth=1
	s_or_b64 exec, exec, s[68:69]
                                        ; implicit-def: $vgpr14_vgpr15
.LBB14_2495:                            ;   in Loop: Header=BB14_17 Depth=1
	s_andn2_saveexec_b64 s[66:67], s[74:75]
	s_cbranch_execz .LBB14_2497
; %bb.2496:                             ;   in Loop: Header=BB14_17 Depth=1
	flat_load_ubyte v14, v[14:15]
	s_mov_b32 vcc_lo, 0x7f800000
	s_waitcnt vmcnt(0) lgkmcnt(0)
	v_lshlrev_b32_e32 v14, 24, v14
	v_and_b32_e32 v15, 0x7f000000, v14
	v_ffbh_u32_e32 v64, v15
	v_min_u32_e32 v64, 32, v64
	v_sub_u32_e64 v64, v64, 4 clamp
	v_lshlrev_b32_e32 v67, v64, v15
	v_lshlrev_b32_e32 v64, 23, v64
	v_lshrrev_b32_e32 v67, 4, v67
	v_add_u32_e32 v66, 0x1000000, v15
	v_sub_u32_e32 v64, v67, v64
	v_ashrrev_i32_e32 v66, 8, v66
	v_add_u32_e32 v64, 0x3c000000, v64
	v_and_or_b32 v64, v66, vcc_lo, v64
	v_cmp_ne_u32_e32 vcc, 0, v15
	v_cndmask_b32_e32 v15, 0, v64, vcc
	s_brev_b32 vcc_lo, 1
	v_and_or_b32 v66, v14, vcc_lo, v15
.LBB14_2497:                            ;   in Loop: Header=BB14_17 Depth=1
	s_or_b64 exec, exec, s[66:67]
                                        ; implicit-def: $vgpr14_vgpr15
.LBB14_2498:                            ;   in Loop: Header=BB14_17 Depth=1
	s_andn2_saveexec_b64 s[66:67], s[92:93]
	s_cbranch_execz .LBB14_2500
; %bb.2499:                             ;   in Loop: Header=BB14_17 Depth=1
	flat_load_ubyte v14, v[14:15]
	s_movk_i32 vcc_lo, 0x7f00
	s_waitcnt vmcnt(0) lgkmcnt(0)
	v_lshlrev_b16_e32 v15, 8, v14
	v_lshlrev_b32_e32 v14, 25, v14
	v_lshrrev_b32_e32 v64, 4, v14
	v_and_or_b32 v66, v15, vcc_lo, 0.5
	v_or_b32_e32 v64, 0x70000000, v64
	s_brev_b32 vcc_lo, 16
	v_add_f32_e32 v66, -0.5, v66
	v_mul_f32_e32 v64, 0x7800000, v64
	v_cmp_gt_u32_e32 vcc, vcc_lo, v14
	v_cndmask_b32_e32 v14, v64, v66, vcc
	v_bfe_i32 v15, v15, 0, 16
	s_brev_b32 vcc_lo, 1
	v_and_or_b32 v66, v15, vcc_lo, v14
.LBB14_2500:                            ;   in Loop: Header=BB14_17 Depth=1
	s_or_b64 exec, exec, s[66:67]
	s_or_b64 s[92:93], s[88:89], exec
                                        ; implicit-def: $vgpr14_vgpr15
.LBB14_2501:                            ;   in Loop: Header=BB14_17 Depth=1
	s_or_saveexec_b64 s[72:73], s[72:73]
                                        ; implicit-def: $vcc
                                        ; implicit-def: $sgpr68_sgpr69
	s_xor_b64 exec, exec, s[72:73]
	s_cbranch_execz .LBB14_2511
; %bb.2502:                             ;   in Loop: Header=BB14_17 Depth=1
	v_cmp_gt_i16_sdwa vcc, v7, v35 src0_sel:BYTE_0 src1_sel:DWORD
	s_mov_b64 s[66:67], s[92:93]
                                        ; implicit-def: $sgpr68_sgpr69
                                        ; implicit-def: $sgpr74_sgpr75
                                        ; implicit-def: $vgpr66
	s_and_saveexec_b64 s[60:61], vcc
	s_xor_b64 vcc, exec, s[60:61]
	s_cbranch_execz .LBB14_2506
; %bb.2503:                             ;   in Loop: Header=BB14_17 Depth=1
	v_cmp_eq_u16_sdwa s[62:63], v7, v36 src0_sel:BYTE_0 src1_sel:DWORD
	s_mov_b64 s[66:67], s[92:93]
                                        ; implicit-def: $vgpr66
	s_and_saveexec_b64 s[60:61], s[62:63]
	s_cbranch_execz .LBB14_2505
; %bb.2504:                             ;   in Loop: Header=BB14_17 Depth=1
	flat_load_ushort v14, v[14:15]
	s_or_b64 s[66:67], s[92:93], exec
	s_waitcnt vmcnt(0) lgkmcnt(0)
	v_lshlrev_b32_e32 v66, 16, v14
.LBB14_2505:                            ;   in Loop: Header=BB14_17 Depth=1
	s_or_b64 exec, exec, s[60:61]
	s_andn2_b64 s[60:61], s[92:93], exec
	s_and_b64 s[62:63], s[66:67], exec
	s_mov_b64 s[74:75], -1
	s_mov_b64 s[68:69], 0
	s_or_b64 s[66:67], s[60:61], s[62:63]
                                        ; implicit-def: $vgpr14_vgpr15
.LBB14_2506:                            ;   in Loop: Header=BB14_17 Depth=1
	s_andn2_saveexec_b64 s[70:71], vcc
	s_cbranch_execz .LBB14_2510
; %bb.2507:                             ;   in Loop: Header=BB14_17 Depth=1
	v_cmp_eq_u16_sdwa s[62:63], v7, v37 src0_sel:BYTE_0 src1_sel:DWORD
	s_mov_b64 vcc, s[66:67]
                                        ; implicit-def: $vgpr66
	s_and_saveexec_b64 s[60:61], s[62:63]
	s_cbranch_execz .LBB14_2509
; %bb.2508:                             ;   in Loop: Header=BB14_17 Depth=1
	flat_load_ubyte v14, v[14:15]
	s_waitcnt vmcnt(0) lgkmcnt(0)
	v_cmp_ne_u16_e32 vcc, 0, v14
	v_cndmask_b32_e64 v66, 0, 1.0, vcc
	s_or_b64 vcc, s[66:67], exec
.LBB14_2509:                            ;   in Loop: Header=BB14_17 Depth=1
	s_or_b64 exec, exec, s[60:61]
	s_andn2_b64 s[60:61], s[66:67], exec
	s_and_b64 vcc, vcc, exec
	s_andn2_b64 s[68:69], s[68:69], exec
	s_or_b64 s[74:75], s[74:75], exec
	s_or_b64 s[66:67], s[60:61], vcc
.LBB14_2510:                            ;   in Loop: Header=BB14_17 Depth=1
	s_or_b64 exec, exec, s[70:71]
	s_andn2_b64 s[60:61], s[92:93], exec
	s_and_b64 s[62:63], s[66:67], exec
	s_and_b64 s[68:69], s[68:69], exec
	s_and_b64 vcc, s[74:75], exec
	s_or_b64 s[92:93], s[60:61], s[62:63]
.LBB14_2511:                            ;   in Loop: Header=BB14_17 Depth=1
	s_or_b64 exec, exec, s[72:73]
	s_andn2_b64 s[60:61], s[80:81], exec
	s_and_b64 s[62:63], s[68:69], exec
	s_or_b64 s[80:81], s[60:61], s[62:63]
	s_andn2_b64 s[60:61], s[90:91], exec
	s_and_b64 vcc, vcc, exec
	s_or_b64 s[90:91], s[60:61], vcc
	s_andn2_b64 vcc, s[88:89], exec
	s_and_b64 s[60:61], s[92:93], exec
	s_or_b64 s[88:89], vcc, s[60:61]
.LBB14_2512:                            ;   in Loop: Header=BB14_17 Depth=1
	s_or_b64 exec, exec, s[78:79]
	s_and_b64 s[80:81], s[80:81], exec
	s_and_b64 s[78:79], s[90:91], exec
	s_and_b64 vcc, s[88:89], exec
                                        ; implicit-def: $vgpr14_vgpr15
	s_andn2_saveexec_b64 s[86:87], s[86:87]
	s_cbranch_execz .LBB14_2337
.LBB14_2513:                            ;   in Loop: Header=BB14_17 Depth=1
	v_cmp_gt_i16_sdwa s[60:61], v7, v38 src0_sel:BYTE_0 src1_sel:DWORD
                                        ; implicit-def: $vgpr66
	s_and_saveexec_b64 s[62:63], s[60:61]
	s_xor_b64 s[72:73], exec, s[62:63]
	s_cbranch_execz .LBB14_2535
; %bb.2514:                             ;   in Loop: Header=BB14_17 Depth=1
	v_cmp_gt_i16_sdwa s[60:61], v7, v39 src0_sel:BYTE_0 src1_sel:DWORD
                                        ; implicit-def: $vgpr66
	s_and_saveexec_b64 s[62:63], s[60:61]
	s_xor_b64 s[66:67], exec, s[62:63]
	s_cbranch_execz .LBB14_2524
; %bb.2515:                             ;   in Loop: Header=BB14_17 Depth=1
	;; [unrolled: 6-line block ×4, first 2 shown]
	flat_load_dwordx2 v[14:15], v[14:15]
	s_waitcnt vmcnt(0) lgkmcnt(0)
	v_cvt_f32_f64_e32 v66, v[14:15]
                                        ; implicit-def: $vgpr14_vgpr15
.LBB14_2518:                            ;   in Loop: Header=BB14_17 Depth=1
	s_andn2_saveexec_b64 s[60:61], s[60:61]
	s_cbranch_execz .LBB14_2520
; %bb.2519:                             ;   in Loop: Header=BB14_17 Depth=1
	flat_load_dword v66, v[14:15]
.LBB14_2520:                            ;   in Loop: Header=BB14_17 Depth=1
	s_or_b64 exec, exec, s[60:61]
                                        ; implicit-def: $vgpr14_vgpr15
.LBB14_2521:                            ;   in Loop: Header=BB14_17 Depth=1
	s_andn2_saveexec_b64 s[60:61], s[68:69]
	s_cbranch_execz .LBB14_2523
; %bb.2522:                             ;   in Loop: Header=BB14_17 Depth=1
	flat_load_dword v14, v[14:15]
	s_waitcnt vmcnt(0) lgkmcnt(0)
	v_cvt_f32_f16_e32 v66, v14
.LBB14_2523:                            ;   in Loop: Header=BB14_17 Depth=1
	s_or_b64 exec, exec, s[60:61]
                                        ; implicit-def: $vgpr14_vgpr15
.LBB14_2524:                            ;   in Loop: Header=BB14_17 Depth=1
	s_andn2_saveexec_b64 s[66:67], s[66:67]
	s_cbranch_execz .LBB14_2534
; %bb.2525:                             ;   in Loop: Header=BB14_17 Depth=1
	v_cmp_gt_i16_sdwa s[60:61], v7, v50 src0_sel:BYTE_0 src1_sel:DWORD
                                        ; implicit-def: $vgpr66
	s_and_saveexec_b64 s[62:63], s[60:61]
	s_xor_b64 s[68:69], exec, s[62:63]
	s_cbranch_execz .LBB14_2531
; %bb.2526:                             ;   in Loop: Header=BB14_17 Depth=1
	v_cmp_gt_i16_sdwa s[60:61], v7, v51 src0_sel:BYTE_0 src1_sel:DWORD
                                        ; implicit-def: $vgpr66
	s_and_saveexec_b64 s[62:63], s[60:61]
	s_xor_b64 s[60:61], exec, s[62:63]
	s_cbranch_execz .LBB14_2528
; %bb.2527:                             ;   in Loop: Header=BB14_17 Depth=1
	flat_load_dwordx2 v[14:15], v[14:15]
	s_waitcnt vmcnt(0) lgkmcnt(0)
	v_cvt_f32_f64_e32 v66, v[14:15]
                                        ; implicit-def: $vgpr14_vgpr15
.LBB14_2528:                            ;   in Loop: Header=BB14_17 Depth=1
	s_andn2_saveexec_b64 s[60:61], s[60:61]
	s_cbranch_execz .LBB14_2530
; %bb.2529:                             ;   in Loop: Header=BB14_17 Depth=1
	s_waitcnt vmcnt(0) lgkmcnt(0)
	flat_load_dword v66, v[14:15]
.LBB14_2530:                            ;   in Loop: Header=BB14_17 Depth=1
	s_or_b64 exec, exec, s[60:61]
                                        ; implicit-def: $vgpr14_vgpr15
.LBB14_2531:                            ;   in Loop: Header=BB14_17 Depth=1
	s_andn2_saveexec_b64 s[60:61], s[68:69]
	s_cbranch_execz .LBB14_2533
; %bb.2532:                             ;   in Loop: Header=BB14_17 Depth=1
	flat_load_ushort v14, v[14:15]
	s_waitcnt vmcnt(0) lgkmcnt(0)
	v_cvt_f32_f16_e32 v66, v14
.LBB14_2533:                            ;   in Loop: Header=BB14_17 Depth=1
	s_or_b64 exec, exec, s[60:61]
.LBB14_2534:                            ;   in Loop: Header=BB14_17 Depth=1
	s_or_b64 exec, exec, s[66:67]
                                        ; implicit-def: $vgpr14_vgpr15
.LBB14_2535:                            ;   in Loop: Header=BB14_17 Depth=1
	s_andn2_saveexec_b64 s[72:73], s[72:73]
	s_cbranch_execz .LBB14_2553
; %bb.2536:                             ;   in Loop: Header=BB14_17 Depth=1
	v_cmp_gt_i16_sdwa s[60:61], v7, v52 src0_sel:BYTE_0 src1_sel:DWORD
                                        ; implicit-def: $vgpr66
	s_and_saveexec_b64 s[62:63], s[60:61]
	s_xor_b64 s[74:75], exec, s[62:63]
	s_cbranch_execz .LBB14_2546
; %bb.2537:                             ;   in Loop: Header=BB14_17 Depth=1
	v_cmp_gt_i16_sdwa s[60:61], v7, v53 src0_sel:BYTE_0 src1_sel:DWORD
                                        ; implicit-def: $vgpr66
	s_and_saveexec_b64 s[62:63], s[60:61]
	s_xor_b64 s[66:67], exec, s[62:63]
	;; [unrolled: 6-line block ×3, first 2 shown]
	s_cbranch_execz .LBB14_2540
; %bb.2539:                             ;   in Loop: Header=BB14_17 Depth=1
	flat_load_dwordx2 v[14:15], v[14:15]
	s_waitcnt vmcnt(0) lgkmcnt(0)
	v_xor_b32_e32 v66, v14, v15
	v_ffbh_i32_e32 v64, v15
	v_ashrrev_i32_e32 v66, 31, v66
	v_add_u32_e32 v64, -1, v64
	v_add_u32_e32 v66, 32, v66
	v_min_u32_e32 v64, v64, v66
	v_lshlrev_b64 v[14:15], v64, v[14:15]
	v_min_u32_e32 v14, 1, v14
	v_or_b32_e32 v14, v15, v14
	v_cvt_f32_i32_e32 v14, v14
	v_sub_u32_e32 v15, 32, v64
	v_ldexp_f32 v66, v14, v15
                                        ; implicit-def: $vgpr14_vgpr15
.LBB14_2540:                            ;   in Loop: Header=BB14_17 Depth=1
	s_andn2_saveexec_b64 s[60:61], s[68:69]
	s_cbranch_execz .LBB14_2542
; %bb.2541:                             ;   in Loop: Header=BB14_17 Depth=1
	flat_load_dword v14, v[14:15]
	s_waitcnt vmcnt(0) lgkmcnt(0)
	v_cvt_f32_i32_e32 v66, v14
.LBB14_2542:                            ;   in Loop: Header=BB14_17 Depth=1
	s_or_b64 exec, exec, s[60:61]
                                        ; implicit-def: $vgpr14_vgpr15
.LBB14_2543:                            ;   in Loop: Header=BB14_17 Depth=1
	s_andn2_saveexec_b64 s[60:61], s[66:67]
	s_cbranch_execz .LBB14_2545
; %bb.2544:                             ;   in Loop: Header=BB14_17 Depth=1
	flat_load_sshort v14, v[14:15]
	s_waitcnt vmcnt(0) lgkmcnt(0)
	v_cvt_f32_i32_e32 v66, v14
.LBB14_2545:                            ;   in Loop: Header=BB14_17 Depth=1
	s_or_b64 exec, exec, s[60:61]
                                        ; implicit-def: $vgpr14_vgpr15
.LBB14_2546:                            ;   in Loop: Header=BB14_17 Depth=1
	s_andn2_saveexec_b64 s[66:67], s[74:75]
	s_cbranch_execz .LBB14_2552
; %bb.2547:                             ;   in Loop: Header=BB14_17 Depth=1
	v_cmp_gt_i16_sdwa s[60:61], v7, v16 src0_sel:BYTE_0 src1_sel:DWORD
                                        ; implicit-def: $vgpr66
	s_and_saveexec_b64 s[62:63], s[60:61]
	s_xor_b64 s[60:61], exec, s[62:63]
	s_cbranch_execz .LBB14_2549
; %bb.2548:                             ;   in Loop: Header=BB14_17 Depth=1
	flat_load_sbyte v14, v[14:15]
	s_waitcnt vmcnt(0) lgkmcnt(0)
	v_cvt_f32_i32_e32 v66, v14
                                        ; implicit-def: $vgpr14_vgpr15
.LBB14_2549:                            ;   in Loop: Header=BB14_17 Depth=1
	s_andn2_saveexec_b64 s[60:61], s[60:61]
	s_cbranch_execz .LBB14_2551
; %bb.2550:                             ;   in Loop: Header=BB14_17 Depth=1
	flat_load_ubyte v14, v[14:15]
	s_waitcnt vmcnt(0) lgkmcnt(0)
	v_cvt_f32_ubyte0_e32 v66, v14
.LBB14_2551:                            ;   in Loop: Header=BB14_17 Depth=1
	s_or_b64 exec, exec, s[60:61]
.LBB14_2552:                            ;   in Loop: Header=BB14_17 Depth=1
	s_or_b64 exec, exec, s[66:67]
.LBB14_2553:                            ;   in Loop: Header=BB14_17 Depth=1
	s_or_b64 exec, exec, s[72:73]
	s_andn2_b64 s[80:81], s[80:81], exec
	s_andn2_b64 s[78:79], s[78:79], exec
	s_or_b64 vcc, vcc, exec
	s_or_b64 exec, exec, s[86:87]
	s_mov_b64 s[66:67], 0
	s_and_saveexec_b64 s[86:87], vcc
	s_cbranch_execz .LBB14_2559
.LBB14_2554:                            ;   in Loop: Header=BB14_17 Depth=1
	v_mul_lo_u32 v14, v65, v10
	v_readlane_b32 s60, v44, 0
	v_add_co_u32_e32 v14, vcc, v4, v14
	v_add_u32_e32 v64, s60, v17
	v_addc_co_u32_e32 v15, vcc, 0, v5, vcc
	v_cmp_gt_i16_sdwa s[60:61], v8, v18 src0_sel:BYTE_0 src1_sel:DWORD
	s_mov_b64 s[92:93], 0
	s_waitcnt vmcnt(0) lgkmcnt(0)
	buffer_store_dword v66, v64, s[0:3], 0 offen offset:92
                                        ; implicit-def: $vcc
                                        ; implicit-def: $sgpr90_sgpr91
                                        ; implicit-def: $vgpr65
	s_and_saveexec_b64 s[62:63], s[60:61]
	s_xor_b64 s[88:89], exec, s[62:63]
	s_cbranch_execnz .LBB14_2581
; %bb.2555:                             ;   in Loop: Header=BB14_17 Depth=1
	s_andn2_saveexec_b64 s[88:89], s[88:89]
	s_cbranch_execnz .LBB14_2640
.LBB14_2556:                            ;   in Loop: Header=BB14_17 Depth=1
	s_or_b64 exec, exec, s[88:89]
	s_mov_b64 s[66:67], 0
	s_and_saveexec_b64 s[68:69], s[92:93]
	s_cbranch_execz .LBB14_2558
.LBB14_2557:                            ;   in Loop: Header=BB14_17 Depth=1
	s_mov_b64 s[66:67], exec
	v_add_u32_e32 v55, 0x200, v55
	s_andn2_b64 s[90:91], s[90:91], exec
	s_andn2_b64 vcc, vcc, exec
	s_waitcnt vmcnt(0) lgkmcnt(0)
	buffer_store_dword v65, v64, s[0:3], 0 offen offset:88
.LBB14_2558:                            ;   in Loop: Header=BB14_17 Depth=1
	s_or_b64 exec, exec, s[68:69]
	s_andn2_b64 s[60:61], s[80:81], exec
	s_and_b64 s[62:63], s[90:91], exec
	s_or_b64 s[80:81], s[60:61], s[62:63]
	s_andn2_b64 s[60:61], s[78:79], exec
	s_and_b64 vcc, vcc, exec
	s_or_b64 s[78:79], s[60:61], vcc
	s_and_b64 s[66:67], s[66:67], exec
.LBB14_2559:                            ;   in Loop: Header=BB14_17 Depth=1
	s_or_b64 exec, exec, s[86:87]
	s_and_b64 vcc, s[80:81], exec
	v_writelane_b32 v44, vcc_lo, 18
	v_writelane_b32 v44, vcc_hi, 19
	s_and_b64 s[62:63], s[78:79], exec
	s_orn2_b64 s[66:67], s[66:67], exec
.LBB14_2560:                            ;   in Loop: Header=BB14_17 Depth=1
	s_or_b64 exec, exec, s[82:83]
	s_and_saveexec_b64 s[82:83], s[66:67]
	s_cbranch_execz .LBB14_5
; %bb.2561:                             ;   in Loop: Header=BB14_17 Depth=1
	v_writelane_b32 v44, s62, 20
	v_cmp_lt_i32_e32 vcc, v55, v6
	s_mov_b64 s[90:91], -1
	s_mov_b64 s[66:67], -1
	v_writelane_b32 v44, s63, 21
                                        ; implicit-def: $sgpr62_sgpr63
                                        ; implicit-def: $sgpr60_sgpr61
                                        ; kill: killed $sgpr60_sgpr61
	s_and_saveexec_b64 s[88:89], vcc
	s_cbranch_execz .LBB14_2887
; %bb.2562:                             ;   in Loop: Header=BB14_17 Depth=1
	v_readlane_b32 vcc_lo, v44, 1
	s_waitcnt vmcnt(0) lgkmcnt(0)
	v_add_u32_e32 v65, vcc_lo, v55
	v_mul_lo_u32 v14, v65, v9
	v_add_co_u32_e32 v14, vcc, v2, v14
	v_addc_co_u32_e32 v15, vcc, 0, v3, vcc
	v_cmp_gt_i16_sdwa s[60:61], v7, v18 src0_sel:BYTE_0 src1_sel:DWORD
	s_mov_b64 vcc, 0
                                        ; implicit-def: $sgpr84_sgpr85
                                        ; implicit-def: $sgpr86_sgpr87
                                        ; implicit-def: $vgpr66
	s_and_saveexec_b64 s[62:63], s[60:61]
	s_xor_b64 s[92:93], exec, s[62:63]
	s_cbranch_execnz .LBB14_2681
; %bb.2563:                             ;   in Loop: Header=BB14_17 Depth=1
	s_andn2_saveexec_b64 s[78:79], s[92:93]
	s_cbranch_execnz .LBB14_2740
.LBB14_2564:                            ;   in Loop: Header=BB14_17 Depth=1
	s_or_b64 exec, exec, s[78:79]
	s_mov_b64 s[66:67], 0
	s_and_saveexec_b64 s[92:93], vcc
	s_cbranch_execnz .LBB14_2781
	s_branch .LBB14_2886
.LBB14_2565:                            ;   in Loop: Header=BB14_17 Depth=1
	s_movk_i32 vcc_lo, 0x80
	v_cmp_eq_u16_e32 vcc, vcc_lo, v14
	s_mov_b64 s[74:75], -1
                                        ; implicit-def: $sgpr80
	s_and_saveexec_b64 s[78:79], vcc
; %bb.2566:                             ;   in Loop: Header=BB14_17 Depth=1
	s_mov_b32 s80, 0x7f800001
	s_xor_b64 s[74:75], exec, -1
; %bb.2567:                             ;   in Loop: Header=BB14_17 Depth=1
	s_or_b64 exec, exec, s[78:79]
	s_and_b64 s[74:75], s[74:75], exec
	s_or_saveexec_b64 s[76:77], s[76:77]
	v_mov_b32_e32 v64, s80
	s_xor_b64 exec, exec, s[76:77]
	s_cbranch_execz .LBB14_1484
.LBB14_2568:                            ;   in Loop: Header=BB14_17 Depth=1
	v_cmp_ne_u16_e32 vcc, 0, v14
	s_andn2_b64 s[74:75], s[74:75], exec
	s_and_b64 vcc, vcc, exec
	v_mov_b32_e32 v64, 0
	s_or_b64 s[74:75], s[74:75], vcc
	s_or_b64 exec, exec, s[76:77]
	s_and_saveexec_b64 s[76:77], s[74:75]
	s_cbranch_execnz .LBB14_1485
	s_branch .LBB14_1486
.LBB14_2569:                            ;   in Loop: Header=BB14_17 Depth=1
	s_movk_i32 vcc_lo, 0x80
	v_cmp_eq_u16_e32 vcc, vcc_lo, v14
	s_mov_b64 s[74:75], -1
                                        ; implicit-def: $sgpr80
	s_and_saveexec_b64 s[78:79], vcc
; %bb.2570:                             ;   in Loop: Header=BB14_17 Depth=1
	s_mov_b32 s80, 0x7f800001
	s_xor_b64 s[74:75], exec, -1
; %bb.2571:                             ;   in Loop: Header=BB14_17 Depth=1
	s_or_b64 exec, exec, s[78:79]
	s_and_b64 s[74:75], s[74:75], exec
	s_or_saveexec_b64 s[76:77], s[76:77]
	v_mov_b32_e32 v66, s80
	s_xor_b64 exec, exec, s[76:77]
	s_cbranch_execz .LBB14_1584
.LBB14_2572:                            ;   in Loop: Header=BB14_17 Depth=1
	v_cmp_ne_u16_e32 vcc, 0, v14
	s_andn2_b64 s[74:75], s[74:75], exec
	s_and_b64 vcc, vcc, exec
	v_mov_b32_e32 v66, 0
	s_or_b64 s[74:75], s[74:75], vcc
	s_or_b64 exec, exec, s[76:77]
	s_and_saveexec_b64 s[76:77], s[74:75]
	s_cbranch_execnz .LBB14_1585
	s_branch .LBB14_1586
.LBB14_2573:                            ;   in Loop: Header=BB14_17 Depth=1
	s_movk_i32 vcc_lo, 0x80
	v_cmp_eq_u16_e32 vcc, vcc_lo, v14
	s_mov_b64 s[78:79], -1
                                        ; implicit-def: $sgpr84
	s_and_saveexec_b64 s[82:83], vcc
; %bb.2574:                             ;   in Loop: Header=BB14_17 Depth=1
	s_mov_b32 s84, 0x7f800001
	s_xor_b64 s[78:79], exec, -1
; %bb.2575:                             ;   in Loop: Header=BB14_17 Depth=1
	s_or_b64 exec, exec, s[82:83]
	s_and_b64 s[78:79], s[78:79], exec
	s_or_saveexec_b64 s[80:81], s[80:81]
	v_mov_b32_e32 v64, s84
	s_xor_b64 exec, exec, s[80:81]
	s_cbranch_execz .LBB14_1700
.LBB14_2576:                            ;   in Loop: Header=BB14_17 Depth=1
	v_cmp_ne_u16_e32 vcc, 0, v14
	s_andn2_b64 s[78:79], s[78:79], exec
	s_and_b64 vcc, vcc, exec
	v_mov_b32_e32 v64, 0
	s_or_b64 s[78:79], s[78:79], vcc
	s_or_b64 exec, exec, s[80:81]
	s_and_saveexec_b64 s[80:81], s[78:79]
	s_cbranch_execnz .LBB14_1701
	s_branch .LBB14_1702
.LBB14_2577:                            ;   in Loop: Header=BB14_17 Depth=1
	s_movk_i32 vcc_lo, 0x80
	v_cmp_eq_u16_e32 vcc, vcc_lo, v14
	s_mov_b64 s[78:79], -1
                                        ; implicit-def: $sgpr84
	s_and_saveexec_b64 s[82:83], vcc
; %bb.2578:                             ;   in Loop: Header=BB14_17 Depth=1
	s_mov_b32 s84, 0x7f800001
	s_xor_b64 s[78:79], exec, -1
; %bb.2579:                             ;   in Loop: Header=BB14_17 Depth=1
	s_or_b64 exec, exec, s[82:83]
	s_and_b64 s[78:79], s[78:79], exec
	s_or_saveexec_b64 s[80:81], s[80:81]
	v_mov_b32_e32 v66, s84
	s_xor_b64 exec, exec, s[80:81]
	s_cbranch_execz .LBB14_1800
.LBB14_2580:                            ;   in Loop: Header=BB14_17 Depth=1
	v_cmp_ne_u16_e32 vcc, 0, v14
	s_andn2_b64 s[78:79], s[78:79], exec
	s_and_b64 vcc, vcc, exec
	v_mov_b32_e32 v66, 0
	s_or_b64 s[78:79], s[78:79], vcc
	s_or_b64 exec, exec, s[80:81]
	s_and_saveexec_b64 s[80:81], s[78:79]
	s_cbranch_execnz .LBB14_1801
	s_branch .LBB14_1802
.LBB14_2581:                            ;   in Loop: Header=BB14_17 Depth=1
	v_cmp_gt_i16_sdwa vcc, v8, v19 src0_sel:BYTE_0 src1_sel:DWORD
	s_mov_b64 s[74:75], 0
                                        ; implicit-def: $sgpr94_sgpr95
                                        ; implicit-def: $sgpr96_sgpr97
                                        ; implicit-def: $vgpr65
	s_and_saveexec_b64 s[60:61], vcc
	s_xor_b64 s[90:91], exec, s[60:61]
	s_cbranch_execz .LBB14_2613
; %bb.2582:                             ;   in Loop: Header=BB14_17 Depth=1
	v_cmp_gt_i16_sdwa vcc, v8, v20 src0_sel:BYTE_0 src1_sel:DWORD
                                        ; implicit-def: $sgpr72_sgpr73
                                        ; implicit-def: $sgpr96_sgpr97
                                        ; implicit-def: $vgpr65
	s_and_saveexec_b64 s[60:61], vcc
	s_xor_b64 s[94:95], exec, s[60:61]
	s_cbranch_execz .LBB14_2598
; %bb.2583:                             ;   in Loop: Header=BB14_17 Depth=1
	v_cmp_gt_i16_sdwa s[60:61], v8, v21 src0_sel:BYTE_0 src1_sel:DWORD
                                        ; implicit-def: $vcc
                                        ; implicit-def: $sgpr96_sgpr97
                                        ; implicit-def: $vgpr65
	s_and_saveexec_b64 s[62:63], s[60:61]
	s_xor_b64 s[72:73], exec, s[62:63]
	s_cbranch_execz .LBB14_2593
; %bb.2584:                             ;   in Loop: Header=BB14_17 Depth=1
	v_cmp_gt_i16_sdwa vcc, v8, v22 src0_sel:BYTE_0 src1_sel:DWORD
                                        ; implicit-def: $sgpr96_sgpr97
                                        ; implicit-def: $sgpr74_sgpr75
                                        ; implicit-def: $vgpr65
	s_and_saveexec_b64 s[60:61], vcc
	s_xor_b64 vcc, exec, s[60:61]
	s_cbranch_execz .LBB14_2588
; %bb.2585:                             ;   in Loop: Header=BB14_17 Depth=1
	v_cmp_eq_u16_sdwa s[62:63], v8, v23 src0_sel:BYTE_0 src1_sel:DWORD
	s_mov_b64 s[74:75], 0
                                        ; implicit-def: $vgpr65
	s_and_saveexec_b64 s[60:61], s[62:63]
	s_cbranch_execz .LBB14_2587
; %bb.2586:                             ;   in Loop: Header=BB14_17 Depth=1
	flat_load_dword v14, v[14:15]
	s_mov_b64 s[66:67], exec
	s_waitcnt vmcnt(0) lgkmcnt(0)
	v_lshlrev_b32_e32 v65, 16, v14
.LBB14_2587:                            ;   in Loop: Header=BB14_17 Depth=1
	s_or_b64 exec, exec, s[60:61]
	s_mov_b64 s[96:97], -1
	s_and_b64 s[92:93], s[66:67], exec
                                        ; implicit-def: $vgpr14_vgpr15
.LBB14_2588:                            ;   in Loop: Header=BB14_17 Depth=1
	s_andn2_saveexec_b64 s[66:67], vcc
	s_cbranch_execz .LBB14_2592
; %bb.2589:                             ;   in Loop: Header=BB14_17 Depth=1
	v_cmp_eq_u16_sdwa s[60:61], v8, v24 src0_sel:BYTE_0 src1_sel:DWORD
	s_mov_b64 vcc, s[92:93]
                                        ; implicit-def: $vgpr65
	s_and_saveexec_b64 s[68:69], s[60:61]
	s_cbranch_execz .LBB14_2591
; %bb.2590:                             ;   in Loop: Header=BB14_17 Depth=1
	flat_load_ubyte v14, v[14:15]
	s_movk_i32 vcc_lo, 0xff
	s_waitcnt vmcnt(0) lgkmcnt(0)
	v_lshlrev_b32_e32 v15, 23, v14
	v_cmp_ne_u32_e32 vcc, vcc_lo, v14
	v_cndmask_b32_e32 v15, v25, v15, vcc
	v_cmp_ne_u32_e32 vcc, 0, v14
	v_cndmask_b32_e32 v65, v26, v15, vcc
	s_or_b64 vcc, s[92:93], exec
.LBB14_2591:                            ;   in Loop: Header=BB14_17 Depth=1
	s_or_b64 exec, exec, s[68:69]
	s_andn2_b64 s[60:61], s[92:93], exec
	s_and_b64 vcc, vcc, exec
	s_or_b64 s[96:97], s[96:97], exec
	s_andn2_b64 s[74:75], s[74:75], exec
	s_or_b64 s[92:93], s[60:61], vcc
.LBB14_2592:                            ;   in Loop: Header=BB14_17 Depth=1
	s_or_b64 exec, exec, s[66:67]
	s_and_b64 s[96:97], s[96:97], exec
	s_and_b64 vcc, s[74:75], exec
	s_and_b64 s[74:75], s[92:93], exec
                                        ; implicit-def: $vgpr14_vgpr15
.LBB14_2593:                            ;   in Loop: Header=BB14_17 Depth=1
	s_andn2_saveexec_b64 s[66:67], s[72:73]
	s_cbranch_execz .LBB14_2597
; %bb.2594:                             ;   in Loop: Header=BB14_17 Depth=1
	v_cmp_eq_u16_sdwa s[60:61], v8, v27 src0_sel:BYTE_0 src1_sel:DWORD
	s_mov_b64 s[70:71], s[74:75]
                                        ; implicit-def: $vgpr65
	s_and_saveexec_b64 s[68:69], s[60:61]
	s_cbranch_execz .LBB14_2596
; %bb.2595:                             ;   in Loop: Header=BB14_17 Depth=1
	flat_load_dwordx2 v[14:15], v[14:15]
	s_or_b64 s[70:71], s[74:75], exec
	s_waitcnt vmcnt(0) lgkmcnt(0)
	v_ffbh_u32_e32 v65, v15
	v_min_u32_e32 v65, 32, v65
	v_lshlrev_b64 v[14:15], v65, v[14:15]
	v_min_u32_e32 v14, 1, v14
	v_or_b32_e32 v14, v15, v14
	v_cvt_f32_u32_e32 v14, v14
	v_sub_u32_e32 v15, 32, v65
	v_ldexp_f32 v65, v14, v15
.LBB14_2596:                            ;   in Loop: Header=BB14_17 Depth=1
	s_or_b64 exec, exec, s[68:69]
	s_andn2_b64 s[60:61], s[74:75], exec
	s_and_b64 s[62:63], s[70:71], exec
	s_or_b64 s[96:97], s[96:97], exec
	s_andn2_b64 vcc, vcc, exec
	s_or_b64 s[74:75], s[60:61], s[62:63]
.LBB14_2597:                            ;   in Loop: Header=BB14_17 Depth=1
	s_or_b64 exec, exec, s[66:67]
	s_and_b64 s[96:97], s[96:97], exec
	s_and_b64 s[72:73], vcc, exec
	s_and_b64 s[92:93], s[74:75], exec
                                        ; implicit-def: $vgpr14_vgpr15
.LBB14_2598:                            ;   in Loop: Header=BB14_17 Depth=1
	s_andn2_saveexec_b64 s[94:95], s[94:95]
	s_cbranch_execz .LBB14_2612
; %bb.2599:                             ;   in Loop: Header=BB14_17 Depth=1
	v_cmp_gt_i16_sdwa vcc, v8, v28 src0_sel:BYTE_0 src1_sel:DWORD
                                        ; implicit-def: $vgpr65
	s_and_saveexec_b64 s[60:61], vcc
	s_xor_b64 vcc, exec, s[60:61]
	s_cbranch_execz .LBB14_2605
; %bb.2600:                             ;   in Loop: Header=BB14_17 Depth=1
	v_cmp_gt_i16_sdwa s[60:61], v8, v29 src0_sel:BYTE_0 src1_sel:DWORD
                                        ; implicit-def: $vgpr65
	s_and_saveexec_b64 s[62:63], s[60:61]
	s_xor_b64 s[60:61], exec, s[62:63]
	s_cbranch_execz .LBB14_2602
; %bb.2601:                             ;   in Loop: Header=BB14_17 Depth=1
	flat_load_dword v14, v[14:15]
	s_waitcnt vmcnt(0) lgkmcnt(0)
	v_cvt_f32_u32_e32 v65, v14
                                        ; implicit-def: $vgpr14_vgpr15
.LBB14_2602:                            ;   in Loop: Header=BB14_17 Depth=1
	s_andn2_saveexec_b64 s[60:61], s[60:61]
	s_cbranch_execz .LBB14_2604
; %bb.2603:                             ;   in Loop: Header=BB14_17 Depth=1
	flat_load_ushort v14, v[14:15]
	s_waitcnt vmcnt(0) lgkmcnt(0)
	v_cvt_f32_u32_e32 v65, v14
.LBB14_2604:                            ;   in Loop: Header=BB14_17 Depth=1
	s_or_b64 exec, exec, s[60:61]
                                        ; implicit-def: $vgpr14_vgpr15
.LBB14_2605:                            ;   in Loop: Header=BB14_17 Depth=1
	s_andn2_saveexec_b64 s[74:75], vcc
	s_cbranch_execz .LBB14_2611
; %bb.2606:                             ;   in Loop: Header=BB14_17 Depth=1
	flat_load_ubyte v14, v[14:15]
	s_movk_i32 vcc_lo, 0x7f
	s_mov_b64 s[66:67], 0
                                        ; implicit-def: $sgpr70
	s_waitcnt vmcnt(0) lgkmcnt(0)
	v_cmp_lt_i16_e32 vcc, vcc_lo, v14
	s_and_saveexec_b64 s[60:61], vcc
	s_xor_b64 s[68:69], exec, s[60:61]
	s_cbranch_execnz .LBB14_3478
; %bb.2607:                             ;   in Loop: Header=BB14_17 Depth=1
	s_or_saveexec_b64 s[68:69], s[68:69]
	v_mov_b32_e32 v65, s70
	s_xor_b64 exec, exec, s[68:69]
	s_cbranch_execnz .LBB14_3481
.LBB14_2608:                            ;   in Loop: Header=BB14_17 Depth=1
	s_or_b64 exec, exec, s[68:69]
	s_and_saveexec_b64 s[68:69], s[66:67]
	s_cbranch_execz .LBB14_2610
.LBB14_2609:                            ;   in Loop: Header=BB14_17 Depth=1
	v_lshlrev_b32_e32 v15, 24, v14
	v_and_b32_e32 v14, 0xffff, v14
	v_and_b32_e32 v65, 7, v14
	v_ffbh_u32_e32 v67, v65
	v_min_u32_e32 v67, 32, v67
	v_subrev_u32_e32 v68, 28, v67
	v_bfe_u32 v66, v14, 3, 4
	v_lshlrev_b32_e32 v14, v68, v14
	v_sub_u32_e32 v67, 29, v67
	v_and_b32_e32 v14, 7, v14
	v_cmp_eq_u32_e32 vcc, 0, v66
	v_cndmask_b32_e32 v66, v66, v67, vcc
	v_cndmask_b32_e32 v14, v65, v14, vcc
	v_lshlrev_b32_e32 v14, 20, v14
	v_and_b32_e32 v15, 0x80000000, v15
	v_lshl_add_u32 v65, v66, 23, v30
	v_or3_b32 v65, v15, v65, v14
.LBB14_2610:                            ;   in Loop: Header=BB14_17 Depth=1
	s_or_b64 exec, exec, s[68:69]
.LBB14_2611:                            ;   in Loop: Header=BB14_17 Depth=1
	s_or_b64 exec, exec, s[74:75]
	s_andn2_b64 s[96:97], s[96:97], exec
	s_andn2_b64 s[72:73], s[72:73], exec
	s_or_b64 s[92:93], s[92:93], exec
.LBB14_2612:                            ;   in Loop: Header=BB14_17 Depth=1
	s_or_b64 exec, exec, s[94:95]
	s_and_b64 s[96:97], s[96:97], exec
	s_and_b64 s[94:95], s[72:73], exec
	;; [unrolled: 1-line block ×3, first 2 shown]
                                        ; implicit-def: $vgpr14_vgpr15
.LBB14_2613:                            ;   in Loop: Header=BB14_17 Depth=1
	s_andn2_saveexec_b64 s[90:91], s[90:91]
	s_cbranch_execz .LBB14_2639
; %bb.2614:                             ;   in Loop: Header=BB14_17 Depth=1
	v_cmp_gt_i16_sdwa vcc, v8, v31 src0_sel:BYTE_0 src1_sel:DWORD
	s_mov_b64 s[92:93], s[74:75]
                                        ; implicit-def: $vgpr65
	s_and_saveexec_b64 s[60:61], vcc
	s_xor_b64 s[72:73], exec, s[60:61]
	s_cbranch_execz .LBB14_2628
; %bb.2615:                             ;   in Loop: Header=BB14_17 Depth=1
	v_cmp_gt_i16_sdwa vcc, v8, v32 src0_sel:BYTE_0 src1_sel:DWORD
                                        ; implicit-def: $vgpr65
	s_and_saveexec_b64 s[60:61], vcc
	s_xor_b64 s[62:63], exec, s[60:61]
	s_cbranch_execz .LBB14_2625
; %bb.2616:                             ;   in Loop: Header=BB14_17 Depth=1
	v_cmp_gt_i16_sdwa vcc, v8, v33 src0_sel:BYTE_0 src1_sel:DWORD
                                        ; implicit-def: $vgpr65
	s_and_saveexec_b64 s[60:61], vcc
	s_xor_b64 s[92:93], exec, s[60:61]
	s_cbranch_execz .LBB14_2622
; %bb.2617:                             ;   in Loop: Header=BB14_17 Depth=1
	flat_load_ubyte v14, v[14:15]
	s_movk_i32 vcc_lo, 0x7f
	s_mov_b64 s[66:67], 0
                                        ; implicit-def: $sgpr70
	s_waitcnt vmcnt(0) lgkmcnt(0)
	v_cmp_lt_i16_e32 vcc, vcc_lo, v14
	s_and_saveexec_b64 s[60:61], vcc
	s_xor_b64 s[68:69], exec, s[60:61]
	s_cbranch_execnz .LBB14_3586
; %bb.2618:                             ;   in Loop: Header=BB14_17 Depth=1
	s_or_saveexec_b64 s[68:69], s[68:69]
	v_mov_b32_e32 v65, s70
	s_xor_b64 exec, exec, s[68:69]
	s_cbranch_execnz .LBB14_3589
.LBB14_2619:                            ;   in Loop: Header=BB14_17 Depth=1
	s_or_b64 exec, exec, s[68:69]
	s_and_saveexec_b64 s[68:69], s[66:67]
	s_cbranch_execz .LBB14_2621
.LBB14_2620:                            ;   in Loop: Header=BB14_17 Depth=1
	v_lshlrev_b32_e32 v15, 24, v14
	v_and_b32_e32 v14, 0xffff, v14
	v_and_b32_e32 v65, 3, v14
	v_ffbh_u32_e32 v67, v65
	v_min_u32_e32 v67, 32, v67
	v_subrev_u32_e32 v68, 29, v67
	v_bfe_u32 v66, v14, 2, 5
	v_lshlrev_b32_e32 v14, v68, v14
	v_sub_u32_e32 v67, 30, v67
	v_and_b32_e32 v14, 3, v14
	v_cmp_eq_u32_e32 vcc, 0, v66
	v_cndmask_b32_e32 v66, v66, v67, vcc
	v_cndmask_b32_e32 v14, v65, v14, vcc
	v_lshlrev_b32_e32 v14, 21, v14
	v_and_b32_e32 v15, 0x80000000, v15
	v_lshl_add_u32 v65, v66, 23, v34
	v_or3_b32 v65, v15, v65, v14
.LBB14_2621:                            ;   in Loop: Header=BB14_17 Depth=1
	s_or_b64 exec, exec, s[68:69]
                                        ; implicit-def: $vgpr14_vgpr15
.LBB14_2622:                            ;   in Loop: Header=BB14_17 Depth=1
	s_andn2_saveexec_b64 s[66:67], s[92:93]
	s_cbranch_execz .LBB14_2624
; %bb.2623:                             ;   in Loop: Header=BB14_17 Depth=1
	flat_load_ubyte v14, v[14:15]
	s_mov_b32 vcc_lo, 0x7f800000
	s_waitcnt vmcnt(0) lgkmcnt(0)
	v_lshlrev_b32_e32 v14, 24, v14
	v_and_b32_e32 v15, 0x7f000000, v14
	v_ffbh_u32_e32 v65, v15
	v_min_u32_e32 v65, 32, v65
	v_sub_u32_e64 v65, v65, 4 clamp
	v_lshlrev_b32_e32 v67, v65, v15
	v_lshlrev_b32_e32 v65, 23, v65
	v_lshrrev_b32_e32 v67, 4, v67
	v_add_u32_e32 v66, 0x1000000, v15
	v_sub_u32_e32 v65, v67, v65
	v_ashrrev_i32_e32 v66, 8, v66
	v_add_u32_e32 v65, 0x3c000000, v65
	v_and_or_b32 v65, v66, vcc_lo, v65
	v_cmp_ne_u32_e32 vcc, 0, v15
	v_cndmask_b32_e32 v15, 0, v65, vcc
	s_brev_b32 vcc_lo, 1
	v_and_or_b32 v65, v14, vcc_lo, v15
.LBB14_2624:                            ;   in Loop: Header=BB14_17 Depth=1
	s_or_b64 exec, exec, s[66:67]
                                        ; implicit-def: $vgpr14_vgpr15
.LBB14_2625:                            ;   in Loop: Header=BB14_17 Depth=1
	s_andn2_saveexec_b64 s[66:67], s[62:63]
	s_cbranch_execz .LBB14_2627
; %bb.2626:                             ;   in Loop: Header=BB14_17 Depth=1
	flat_load_ubyte v14, v[14:15]
	s_movk_i32 vcc_lo, 0x7f00
	s_waitcnt vmcnt(0) lgkmcnt(0)
	v_lshlrev_b16_e32 v15, 8, v14
	v_lshlrev_b32_e32 v14, 25, v14
	v_lshrrev_b32_e32 v65, 4, v14
	v_and_or_b32 v66, v15, vcc_lo, 0.5
	v_or_b32_e32 v65, 0x70000000, v65
	s_brev_b32 vcc_lo, 16
	v_add_f32_e32 v66, -0.5, v66
	v_mul_f32_e32 v65, 0x7800000, v65
	v_cmp_gt_u32_e32 vcc, vcc_lo, v14
	v_cndmask_b32_e32 v14, v65, v66, vcc
	v_bfe_i32 v15, v15, 0, 16
	s_brev_b32 vcc_lo, 1
	v_and_or_b32 v65, v15, vcc_lo, v14
.LBB14_2627:                            ;   in Loop: Header=BB14_17 Depth=1
	s_or_b64 exec, exec, s[66:67]
	s_or_b64 s[92:93], s[74:75], exec
                                        ; implicit-def: $vgpr14_vgpr15
.LBB14_2628:                            ;   in Loop: Header=BB14_17 Depth=1
	s_or_saveexec_b64 s[72:73], s[72:73]
                                        ; implicit-def: $vcc
                                        ; implicit-def: $sgpr68_sgpr69
	s_xor_b64 exec, exec, s[72:73]
	s_cbranch_execz .LBB14_2638
; %bb.2629:                             ;   in Loop: Header=BB14_17 Depth=1
	v_cmp_gt_i16_sdwa vcc, v8, v35 src0_sel:BYTE_0 src1_sel:DWORD
	s_mov_b64 s[66:67], s[92:93]
                                        ; implicit-def: $sgpr68_sgpr69
                                        ; implicit-def: $sgpr76_sgpr77
                                        ; implicit-def: $vgpr65
	s_and_saveexec_b64 s[60:61], vcc
	s_xor_b64 vcc, exec, s[60:61]
	s_cbranch_execz .LBB14_2633
; %bb.2630:                             ;   in Loop: Header=BB14_17 Depth=1
	v_cmp_eq_u16_sdwa s[62:63], v8, v36 src0_sel:BYTE_0 src1_sel:DWORD
	s_mov_b64 s[66:67], s[92:93]
                                        ; implicit-def: $vgpr65
	s_and_saveexec_b64 s[60:61], s[62:63]
	s_cbranch_execz .LBB14_2632
; %bb.2631:                             ;   in Loop: Header=BB14_17 Depth=1
	flat_load_ushort v14, v[14:15]
	s_or_b64 s[66:67], s[92:93], exec
	s_waitcnt vmcnt(0) lgkmcnt(0)
	v_lshlrev_b32_e32 v65, 16, v14
.LBB14_2632:                            ;   in Loop: Header=BB14_17 Depth=1
	s_or_b64 exec, exec, s[60:61]
	s_andn2_b64 s[60:61], s[92:93], exec
	s_and_b64 s[62:63], s[66:67], exec
	s_mov_b64 s[76:77], 0
	s_mov_b64 s[68:69], -1
	s_or_b64 s[66:67], s[60:61], s[62:63]
                                        ; implicit-def: $vgpr14_vgpr15
.LBB14_2633:                            ;   in Loop: Header=BB14_17 Depth=1
	s_andn2_saveexec_b64 s[70:71], vcc
	s_cbranch_execz .LBB14_2637
; %bb.2634:                             ;   in Loop: Header=BB14_17 Depth=1
	v_cmp_eq_u16_sdwa s[62:63], v8, v37 src0_sel:BYTE_0 src1_sel:DWORD
	s_mov_b64 vcc, s[66:67]
                                        ; implicit-def: $vgpr65
	s_and_saveexec_b64 s[60:61], s[62:63]
	s_cbranch_execz .LBB14_2636
; %bb.2635:                             ;   in Loop: Header=BB14_17 Depth=1
	flat_load_ubyte v14, v[14:15]
	s_waitcnt vmcnt(0) lgkmcnt(0)
	v_cmp_ne_u16_e32 vcc, 0, v14
	v_cndmask_b32_e64 v65, 0, 1.0, vcc
	s_or_b64 vcc, s[66:67], exec
.LBB14_2636:                            ;   in Loop: Header=BB14_17 Depth=1
	s_or_b64 exec, exec, s[60:61]
	s_andn2_b64 s[60:61], s[66:67], exec
	s_and_b64 vcc, vcc, exec
	s_or_b64 s[68:69], s[68:69], exec
	s_andn2_b64 s[76:77], s[76:77], exec
	s_or_b64 s[66:67], s[60:61], vcc
.LBB14_2637:                            ;   in Loop: Header=BB14_17 Depth=1
	s_or_b64 exec, exec, s[70:71]
	s_andn2_b64 s[60:61], s[92:93], exec
	s_and_b64 s[62:63], s[66:67], exec
	s_and_b64 s[68:69], s[68:69], exec
	s_and_b64 vcc, s[76:77], exec
	s_or_b64 s[92:93], s[60:61], s[62:63]
.LBB14_2638:                            ;   in Loop: Header=BB14_17 Depth=1
	s_or_b64 exec, exec, s[72:73]
	s_andn2_b64 s[60:61], s[96:97], exec
	s_and_b64 s[62:63], s[68:69], exec
	s_or_b64 s[96:97], s[60:61], s[62:63]
	s_andn2_b64 s[60:61], s[94:95], exec
	s_and_b64 vcc, vcc, exec
	s_or_b64 s[94:95], s[60:61], vcc
	s_andn2_b64 vcc, s[74:75], exec
	s_and_b64 s[60:61], s[92:93], exec
	s_or_b64 s[74:75], vcc, s[60:61]
.LBB14_2639:                            ;   in Loop: Header=BB14_17 Depth=1
	s_or_b64 exec, exec, s[90:91]
	s_and_b64 s[90:91], s[96:97], exec
	s_and_b64 vcc, s[94:95], exec
	s_and_b64 s[92:93], s[74:75], exec
                                        ; implicit-def: $vgpr14_vgpr15
	s_andn2_saveexec_b64 s[88:89], s[88:89]
	s_cbranch_execz .LBB14_2556
.LBB14_2640:                            ;   in Loop: Header=BB14_17 Depth=1
	v_cmp_gt_i16_sdwa s[60:61], v8, v38 src0_sel:BYTE_0 src1_sel:DWORD
                                        ; implicit-def: $vgpr65
	s_and_saveexec_b64 s[62:63], s[60:61]
	s_xor_b64 s[72:73], exec, s[62:63]
	s_cbranch_execz .LBB14_2662
; %bb.2641:                             ;   in Loop: Header=BB14_17 Depth=1
	v_cmp_gt_i16_sdwa s[60:61], v8, v39 src0_sel:BYTE_0 src1_sel:DWORD
                                        ; implicit-def: $vgpr65
	s_and_saveexec_b64 s[62:63], s[60:61]
	s_xor_b64 s[66:67], exec, s[62:63]
	s_cbranch_execz .LBB14_2651
; %bb.2642:                             ;   in Loop: Header=BB14_17 Depth=1
	;; [unrolled: 6-line block ×4, first 2 shown]
	flat_load_dwordx2 v[14:15], v[14:15]
	s_waitcnt vmcnt(0) lgkmcnt(0)
	v_cvt_f32_f64_e32 v65, v[14:15]
                                        ; implicit-def: $vgpr14_vgpr15
.LBB14_2645:                            ;   in Loop: Header=BB14_17 Depth=1
	s_andn2_saveexec_b64 s[60:61], s[60:61]
	s_cbranch_execz .LBB14_2647
; %bb.2646:                             ;   in Loop: Header=BB14_17 Depth=1
	flat_load_dword v65, v[14:15]
.LBB14_2647:                            ;   in Loop: Header=BB14_17 Depth=1
	s_or_b64 exec, exec, s[60:61]
                                        ; implicit-def: $vgpr14_vgpr15
.LBB14_2648:                            ;   in Loop: Header=BB14_17 Depth=1
	s_andn2_saveexec_b64 s[60:61], s[68:69]
	s_cbranch_execz .LBB14_2650
; %bb.2649:                             ;   in Loop: Header=BB14_17 Depth=1
	flat_load_dword v14, v[14:15]
	s_waitcnt vmcnt(0) lgkmcnt(0)
	v_cvt_f32_f16_e32 v65, v14
.LBB14_2650:                            ;   in Loop: Header=BB14_17 Depth=1
	s_or_b64 exec, exec, s[60:61]
                                        ; implicit-def: $vgpr14_vgpr15
.LBB14_2651:                            ;   in Loop: Header=BB14_17 Depth=1
	s_andn2_saveexec_b64 s[66:67], s[66:67]
	s_cbranch_execz .LBB14_2661
; %bb.2652:                             ;   in Loop: Header=BB14_17 Depth=1
	v_cmp_gt_i16_sdwa s[60:61], v8, v50 src0_sel:BYTE_0 src1_sel:DWORD
                                        ; implicit-def: $vgpr65
	s_and_saveexec_b64 s[62:63], s[60:61]
	s_xor_b64 s[68:69], exec, s[62:63]
	s_cbranch_execz .LBB14_2658
; %bb.2653:                             ;   in Loop: Header=BB14_17 Depth=1
	v_cmp_gt_i16_sdwa s[60:61], v8, v51 src0_sel:BYTE_0 src1_sel:DWORD
                                        ; implicit-def: $vgpr65
	s_and_saveexec_b64 s[62:63], s[60:61]
	s_xor_b64 s[60:61], exec, s[62:63]
	s_cbranch_execz .LBB14_2655
; %bb.2654:                             ;   in Loop: Header=BB14_17 Depth=1
	flat_load_dwordx2 v[14:15], v[14:15]
	s_waitcnt vmcnt(0) lgkmcnt(0)
	v_cvt_f32_f64_e32 v65, v[14:15]
                                        ; implicit-def: $vgpr14_vgpr15
.LBB14_2655:                            ;   in Loop: Header=BB14_17 Depth=1
	s_andn2_saveexec_b64 s[60:61], s[60:61]
	s_cbranch_execz .LBB14_2657
; %bb.2656:                             ;   in Loop: Header=BB14_17 Depth=1
	s_waitcnt vmcnt(0) lgkmcnt(0)
	flat_load_dword v65, v[14:15]
.LBB14_2657:                            ;   in Loop: Header=BB14_17 Depth=1
	s_or_b64 exec, exec, s[60:61]
                                        ; implicit-def: $vgpr14_vgpr15
.LBB14_2658:                            ;   in Loop: Header=BB14_17 Depth=1
	s_andn2_saveexec_b64 s[60:61], s[68:69]
	s_cbranch_execz .LBB14_2660
; %bb.2659:                             ;   in Loop: Header=BB14_17 Depth=1
	flat_load_ushort v14, v[14:15]
	s_waitcnt vmcnt(0) lgkmcnt(0)
	v_cvt_f32_f16_e32 v65, v14
.LBB14_2660:                            ;   in Loop: Header=BB14_17 Depth=1
	s_or_b64 exec, exec, s[60:61]
.LBB14_2661:                            ;   in Loop: Header=BB14_17 Depth=1
	s_or_b64 exec, exec, s[66:67]
                                        ; implicit-def: $vgpr14_vgpr15
.LBB14_2662:                            ;   in Loop: Header=BB14_17 Depth=1
	s_andn2_saveexec_b64 s[72:73], s[72:73]
	s_cbranch_execz .LBB14_2680
; %bb.2663:                             ;   in Loop: Header=BB14_17 Depth=1
	v_cmp_gt_i16_sdwa s[60:61], v8, v52 src0_sel:BYTE_0 src1_sel:DWORD
                                        ; implicit-def: $vgpr65
	s_and_saveexec_b64 s[62:63], s[60:61]
	s_xor_b64 s[74:75], exec, s[62:63]
	s_cbranch_execz .LBB14_2673
; %bb.2664:                             ;   in Loop: Header=BB14_17 Depth=1
	v_cmp_gt_i16_sdwa s[60:61], v8, v53 src0_sel:BYTE_0 src1_sel:DWORD
                                        ; implicit-def: $vgpr65
	s_and_saveexec_b64 s[62:63], s[60:61]
	s_xor_b64 s[66:67], exec, s[62:63]
	;; [unrolled: 6-line block ×3, first 2 shown]
	s_cbranch_execz .LBB14_2667
; %bb.2666:                             ;   in Loop: Header=BB14_17 Depth=1
	flat_load_dwordx2 v[14:15], v[14:15]
	s_waitcnt vmcnt(0) lgkmcnt(0)
	v_xor_b32_e32 v66, v14, v15
	v_ffbh_i32_e32 v65, v15
	v_ashrrev_i32_e32 v66, 31, v66
	v_add_u32_e32 v65, -1, v65
	v_add_u32_e32 v66, 32, v66
	v_min_u32_e32 v65, v65, v66
	v_lshlrev_b64 v[14:15], v65, v[14:15]
	v_min_u32_e32 v14, 1, v14
	v_or_b32_e32 v14, v15, v14
	v_cvt_f32_i32_e32 v14, v14
	v_sub_u32_e32 v15, 32, v65
	v_ldexp_f32 v65, v14, v15
                                        ; implicit-def: $vgpr14_vgpr15
.LBB14_2667:                            ;   in Loop: Header=BB14_17 Depth=1
	s_andn2_saveexec_b64 s[60:61], s[68:69]
	s_cbranch_execz .LBB14_2669
; %bb.2668:                             ;   in Loop: Header=BB14_17 Depth=1
	flat_load_dword v14, v[14:15]
	s_waitcnt vmcnt(0) lgkmcnt(0)
	v_cvt_f32_i32_e32 v65, v14
.LBB14_2669:                            ;   in Loop: Header=BB14_17 Depth=1
	s_or_b64 exec, exec, s[60:61]
                                        ; implicit-def: $vgpr14_vgpr15
.LBB14_2670:                            ;   in Loop: Header=BB14_17 Depth=1
	s_andn2_saveexec_b64 s[60:61], s[66:67]
	s_cbranch_execz .LBB14_2672
; %bb.2671:                             ;   in Loop: Header=BB14_17 Depth=1
	flat_load_sshort v14, v[14:15]
	s_waitcnt vmcnt(0) lgkmcnt(0)
	v_cvt_f32_i32_e32 v65, v14
.LBB14_2672:                            ;   in Loop: Header=BB14_17 Depth=1
	s_or_b64 exec, exec, s[60:61]
                                        ; implicit-def: $vgpr14_vgpr15
.LBB14_2673:                            ;   in Loop: Header=BB14_17 Depth=1
	s_andn2_saveexec_b64 s[66:67], s[74:75]
	s_cbranch_execz .LBB14_2679
; %bb.2674:                             ;   in Loop: Header=BB14_17 Depth=1
	v_cmp_gt_i16_sdwa s[60:61], v8, v16 src0_sel:BYTE_0 src1_sel:DWORD
                                        ; implicit-def: $vgpr65
	s_and_saveexec_b64 s[62:63], s[60:61]
	s_xor_b64 s[60:61], exec, s[62:63]
	s_cbranch_execz .LBB14_2676
; %bb.2675:                             ;   in Loop: Header=BB14_17 Depth=1
	flat_load_sbyte v14, v[14:15]
	s_waitcnt vmcnt(0) lgkmcnt(0)
	v_cvt_f32_i32_e32 v65, v14
                                        ; implicit-def: $vgpr14_vgpr15
.LBB14_2676:                            ;   in Loop: Header=BB14_17 Depth=1
	s_andn2_saveexec_b64 s[60:61], s[60:61]
	s_cbranch_execz .LBB14_2678
; %bb.2677:                             ;   in Loop: Header=BB14_17 Depth=1
	flat_load_ubyte v14, v[14:15]
	s_waitcnt vmcnt(0) lgkmcnt(0)
	v_cvt_f32_ubyte0_e32 v65, v14
.LBB14_2678:                            ;   in Loop: Header=BB14_17 Depth=1
	s_or_b64 exec, exec, s[60:61]
.LBB14_2679:                            ;   in Loop: Header=BB14_17 Depth=1
	s_or_b64 exec, exec, s[66:67]
.LBB14_2680:                            ;   in Loop: Header=BB14_17 Depth=1
	s_or_b64 exec, exec, s[72:73]
	s_andn2_b64 s[90:91], s[90:91], exec
	s_andn2_b64 vcc, vcc, exec
	s_or_b64 s[92:93], s[92:93], exec
	s_or_b64 exec, exec, s[88:89]
	s_mov_b64 s[66:67], 0
	s_and_saveexec_b64 s[68:69], s[92:93]
	s_cbranch_execnz .LBB14_2557
	s_branch .LBB14_2558
.LBB14_2681:                            ;   in Loop: Header=BB14_17 Depth=1
	v_cmp_gt_i16_sdwa vcc, v7, v19 src0_sel:BYTE_0 src1_sel:DWORD
	s_mov_b64 s[94:95], 0
                                        ; implicit-def: $sgpr78_sgpr79
                                        ; implicit-def: $sgpr80_sgpr81
                                        ; implicit-def: $vgpr66
	s_and_saveexec_b64 s[60:61], vcc
	s_xor_b64 s[84:85], exec, s[60:61]
	s_cbranch_execz .LBB14_2713
; %bb.2682:                             ;   in Loop: Header=BB14_17 Depth=1
	v_cmp_gt_i16_sdwa vcc, v7, v20 src0_sel:BYTE_0 src1_sel:DWORD
	s_mov_b64 s[86:87], 0
                                        ; implicit-def: $sgpr72_sgpr73
                                        ; implicit-def: $sgpr80_sgpr81
                                        ; implicit-def: $vgpr66
	s_and_saveexec_b64 s[60:61], vcc
	s_xor_b64 s[78:79], exec, s[60:61]
	s_cbranch_execz .LBB14_2698
; %bb.2683:                             ;   in Loop: Header=BB14_17 Depth=1
	v_cmp_gt_i16_sdwa s[60:61], v7, v21 src0_sel:BYTE_0 src1_sel:DWORD
	s_mov_b64 s[74:75], 0
                                        ; implicit-def: $vcc
                                        ; implicit-def: $sgpr86_sgpr87
                                        ; implicit-def: $vgpr66
	s_and_saveexec_b64 s[62:63], s[60:61]
	s_xor_b64 s[72:73], exec, s[62:63]
	s_cbranch_execz .LBB14_2693
; %bb.2684:                             ;   in Loop: Header=BB14_17 Depth=1
	v_cmp_gt_i16_sdwa vcc, v7, v22 src0_sel:BYTE_0 src1_sel:DWORD
	s_mov_b64 s[80:81], 0
                                        ; implicit-def: $sgpr74_sgpr75
                                        ; implicit-def: $sgpr94_sgpr95
                                        ; implicit-def: $vgpr66
	s_and_saveexec_b64 s[60:61], vcc
	s_xor_b64 vcc, exec, s[60:61]
	s_cbranch_execz .LBB14_2688
; %bb.2685:                             ;   in Loop: Header=BB14_17 Depth=1
	v_cmp_eq_u16_sdwa s[62:63], v7, v23 src0_sel:BYTE_0 src1_sel:DWORD
	s_mov_b64 s[74:75], 0
	s_mov_b64 s[66:67], 0
                                        ; implicit-def: $vgpr66
	s_and_saveexec_b64 s[60:61], s[62:63]
	s_cbranch_execz .LBB14_2687
; %bb.2686:                             ;   in Loop: Header=BB14_17 Depth=1
	flat_load_dword v14, v[14:15]
	s_mov_b64 s[66:67], exec
	s_waitcnt vmcnt(0) lgkmcnt(0)
	v_lshlrev_b32_e32 v66, 16, v14
.LBB14_2687:                            ;   in Loop: Header=BB14_17 Depth=1
	s_or_b64 exec, exec, s[60:61]
	s_mov_b64 s[94:95], -1
	s_and_b64 s[80:81], s[66:67], exec
                                        ; implicit-def: $vgpr14_vgpr15
.LBB14_2688:                            ;   in Loop: Header=BB14_17 Depth=1
	s_andn2_saveexec_b64 s[66:67], vcc
	s_cbranch_execz .LBB14_2692
; %bb.2689:                             ;   in Loop: Header=BB14_17 Depth=1
	v_cmp_eq_u16_sdwa s[60:61], v7, v24 src0_sel:BYTE_0 src1_sel:DWORD
	s_mov_b64 vcc, s[80:81]
                                        ; implicit-def: $vgpr66
	s_and_saveexec_b64 s[68:69], s[60:61]
	s_cbranch_execz .LBB14_2691
; %bb.2690:                             ;   in Loop: Header=BB14_17 Depth=1
	flat_load_ubyte v14, v[14:15]
	s_movk_i32 vcc_lo, 0xff
	s_waitcnt vmcnt(0) lgkmcnt(0)
	v_lshlrev_b32_e32 v15, 23, v14
	v_cmp_ne_u32_e32 vcc, vcc_lo, v14
	v_cndmask_b32_e32 v15, v25, v15, vcc
	v_cmp_ne_u32_e32 vcc, 0, v14
	v_cndmask_b32_e32 v66, v26, v15, vcc
	s_or_b64 vcc, s[80:81], exec
.LBB14_2691:                            ;   in Loop: Header=BB14_17 Depth=1
	s_or_b64 exec, exec, s[68:69]
	s_andn2_b64 s[60:61], s[80:81], exec
	s_and_b64 vcc, vcc, exec
	s_andn2_b64 s[74:75], s[74:75], exec
	s_or_b64 s[94:95], s[94:95], exec
	s_or_b64 s[80:81], s[60:61], vcc
.LBB14_2692:                            ;   in Loop: Header=BB14_17 Depth=1
	s_or_b64 exec, exec, s[66:67]
	s_and_b64 s[86:87], s[74:75], exec
	s_and_b64 vcc, s[94:95], exec
	s_and_b64 s[74:75], s[80:81], exec
                                        ; implicit-def: $vgpr14_vgpr15
.LBB14_2693:                            ;   in Loop: Header=BB14_17 Depth=1
	s_andn2_saveexec_b64 s[66:67], s[72:73]
	s_cbranch_execz .LBB14_2697
; %bb.2694:                             ;   in Loop: Header=BB14_17 Depth=1
	v_cmp_eq_u16_sdwa s[60:61], v7, v27 src0_sel:BYTE_0 src1_sel:DWORD
	s_mov_b64 s[70:71], s[74:75]
                                        ; implicit-def: $vgpr66
	s_and_saveexec_b64 s[68:69], s[60:61]
	s_cbranch_execz .LBB14_2696
; %bb.2695:                             ;   in Loop: Header=BB14_17 Depth=1
	flat_load_dwordx2 v[14:15], v[14:15]
	s_or_b64 s[70:71], s[74:75], exec
	s_waitcnt vmcnt(0) lgkmcnt(0)
	v_ffbh_u32_e32 v64, v15
	v_min_u32_e32 v64, 32, v64
	v_lshlrev_b64 v[14:15], v64, v[14:15]
	v_min_u32_e32 v14, 1, v14
	v_or_b32_e32 v14, v15, v14
	v_cvt_f32_u32_e32 v14, v14
	v_sub_u32_e32 v15, 32, v64
	v_ldexp_f32 v66, v14, v15
.LBB14_2696:                            ;   in Loop: Header=BB14_17 Depth=1
	s_or_b64 exec, exec, s[68:69]
	s_andn2_b64 s[60:61], s[74:75], exec
	s_and_b64 s[62:63], s[70:71], exec
	s_andn2_b64 s[86:87], s[86:87], exec
	s_or_b64 vcc, vcc, exec
	s_or_b64 s[74:75], s[60:61], s[62:63]
.LBB14_2697:                            ;   in Loop: Header=BB14_17 Depth=1
	s_or_b64 exec, exec, s[66:67]
	s_and_b64 s[80:81], s[86:87], exec
	s_and_b64 s[72:73], vcc, exec
	s_and_b64 s[86:87], s[74:75], exec
                                        ; implicit-def: $vgpr14_vgpr15
.LBB14_2698:                            ;   in Loop: Header=BB14_17 Depth=1
	s_andn2_saveexec_b64 s[78:79], s[78:79]
	s_cbranch_execz .LBB14_2712
; %bb.2699:                             ;   in Loop: Header=BB14_17 Depth=1
	v_cmp_gt_i16_sdwa vcc, v7, v28 src0_sel:BYTE_0 src1_sel:DWORD
                                        ; implicit-def: $vgpr66
	s_and_saveexec_b64 s[60:61], vcc
	s_xor_b64 vcc, exec, s[60:61]
	s_cbranch_execz .LBB14_2705
; %bb.2700:                             ;   in Loop: Header=BB14_17 Depth=1
	v_cmp_gt_i16_sdwa s[60:61], v7, v29 src0_sel:BYTE_0 src1_sel:DWORD
                                        ; implicit-def: $vgpr66
	s_and_saveexec_b64 s[62:63], s[60:61]
	s_xor_b64 s[60:61], exec, s[62:63]
	s_cbranch_execz .LBB14_2702
; %bb.2701:                             ;   in Loop: Header=BB14_17 Depth=1
	flat_load_dword v14, v[14:15]
	s_waitcnt vmcnt(0) lgkmcnt(0)
	v_cvt_f32_u32_e32 v66, v14
                                        ; implicit-def: $vgpr14_vgpr15
.LBB14_2702:                            ;   in Loop: Header=BB14_17 Depth=1
	s_andn2_saveexec_b64 s[60:61], s[60:61]
	s_cbranch_execz .LBB14_2704
; %bb.2703:                             ;   in Loop: Header=BB14_17 Depth=1
	flat_load_ushort v14, v[14:15]
	s_waitcnt vmcnt(0) lgkmcnt(0)
	v_cvt_f32_u32_e32 v66, v14
.LBB14_2704:                            ;   in Loop: Header=BB14_17 Depth=1
	s_or_b64 exec, exec, s[60:61]
                                        ; implicit-def: $vgpr14_vgpr15
.LBB14_2705:                            ;   in Loop: Header=BB14_17 Depth=1
	s_andn2_saveexec_b64 s[74:75], vcc
	s_cbranch_execz .LBB14_2711
; %bb.2706:                             ;   in Loop: Header=BB14_17 Depth=1
	flat_load_ubyte v14, v[14:15]
	s_movk_i32 vcc_lo, 0x7f
	s_mov_b64 s[66:67], 0
                                        ; implicit-def: $sgpr70
	s_waitcnt vmcnt(0) lgkmcnt(0)
	v_cmp_lt_i16_e32 vcc, vcc_lo, v14
	s_and_saveexec_b64 s[60:61], vcc
	s_xor_b64 s[68:69], exec, s[60:61]
	s_cbranch_execnz .LBB14_3482
; %bb.2707:                             ;   in Loop: Header=BB14_17 Depth=1
	s_or_saveexec_b64 s[68:69], s[68:69]
	v_mov_b32_e32 v66, s70
	s_xor_b64 exec, exec, s[68:69]
	s_cbranch_execnz .LBB14_3485
.LBB14_2708:                            ;   in Loop: Header=BB14_17 Depth=1
	s_or_b64 exec, exec, s[68:69]
	s_and_saveexec_b64 s[68:69], s[66:67]
	s_cbranch_execz .LBB14_2710
.LBB14_2709:                            ;   in Loop: Header=BB14_17 Depth=1
	v_lshlrev_b32_e32 v15, 24, v14
	v_and_b32_e32 v14, 0xffff, v14
	v_and_b32_e32 v64, 7, v14
	v_ffbh_u32_e32 v67, v64
	v_min_u32_e32 v67, 32, v67
	v_subrev_u32_e32 v68, 28, v67
	v_bfe_u32 v66, v14, 3, 4
	v_lshlrev_b32_e32 v14, v68, v14
	v_sub_u32_e32 v67, 29, v67
	v_and_b32_e32 v14, 7, v14
	v_cmp_eq_u32_e32 vcc, 0, v66
	v_cndmask_b32_e32 v66, v66, v67, vcc
	v_cndmask_b32_e32 v14, v64, v14, vcc
	v_lshlrev_b32_e32 v14, 20, v14
	v_and_b32_e32 v15, 0x80000000, v15
	v_lshl_add_u32 v64, v66, 23, v30
	v_or3_b32 v66, v15, v64, v14
.LBB14_2710:                            ;   in Loop: Header=BB14_17 Depth=1
	s_or_b64 exec, exec, s[68:69]
.LBB14_2711:                            ;   in Loop: Header=BB14_17 Depth=1
	s_or_b64 exec, exec, s[74:75]
	s_andn2_b64 s[80:81], s[80:81], exec
	s_andn2_b64 s[72:73], s[72:73], exec
	s_or_b64 s[86:87], s[86:87], exec
.LBB14_2712:                            ;   in Loop: Header=BB14_17 Depth=1
	s_or_b64 exec, exec, s[78:79]
	s_and_b64 s[80:81], s[80:81], exec
	s_and_b64 s[78:79], s[72:73], exec
	s_and_b64 s[94:95], s[86:87], exec
                                        ; implicit-def: $vgpr14_vgpr15
.LBB14_2713:                            ;   in Loop: Header=BB14_17 Depth=1
	s_andn2_saveexec_b64 s[84:85], s[84:85]
	s_cbranch_execz .LBB14_2739
; %bb.2714:                             ;   in Loop: Header=BB14_17 Depth=1
	v_cmp_gt_i16_sdwa vcc, v7, v31 src0_sel:BYTE_0 src1_sel:DWORD
	s_mov_b64 s[74:75], s[94:95]
                                        ; implicit-def: $vgpr66
	s_and_saveexec_b64 s[60:61], vcc
	s_xor_b64 s[72:73], exec, s[60:61]
	s_cbranch_execz .LBB14_2728
; %bb.2715:                             ;   in Loop: Header=BB14_17 Depth=1
	v_cmp_gt_i16_sdwa vcc, v7, v32 src0_sel:BYTE_0 src1_sel:DWORD
                                        ; implicit-def: $vgpr66
	s_and_saveexec_b64 s[60:61], vcc
	s_xor_b64 s[86:87], exec, s[60:61]
	s_cbranch_execz .LBB14_2725
; %bb.2716:                             ;   in Loop: Header=BB14_17 Depth=1
	v_cmp_gt_i16_sdwa vcc, v7, v33 src0_sel:BYTE_0 src1_sel:DWORD
                                        ; implicit-def: $vgpr66
	s_and_saveexec_b64 s[60:61], vcc
	s_xor_b64 s[74:75], exec, s[60:61]
	s_cbranch_execz .LBB14_2722
; %bb.2717:                             ;   in Loop: Header=BB14_17 Depth=1
	flat_load_ubyte v14, v[14:15]
	s_movk_i32 vcc_lo, 0x7f
	s_mov_b64 s[66:67], 0
                                        ; implicit-def: $sgpr70
	s_waitcnt vmcnt(0) lgkmcnt(0)
	v_cmp_lt_i16_e32 vcc, vcc_lo, v14
	s_and_saveexec_b64 s[60:61], vcc
	s_xor_b64 s[68:69], exec, s[60:61]
	s_cbranch_execnz .LBB14_3590
; %bb.2718:                             ;   in Loop: Header=BB14_17 Depth=1
	s_or_saveexec_b64 s[68:69], s[68:69]
	v_mov_b32_e32 v66, s70
	s_xor_b64 exec, exec, s[68:69]
	s_cbranch_execnz .LBB14_3593
.LBB14_2719:                            ;   in Loop: Header=BB14_17 Depth=1
	s_or_b64 exec, exec, s[68:69]
	s_and_saveexec_b64 s[68:69], s[66:67]
	s_cbranch_execz .LBB14_2721
.LBB14_2720:                            ;   in Loop: Header=BB14_17 Depth=1
	v_lshlrev_b32_e32 v15, 24, v14
	v_and_b32_e32 v14, 0xffff, v14
	v_and_b32_e32 v64, 3, v14
	v_ffbh_u32_e32 v67, v64
	v_min_u32_e32 v67, 32, v67
	v_subrev_u32_e32 v68, 29, v67
	v_bfe_u32 v66, v14, 2, 5
	v_lshlrev_b32_e32 v14, v68, v14
	v_sub_u32_e32 v67, 30, v67
	v_and_b32_e32 v14, 3, v14
	v_cmp_eq_u32_e32 vcc, 0, v66
	v_cndmask_b32_e32 v66, v66, v67, vcc
	v_cndmask_b32_e32 v14, v64, v14, vcc
	v_lshlrev_b32_e32 v14, 21, v14
	v_and_b32_e32 v15, 0x80000000, v15
	v_lshl_add_u32 v64, v66, 23, v34
	v_or3_b32 v66, v15, v64, v14
.LBB14_2721:                            ;   in Loop: Header=BB14_17 Depth=1
	s_or_b64 exec, exec, s[68:69]
                                        ; implicit-def: $vgpr14_vgpr15
.LBB14_2722:                            ;   in Loop: Header=BB14_17 Depth=1
	s_andn2_saveexec_b64 s[66:67], s[74:75]
	s_cbranch_execz .LBB14_2724
; %bb.2723:                             ;   in Loop: Header=BB14_17 Depth=1
	flat_load_ubyte v14, v[14:15]
	s_mov_b32 vcc_lo, 0x7f800000
	s_waitcnt vmcnt(0) lgkmcnt(0)
	v_lshlrev_b32_e32 v14, 24, v14
	v_and_b32_e32 v15, 0x7f000000, v14
	v_ffbh_u32_e32 v64, v15
	v_min_u32_e32 v64, 32, v64
	v_sub_u32_e64 v64, v64, 4 clamp
	v_lshlrev_b32_e32 v67, v64, v15
	v_lshlrev_b32_e32 v64, 23, v64
	v_lshrrev_b32_e32 v67, 4, v67
	v_add_u32_e32 v66, 0x1000000, v15
	v_sub_u32_e32 v64, v67, v64
	v_ashrrev_i32_e32 v66, 8, v66
	v_add_u32_e32 v64, 0x3c000000, v64
	v_and_or_b32 v64, v66, vcc_lo, v64
	v_cmp_ne_u32_e32 vcc, 0, v15
	v_cndmask_b32_e32 v15, 0, v64, vcc
	s_brev_b32 vcc_lo, 1
	v_and_or_b32 v66, v14, vcc_lo, v15
.LBB14_2724:                            ;   in Loop: Header=BB14_17 Depth=1
	s_or_b64 exec, exec, s[66:67]
                                        ; implicit-def: $vgpr14_vgpr15
.LBB14_2725:                            ;   in Loop: Header=BB14_17 Depth=1
	s_andn2_saveexec_b64 s[66:67], s[86:87]
	s_cbranch_execz .LBB14_2727
; %bb.2726:                             ;   in Loop: Header=BB14_17 Depth=1
	flat_load_ubyte v14, v[14:15]
	s_movk_i32 vcc_lo, 0x7f00
	s_waitcnt vmcnt(0) lgkmcnt(0)
	v_lshlrev_b16_e32 v15, 8, v14
	v_lshlrev_b32_e32 v14, 25, v14
	v_lshrrev_b32_e32 v64, 4, v14
	v_and_or_b32 v66, v15, vcc_lo, 0.5
	v_or_b32_e32 v64, 0x70000000, v64
	s_brev_b32 vcc_lo, 16
	v_add_f32_e32 v66, -0.5, v66
	v_mul_f32_e32 v64, 0x7800000, v64
	v_cmp_gt_u32_e32 vcc, vcc_lo, v14
	v_cndmask_b32_e32 v14, v64, v66, vcc
	v_bfe_i32 v15, v15, 0, 16
	s_brev_b32 vcc_lo, 1
	v_and_or_b32 v66, v15, vcc_lo, v14
.LBB14_2727:                            ;   in Loop: Header=BB14_17 Depth=1
	s_or_b64 exec, exec, s[66:67]
	s_or_b64 s[74:75], s[94:95], exec
                                        ; implicit-def: $vgpr14_vgpr15
.LBB14_2728:                            ;   in Loop: Header=BB14_17 Depth=1
	s_or_saveexec_b64 s[72:73], s[72:73]
                                        ; implicit-def: $vcc
                                        ; implicit-def: $sgpr68_sgpr69
	s_xor_b64 exec, exec, s[72:73]
	s_cbranch_execz .LBB14_2738
; %bb.2729:                             ;   in Loop: Header=BB14_17 Depth=1
	v_cmp_gt_i16_sdwa vcc, v7, v35 src0_sel:BYTE_0 src1_sel:DWORD
	s_mov_b64 s[66:67], s[74:75]
                                        ; implicit-def: $sgpr68_sgpr69
                                        ; implicit-def: $sgpr76_sgpr77
                                        ; implicit-def: $vgpr66
	s_and_saveexec_b64 s[60:61], vcc
	s_xor_b64 vcc, exec, s[60:61]
	s_cbranch_execz .LBB14_2733
; %bb.2730:                             ;   in Loop: Header=BB14_17 Depth=1
	v_cmp_eq_u16_sdwa s[62:63], v7, v36 src0_sel:BYTE_0 src1_sel:DWORD
	s_mov_b64 s[66:67], s[74:75]
                                        ; implicit-def: $vgpr66
	s_and_saveexec_b64 s[60:61], s[62:63]
	s_cbranch_execz .LBB14_2732
; %bb.2731:                             ;   in Loop: Header=BB14_17 Depth=1
	flat_load_ushort v14, v[14:15]
	s_or_b64 s[66:67], s[74:75], exec
	s_waitcnt vmcnt(0) lgkmcnt(0)
	v_lshlrev_b32_e32 v66, 16, v14
.LBB14_2732:                            ;   in Loop: Header=BB14_17 Depth=1
	s_or_b64 exec, exec, s[60:61]
	s_andn2_b64 s[60:61], s[74:75], exec
	s_and_b64 s[62:63], s[66:67], exec
	s_mov_b64 s[76:77], -1
	s_mov_b64 s[68:69], 0
	s_or_b64 s[66:67], s[60:61], s[62:63]
                                        ; implicit-def: $vgpr14_vgpr15
.LBB14_2733:                            ;   in Loop: Header=BB14_17 Depth=1
	s_andn2_saveexec_b64 s[70:71], vcc
	s_cbranch_execz .LBB14_2737
; %bb.2734:                             ;   in Loop: Header=BB14_17 Depth=1
	v_cmp_eq_u16_sdwa s[62:63], v7, v37 src0_sel:BYTE_0 src1_sel:DWORD
	s_mov_b64 vcc, s[66:67]
                                        ; implicit-def: $vgpr66
	s_and_saveexec_b64 s[60:61], s[62:63]
	s_cbranch_execz .LBB14_2736
; %bb.2735:                             ;   in Loop: Header=BB14_17 Depth=1
	flat_load_ubyte v14, v[14:15]
	s_waitcnt vmcnt(0) lgkmcnt(0)
	v_cmp_ne_u16_e32 vcc, 0, v14
	v_cndmask_b32_e64 v66, 0, 1.0, vcc
	s_or_b64 vcc, s[66:67], exec
.LBB14_2736:                            ;   in Loop: Header=BB14_17 Depth=1
	s_or_b64 exec, exec, s[60:61]
	s_andn2_b64 s[60:61], s[66:67], exec
	s_and_b64 vcc, vcc, exec
	s_andn2_b64 s[68:69], s[68:69], exec
	s_or_b64 s[76:77], s[76:77], exec
	s_or_b64 s[66:67], s[60:61], vcc
.LBB14_2737:                            ;   in Loop: Header=BB14_17 Depth=1
	s_or_b64 exec, exec, s[70:71]
	s_andn2_b64 s[60:61], s[74:75], exec
	s_and_b64 s[62:63], s[66:67], exec
	s_and_b64 s[68:69], s[68:69], exec
	s_and_b64 vcc, s[76:77], exec
	s_or_b64 s[74:75], s[60:61], s[62:63]
.LBB14_2738:                            ;   in Loop: Header=BB14_17 Depth=1
	s_or_b64 exec, exec, s[72:73]
	s_andn2_b64 s[60:61], s[80:81], exec
	s_and_b64 s[62:63], s[68:69], exec
	s_or_b64 s[80:81], s[60:61], s[62:63]
	s_andn2_b64 s[60:61], s[78:79], exec
	s_and_b64 vcc, vcc, exec
	s_or_b64 s[78:79], s[60:61], vcc
	s_andn2_b64 vcc, s[94:95], exec
	s_and_b64 s[60:61], s[74:75], exec
	s_or_b64 s[94:95], vcc, s[60:61]
.LBB14_2739:                            ;   in Loop: Header=BB14_17 Depth=1
	s_or_b64 exec, exec, s[84:85]
	s_and_b64 s[86:87], s[80:81], exec
	s_and_b64 s[84:85], s[78:79], exec
	s_and_b64 vcc, s[94:95], exec
                                        ; implicit-def: $vgpr14_vgpr15
	s_andn2_saveexec_b64 s[78:79], s[92:93]
	s_cbranch_execz .LBB14_2564
.LBB14_2740:                            ;   in Loop: Header=BB14_17 Depth=1
	v_cmp_gt_i16_sdwa s[60:61], v7, v38 src0_sel:BYTE_0 src1_sel:DWORD
                                        ; implicit-def: $vgpr66
	s_and_saveexec_b64 s[62:63], s[60:61]
	s_xor_b64 s[72:73], exec, s[62:63]
	s_cbranch_execz .LBB14_2762
; %bb.2741:                             ;   in Loop: Header=BB14_17 Depth=1
	v_cmp_gt_i16_sdwa s[60:61], v7, v39 src0_sel:BYTE_0 src1_sel:DWORD
                                        ; implicit-def: $vgpr66
	s_and_saveexec_b64 s[62:63], s[60:61]
	s_xor_b64 s[66:67], exec, s[62:63]
	s_cbranch_execz .LBB14_2751
; %bb.2742:                             ;   in Loop: Header=BB14_17 Depth=1
	;; [unrolled: 6-line block ×4, first 2 shown]
	flat_load_dwordx2 v[14:15], v[14:15]
	s_waitcnt vmcnt(0) lgkmcnt(0)
	v_cvt_f32_f64_e32 v66, v[14:15]
                                        ; implicit-def: $vgpr14_vgpr15
.LBB14_2745:                            ;   in Loop: Header=BB14_17 Depth=1
	s_andn2_saveexec_b64 s[60:61], s[60:61]
	s_cbranch_execz .LBB14_2747
; %bb.2746:                             ;   in Loop: Header=BB14_17 Depth=1
	flat_load_dword v66, v[14:15]
.LBB14_2747:                            ;   in Loop: Header=BB14_17 Depth=1
	s_or_b64 exec, exec, s[60:61]
                                        ; implicit-def: $vgpr14_vgpr15
.LBB14_2748:                            ;   in Loop: Header=BB14_17 Depth=1
	s_andn2_saveexec_b64 s[60:61], s[68:69]
	s_cbranch_execz .LBB14_2750
; %bb.2749:                             ;   in Loop: Header=BB14_17 Depth=1
	flat_load_dword v14, v[14:15]
	s_waitcnt vmcnt(0) lgkmcnt(0)
	v_cvt_f32_f16_e32 v66, v14
.LBB14_2750:                            ;   in Loop: Header=BB14_17 Depth=1
	s_or_b64 exec, exec, s[60:61]
                                        ; implicit-def: $vgpr14_vgpr15
.LBB14_2751:                            ;   in Loop: Header=BB14_17 Depth=1
	s_andn2_saveexec_b64 s[66:67], s[66:67]
	s_cbranch_execz .LBB14_2761
; %bb.2752:                             ;   in Loop: Header=BB14_17 Depth=1
	v_cmp_gt_i16_sdwa s[60:61], v7, v50 src0_sel:BYTE_0 src1_sel:DWORD
                                        ; implicit-def: $vgpr66
	s_and_saveexec_b64 s[62:63], s[60:61]
	s_xor_b64 s[68:69], exec, s[62:63]
	s_cbranch_execz .LBB14_2758
; %bb.2753:                             ;   in Loop: Header=BB14_17 Depth=1
	v_cmp_gt_i16_sdwa s[60:61], v7, v51 src0_sel:BYTE_0 src1_sel:DWORD
                                        ; implicit-def: $vgpr66
	s_and_saveexec_b64 s[62:63], s[60:61]
	s_xor_b64 s[60:61], exec, s[62:63]
	s_cbranch_execz .LBB14_2755
; %bb.2754:                             ;   in Loop: Header=BB14_17 Depth=1
	flat_load_dwordx2 v[14:15], v[14:15]
	s_waitcnt vmcnt(0) lgkmcnt(0)
	v_cvt_f32_f64_e32 v66, v[14:15]
                                        ; implicit-def: $vgpr14_vgpr15
.LBB14_2755:                            ;   in Loop: Header=BB14_17 Depth=1
	s_andn2_saveexec_b64 s[60:61], s[60:61]
	s_cbranch_execz .LBB14_2757
; %bb.2756:                             ;   in Loop: Header=BB14_17 Depth=1
	s_waitcnt vmcnt(0) lgkmcnt(0)
	flat_load_dword v66, v[14:15]
.LBB14_2757:                            ;   in Loop: Header=BB14_17 Depth=1
	s_or_b64 exec, exec, s[60:61]
                                        ; implicit-def: $vgpr14_vgpr15
.LBB14_2758:                            ;   in Loop: Header=BB14_17 Depth=1
	s_andn2_saveexec_b64 s[60:61], s[68:69]
	s_cbranch_execz .LBB14_2760
; %bb.2759:                             ;   in Loop: Header=BB14_17 Depth=1
	flat_load_ushort v14, v[14:15]
	s_waitcnt vmcnt(0) lgkmcnt(0)
	v_cvt_f32_f16_e32 v66, v14
.LBB14_2760:                            ;   in Loop: Header=BB14_17 Depth=1
	s_or_b64 exec, exec, s[60:61]
.LBB14_2761:                            ;   in Loop: Header=BB14_17 Depth=1
	s_or_b64 exec, exec, s[66:67]
                                        ; implicit-def: $vgpr14_vgpr15
.LBB14_2762:                            ;   in Loop: Header=BB14_17 Depth=1
	s_andn2_saveexec_b64 s[72:73], s[72:73]
	s_cbranch_execz .LBB14_2780
; %bb.2763:                             ;   in Loop: Header=BB14_17 Depth=1
	v_cmp_gt_i16_sdwa s[60:61], v7, v52 src0_sel:BYTE_0 src1_sel:DWORD
                                        ; implicit-def: $vgpr66
	s_and_saveexec_b64 s[62:63], s[60:61]
	s_xor_b64 s[74:75], exec, s[62:63]
	s_cbranch_execz .LBB14_2773
; %bb.2764:                             ;   in Loop: Header=BB14_17 Depth=1
	v_cmp_gt_i16_sdwa s[60:61], v7, v53 src0_sel:BYTE_0 src1_sel:DWORD
                                        ; implicit-def: $vgpr66
	s_and_saveexec_b64 s[62:63], s[60:61]
	s_xor_b64 s[66:67], exec, s[62:63]
	s_cbranch_execz .LBB14_2770
; %bb.2765:                             ;   in Loop: Header=BB14_17 Depth=1
	v_cmp_gt_i16_sdwa s[60:61], v7, v54 src0_sel:BYTE_0 src1_sel:DWORD
                                        ; implicit-def: $vgpr66
	s_and_saveexec_b64 s[62:63], s[60:61]
	s_xor_b64 s[68:69], exec, s[62:63]
	s_cbranch_execz .LBB14_2767
; %bb.2766:                             ;   in Loop: Header=BB14_17 Depth=1
	flat_load_dwordx2 v[14:15], v[14:15]
	s_waitcnt vmcnt(0) lgkmcnt(0)
	v_xor_b32_e32 v66, v14, v15
	v_ffbh_i32_e32 v64, v15
	v_ashrrev_i32_e32 v66, 31, v66
	v_add_u32_e32 v64, -1, v64
	v_add_u32_e32 v66, 32, v66
	v_min_u32_e32 v64, v64, v66
	v_lshlrev_b64 v[14:15], v64, v[14:15]
	v_min_u32_e32 v14, 1, v14
	v_or_b32_e32 v14, v15, v14
	v_cvt_f32_i32_e32 v14, v14
	v_sub_u32_e32 v15, 32, v64
	v_ldexp_f32 v66, v14, v15
                                        ; implicit-def: $vgpr14_vgpr15
.LBB14_2767:                            ;   in Loop: Header=BB14_17 Depth=1
	s_andn2_saveexec_b64 s[60:61], s[68:69]
	s_cbranch_execz .LBB14_2769
; %bb.2768:                             ;   in Loop: Header=BB14_17 Depth=1
	flat_load_dword v14, v[14:15]
	s_waitcnt vmcnt(0) lgkmcnt(0)
	v_cvt_f32_i32_e32 v66, v14
.LBB14_2769:                            ;   in Loop: Header=BB14_17 Depth=1
	s_or_b64 exec, exec, s[60:61]
                                        ; implicit-def: $vgpr14_vgpr15
.LBB14_2770:                            ;   in Loop: Header=BB14_17 Depth=1
	s_andn2_saveexec_b64 s[60:61], s[66:67]
	s_cbranch_execz .LBB14_2772
; %bb.2771:                             ;   in Loop: Header=BB14_17 Depth=1
	flat_load_sshort v14, v[14:15]
	s_waitcnt vmcnt(0) lgkmcnt(0)
	v_cvt_f32_i32_e32 v66, v14
.LBB14_2772:                            ;   in Loop: Header=BB14_17 Depth=1
	s_or_b64 exec, exec, s[60:61]
                                        ; implicit-def: $vgpr14_vgpr15
.LBB14_2773:                            ;   in Loop: Header=BB14_17 Depth=1
	s_andn2_saveexec_b64 s[66:67], s[74:75]
	s_cbranch_execz .LBB14_2779
; %bb.2774:                             ;   in Loop: Header=BB14_17 Depth=1
	v_cmp_gt_i16_sdwa s[60:61], v7, v16 src0_sel:BYTE_0 src1_sel:DWORD
                                        ; implicit-def: $vgpr66
	s_and_saveexec_b64 s[62:63], s[60:61]
	s_xor_b64 s[60:61], exec, s[62:63]
	s_cbranch_execz .LBB14_2776
; %bb.2775:                             ;   in Loop: Header=BB14_17 Depth=1
	flat_load_sbyte v14, v[14:15]
	s_waitcnt vmcnt(0) lgkmcnt(0)
	v_cvt_f32_i32_e32 v66, v14
                                        ; implicit-def: $vgpr14_vgpr15
.LBB14_2776:                            ;   in Loop: Header=BB14_17 Depth=1
	s_andn2_saveexec_b64 s[60:61], s[60:61]
	s_cbranch_execz .LBB14_2778
; %bb.2777:                             ;   in Loop: Header=BB14_17 Depth=1
	flat_load_ubyte v14, v[14:15]
	s_waitcnt vmcnt(0) lgkmcnt(0)
	v_cvt_f32_ubyte0_e32 v66, v14
.LBB14_2778:                            ;   in Loop: Header=BB14_17 Depth=1
	s_or_b64 exec, exec, s[60:61]
.LBB14_2779:                            ;   in Loop: Header=BB14_17 Depth=1
	s_or_b64 exec, exec, s[66:67]
.LBB14_2780:                            ;   in Loop: Header=BB14_17 Depth=1
	s_or_b64 exec, exec, s[72:73]
	s_andn2_b64 s[86:87], s[86:87], exec
	s_andn2_b64 s[84:85], s[84:85], exec
	s_or_b64 vcc, vcc, exec
	s_or_b64 exec, exec, s[78:79]
	s_mov_b64 s[66:67], 0
	s_and_saveexec_b64 s[92:93], vcc
	s_cbranch_execz .LBB14_2886
.LBB14_2781:                            ;   in Loop: Header=BB14_17 Depth=1
	v_mul_lo_u32 v14, v65, v10
	v_readlane_b32 s60, v44, 0
	v_add_co_u32_e32 v14, vcc, v4, v14
	v_add_u32_e32 v64, s60, v17
	v_addc_co_u32_e32 v15, vcc, 0, v5, vcc
	v_cmp_gt_i16_sdwa s[60:61], v8, v18 src0_sel:BYTE_0 src1_sel:DWORD
	s_mov_b64 s[78:79], 0
	s_waitcnt vmcnt(0) lgkmcnt(0)
	buffer_store_dword v66, v64, s[0:3], 0 offen offset:100
                                        ; implicit-def: $vcc
                                        ; implicit-def: $sgpr96_sgpr97
                                        ; implicit-def: $vgpr65
	s_and_saveexec_b64 s[62:63], s[60:61]
	s_xor_b64 s[62:63], exec, s[62:63]
	v_writelane_b32 v44, s62, 24
	v_writelane_b32 v44, s63, 25
	s_cbranch_execz .LBB14_2841
; %bb.2782:                             ;   in Loop: Header=BB14_17 Depth=1
	v_cmp_gt_i16_sdwa vcc, v8, v19 src0_sel:BYTE_0 src1_sel:DWORD
                                        ; implicit-def: $sgpr80_sgpr81
                                        ; implicit-def: $sgpr96_sgpr97
                                        ; implicit-def: $vgpr65
	s_and_saveexec_b64 s[60:61], vcc
	s_xor_b64 s[76:77], exec, s[60:61]
	s_cbranch_execz .LBB14_2814
; %bb.2783:                             ;   in Loop: Header=BB14_17 Depth=1
	v_cmp_gt_i16_sdwa vcc, v8, v20 src0_sel:BYTE_0 src1_sel:DWORD
                                        ; implicit-def: $sgpr72_sgpr73
                                        ; implicit-def: $sgpr94_sgpr95
                                        ; implicit-def: $vgpr65
	s_and_saveexec_b64 s[60:61], vcc
	s_xor_b64 s[80:81], exec, s[60:61]
	s_cbranch_execz .LBB14_2799
; %bb.2784:                             ;   in Loop: Header=BB14_17 Depth=1
	v_cmp_gt_i16_sdwa s[60:61], v8, v21 src0_sel:BYTE_0 src1_sel:DWORD
	s_mov_b64 s[74:75], 0
                                        ; implicit-def: $vcc
                                        ; implicit-def: $sgpr94_sgpr95
                                        ; implicit-def: $vgpr65
	s_and_saveexec_b64 s[62:63], s[60:61]
	s_xor_b64 s[72:73], exec, s[62:63]
	s_cbranch_execz .LBB14_2794
; %bb.2785:                             ;   in Loop: Header=BB14_17 Depth=1
	v_cmp_gt_i16_sdwa vcc, v8, v22 src0_sel:BYTE_0 src1_sel:DWORD
                                        ; implicit-def: $sgpr94_sgpr95
                                        ; implicit-def: $sgpr74_sgpr75
                                        ; implicit-def: $vgpr65
	s_and_saveexec_b64 s[60:61], vcc
	s_xor_b64 vcc, exec, s[60:61]
	s_cbranch_execz .LBB14_2789
; %bb.2786:                             ;   in Loop: Header=BB14_17 Depth=1
	v_cmp_eq_u16_sdwa s[62:63], v8, v23 src0_sel:BYTE_0 src1_sel:DWORD
	s_mov_b64 s[74:75], 0
                                        ; implicit-def: $vgpr65
	s_and_saveexec_b64 s[60:61], s[62:63]
	s_cbranch_execz .LBB14_2788
; %bb.2787:                             ;   in Loop: Header=BB14_17 Depth=1
	flat_load_dword v14, v[14:15]
	s_mov_b64 s[66:67], exec
	s_waitcnt vmcnt(0) lgkmcnt(0)
	v_lshlrev_b32_e32 v65, 16, v14
.LBB14_2788:                            ;   in Loop: Header=BB14_17 Depth=1
	s_or_b64 exec, exec, s[60:61]
	s_mov_b64 s[94:95], -1
	s_and_b64 s[78:79], s[66:67], exec
                                        ; implicit-def: $vgpr14_vgpr15
.LBB14_2789:                            ;   in Loop: Header=BB14_17 Depth=1
	s_andn2_saveexec_b64 s[66:67], vcc
	s_cbranch_execz .LBB14_2793
; %bb.2790:                             ;   in Loop: Header=BB14_17 Depth=1
	v_cmp_eq_u16_sdwa s[60:61], v8, v24 src0_sel:BYTE_0 src1_sel:DWORD
	s_mov_b64 vcc, s[78:79]
                                        ; implicit-def: $vgpr65
	s_and_saveexec_b64 s[68:69], s[60:61]
	s_cbranch_execz .LBB14_2792
; %bb.2791:                             ;   in Loop: Header=BB14_17 Depth=1
	flat_load_ubyte v14, v[14:15]
	s_movk_i32 vcc_lo, 0xff
	s_waitcnt vmcnt(0) lgkmcnt(0)
	v_lshlrev_b32_e32 v15, 23, v14
	v_cmp_ne_u32_e32 vcc, vcc_lo, v14
	v_cndmask_b32_e32 v15, v25, v15, vcc
	v_cmp_ne_u32_e32 vcc, 0, v14
	v_cndmask_b32_e32 v65, v26, v15, vcc
	s_or_b64 vcc, s[78:79], exec
.LBB14_2792:                            ;   in Loop: Header=BB14_17 Depth=1
	s_or_b64 exec, exec, s[68:69]
	s_andn2_b64 s[60:61], s[78:79], exec
	s_and_b64 vcc, vcc, exec
	s_or_b64 s[94:95], s[94:95], exec
	s_andn2_b64 s[74:75], s[74:75], exec
	s_or_b64 s[78:79], s[60:61], vcc
.LBB14_2793:                            ;   in Loop: Header=BB14_17 Depth=1
	s_or_b64 exec, exec, s[66:67]
	s_and_b64 s[94:95], s[94:95], exec
	s_and_b64 vcc, s[74:75], exec
	s_and_b64 s[74:75], s[78:79], exec
                                        ; implicit-def: $vgpr14_vgpr15
.LBB14_2794:                            ;   in Loop: Header=BB14_17 Depth=1
	s_andn2_saveexec_b64 s[66:67], s[72:73]
	s_cbranch_execz .LBB14_2798
; %bb.2795:                             ;   in Loop: Header=BB14_17 Depth=1
	v_cmp_eq_u16_sdwa s[60:61], v8, v27 src0_sel:BYTE_0 src1_sel:DWORD
	s_mov_b64 s[70:71], s[74:75]
                                        ; implicit-def: $vgpr65
	s_and_saveexec_b64 s[68:69], s[60:61]
	s_cbranch_execz .LBB14_2797
; %bb.2796:                             ;   in Loop: Header=BB14_17 Depth=1
	flat_load_dwordx2 v[14:15], v[14:15]
	s_or_b64 s[70:71], s[74:75], exec
	s_waitcnt vmcnt(0) lgkmcnt(0)
	v_ffbh_u32_e32 v65, v15
	v_min_u32_e32 v65, 32, v65
	v_lshlrev_b64 v[14:15], v65, v[14:15]
	v_min_u32_e32 v14, 1, v14
	v_or_b32_e32 v14, v15, v14
	v_cvt_f32_u32_e32 v14, v14
	v_sub_u32_e32 v15, 32, v65
	v_ldexp_f32 v65, v14, v15
.LBB14_2797:                            ;   in Loop: Header=BB14_17 Depth=1
	s_or_b64 exec, exec, s[68:69]
	s_andn2_b64 s[60:61], s[74:75], exec
	s_and_b64 s[62:63], s[70:71], exec
	s_or_b64 s[94:95], s[94:95], exec
	s_andn2_b64 vcc, vcc, exec
	s_or_b64 s[74:75], s[60:61], s[62:63]
.LBB14_2798:                            ;   in Loop: Header=BB14_17 Depth=1
	s_or_b64 exec, exec, s[66:67]
	s_and_b64 s[94:95], s[94:95], exec
	s_and_b64 s[72:73], vcc, exec
	s_and_b64 s[78:79], s[74:75], exec
                                        ; implicit-def: $vgpr14_vgpr15
.LBB14_2799:                            ;   in Loop: Header=BB14_17 Depth=1
	s_andn2_saveexec_b64 s[80:81], s[80:81]
	s_cbranch_execz .LBB14_2813
; %bb.2800:                             ;   in Loop: Header=BB14_17 Depth=1
	v_cmp_gt_i16_sdwa vcc, v8, v28 src0_sel:BYTE_0 src1_sel:DWORD
                                        ; implicit-def: $vgpr65
	s_and_saveexec_b64 s[60:61], vcc
	s_xor_b64 vcc, exec, s[60:61]
	s_cbranch_execz .LBB14_2806
; %bb.2801:                             ;   in Loop: Header=BB14_17 Depth=1
	v_cmp_gt_i16_sdwa s[60:61], v8, v29 src0_sel:BYTE_0 src1_sel:DWORD
                                        ; implicit-def: $vgpr65
	s_and_saveexec_b64 s[62:63], s[60:61]
	s_xor_b64 s[60:61], exec, s[62:63]
	s_cbranch_execz .LBB14_2803
; %bb.2802:                             ;   in Loop: Header=BB14_17 Depth=1
	flat_load_dword v14, v[14:15]
	s_waitcnt vmcnt(0) lgkmcnt(0)
	v_cvt_f32_u32_e32 v65, v14
                                        ; implicit-def: $vgpr14_vgpr15
.LBB14_2803:                            ;   in Loop: Header=BB14_17 Depth=1
	s_andn2_saveexec_b64 s[60:61], s[60:61]
	s_cbranch_execz .LBB14_2805
; %bb.2804:                             ;   in Loop: Header=BB14_17 Depth=1
	flat_load_ushort v14, v[14:15]
	s_waitcnt vmcnt(0) lgkmcnt(0)
	v_cvt_f32_u32_e32 v65, v14
.LBB14_2805:                            ;   in Loop: Header=BB14_17 Depth=1
	s_or_b64 exec, exec, s[60:61]
                                        ; implicit-def: $vgpr14_vgpr15
.LBB14_2806:                            ;   in Loop: Header=BB14_17 Depth=1
	s_andn2_saveexec_b64 s[74:75], vcc
	s_cbranch_execz .LBB14_2812
; %bb.2807:                             ;   in Loop: Header=BB14_17 Depth=1
	flat_load_ubyte v14, v[14:15]
	s_movk_i32 vcc_lo, 0x7f
	s_mov_b64 s[66:67], 0
                                        ; implicit-def: $sgpr70
	s_waitcnt vmcnt(0) lgkmcnt(0)
	v_cmp_lt_i16_e32 vcc, vcc_lo, v14
	s_and_saveexec_b64 s[60:61], vcc
	s_xor_b64 s[68:69], exec, s[60:61]
	s_cbranch_execnz .LBB14_3594
; %bb.2808:                             ;   in Loop: Header=BB14_17 Depth=1
	s_or_saveexec_b64 s[68:69], s[68:69]
	v_mov_b32_e32 v65, s70
	s_xor_b64 exec, exec, s[68:69]
	s_cbranch_execnz .LBB14_3597
.LBB14_2809:                            ;   in Loop: Header=BB14_17 Depth=1
	s_or_b64 exec, exec, s[68:69]
	s_and_saveexec_b64 s[68:69], s[66:67]
	s_cbranch_execz .LBB14_2811
.LBB14_2810:                            ;   in Loop: Header=BB14_17 Depth=1
	v_lshlrev_b32_e32 v15, 24, v14
	v_and_b32_e32 v14, 0xffff, v14
	v_and_b32_e32 v65, 7, v14
	v_ffbh_u32_e32 v67, v65
	v_min_u32_e32 v67, 32, v67
	v_subrev_u32_e32 v68, 28, v67
	v_bfe_u32 v66, v14, 3, 4
	v_lshlrev_b32_e32 v14, v68, v14
	v_sub_u32_e32 v67, 29, v67
	v_and_b32_e32 v14, 7, v14
	v_cmp_eq_u32_e32 vcc, 0, v66
	v_cndmask_b32_e32 v66, v66, v67, vcc
	v_cndmask_b32_e32 v14, v65, v14, vcc
	v_lshlrev_b32_e32 v14, 20, v14
	v_and_b32_e32 v15, 0x80000000, v15
	v_lshl_add_u32 v65, v66, 23, v30
	v_or3_b32 v65, v15, v65, v14
.LBB14_2811:                            ;   in Loop: Header=BB14_17 Depth=1
	s_or_b64 exec, exec, s[68:69]
.LBB14_2812:                            ;   in Loop: Header=BB14_17 Depth=1
	s_or_b64 exec, exec, s[74:75]
	s_andn2_b64 s[94:95], s[94:95], exec
	s_andn2_b64 s[72:73], s[72:73], exec
	s_or_b64 s[78:79], s[78:79], exec
.LBB14_2813:                            ;   in Loop: Header=BB14_17 Depth=1
	s_or_b64 exec, exec, s[80:81]
	s_and_b64 s[96:97], s[94:95], exec
	s_and_b64 s[80:81], s[72:73], exec
	;; [unrolled: 1-line block ×3, first 2 shown]
                                        ; implicit-def: $vgpr14_vgpr15
.LBB14_2814:                            ;   in Loop: Header=BB14_17 Depth=1
	s_andn2_saveexec_b64 s[94:95], s[76:77]
	s_cbranch_execz .LBB14_2840
; %bb.2815:                             ;   in Loop: Header=BB14_17 Depth=1
	v_cmp_gt_i16_sdwa vcc, v8, v31 src0_sel:BYTE_0 src1_sel:DWORD
	s_mov_b64 s[74:75], s[78:79]
                                        ; implicit-def: $vgpr65
	s_and_saveexec_b64 s[60:61], vcc
	s_xor_b64 s[72:73], exec, s[60:61]
	s_cbranch_execz .LBB14_2829
; %bb.2816:                             ;   in Loop: Header=BB14_17 Depth=1
	v_cmp_gt_i16_sdwa vcc, v8, v32 src0_sel:BYTE_0 src1_sel:DWORD
                                        ; implicit-def: $vgpr65
	s_and_saveexec_b64 s[60:61], vcc
	s_xor_b64 s[62:63], exec, s[60:61]
	s_cbranch_execz .LBB14_2826
; %bb.2817:                             ;   in Loop: Header=BB14_17 Depth=1
	v_cmp_gt_i16_sdwa vcc, v8, v33 src0_sel:BYTE_0 src1_sel:DWORD
                                        ; implicit-def: $vgpr65
	s_and_saveexec_b64 s[60:61], vcc
	s_xor_b64 s[74:75], exec, s[60:61]
	s_cbranch_execz .LBB14_2823
; %bb.2818:                             ;   in Loop: Header=BB14_17 Depth=1
	flat_load_ubyte v14, v[14:15]
	s_movk_i32 vcc_lo, 0x7f
	s_mov_b64 s[66:67], 0
                                        ; implicit-def: $sgpr70
	s_waitcnt vmcnt(0) lgkmcnt(0)
	v_cmp_lt_i16_e32 vcc, vcc_lo, v14
	s_and_saveexec_b64 s[60:61], vcc
	s_xor_b64 s[68:69], exec, s[60:61]
	s_cbranch_execnz .LBB14_3602
; %bb.2819:                             ;   in Loop: Header=BB14_17 Depth=1
	s_or_saveexec_b64 s[68:69], s[68:69]
	v_mov_b32_e32 v65, s70
	s_xor_b64 exec, exec, s[68:69]
	s_cbranch_execnz .LBB14_3605
.LBB14_2820:                            ;   in Loop: Header=BB14_17 Depth=1
	s_or_b64 exec, exec, s[68:69]
	s_and_saveexec_b64 s[68:69], s[66:67]
	s_cbranch_execz .LBB14_2822
.LBB14_2821:                            ;   in Loop: Header=BB14_17 Depth=1
	v_lshlrev_b32_e32 v15, 24, v14
	v_and_b32_e32 v14, 0xffff, v14
	v_and_b32_e32 v65, 3, v14
	v_ffbh_u32_e32 v67, v65
	v_min_u32_e32 v67, 32, v67
	v_subrev_u32_e32 v68, 29, v67
	v_bfe_u32 v66, v14, 2, 5
	v_lshlrev_b32_e32 v14, v68, v14
	v_sub_u32_e32 v67, 30, v67
	v_and_b32_e32 v14, 3, v14
	v_cmp_eq_u32_e32 vcc, 0, v66
	v_cndmask_b32_e32 v66, v66, v67, vcc
	v_cndmask_b32_e32 v14, v65, v14, vcc
	v_lshlrev_b32_e32 v14, 21, v14
	v_and_b32_e32 v15, 0x80000000, v15
	v_lshl_add_u32 v65, v66, 23, v34
	v_or3_b32 v65, v15, v65, v14
.LBB14_2822:                            ;   in Loop: Header=BB14_17 Depth=1
	s_or_b64 exec, exec, s[68:69]
                                        ; implicit-def: $vgpr14_vgpr15
.LBB14_2823:                            ;   in Loop: Header=BB14_17 Depth=1
	s_andn2_saveexec_b64 s[66:67], s[74:75]
	s_cbranch_execz .LBB14_2825
; %bb.2824:                             ;   in Loop: Header=BB14_17 Depth=1
	flat_load_ubyte v14, v[14:15]
	s_mov_b32 vcc_lo, 0x7f800000
	s_waitcnt vmcnt(0) lgkmcnt(0)
	v_lshlrev_b32_e32 v14, 24, v14
	v_and_b32_e32 v15, 0x7f000000, v14
	v_ffbh_u32_e32 v65, v15
	v_min_u32_e32 v65, 32, v65
	v_sub_u32_e64 v65, v65, 4 clamp
	v_lshlrev_b32_e32 v67, v65, v15
	v_lshlrev_b32_e32 v65, 23, v65
	v_lshrrev_b32_e32 v67, 4, v67
	v_add_u32_e32 v66, 0x1000000, v15
	v_sub_u32_e32 v65, v67, v65
	v_ashrrev_i32_e32 v66, 8, v66
	v_add_u32_e32 v65, 0x3c000000, v65
	v_and_or_b32 v65, v66, vcc_lo, v65
	v_cmp_ne_u32_e32 vcc, 0, v15
	v_cndmask_b32_e32 v15, 0, v65, vcc
	s_brev_b32 vcc_lo, 1
	v_and_or_b32 v65, v14, vcc_lo, v15
.LBB14_2825:                            ;   in Loop: Header=BB14_17 Depth=1
	s_or_b64 exec, exec, s[66:67]
                                        ; implicit-def: $vgpr14_vgpr15
.LBB14_2826:                            ;   in Loop: Header=BB14_17 Depth=1
	s_andn2_saveexec_b64 s[66:67], s[62:63]
	s_cbranch_execz .LBB14_2828
; %bb.2827:                             ;   in Loop: Header=BB14_17 Depth=1
	flat_load_ubyte v14, v[14:15]
	s_movk_i32 vcc_lo, 0x7f00
	s_waitcnt vmcnt(0) lgkmcnt(0)
	v_lshlrev_b16_e32 v15, 8, v14
	v_lshlrev_b32_e32 v14, 25, v14
	v_lshrrev_b32_e32 v65, 4, v14
	v_and_or_b32 v66, v15, vcc_lo, 0.5
	v_or_b32_e32 v65, 0x70000000, v65
	s_brev_b32 vcc_lo, 16
	v_add_f32_e32 v66, -0.5, v66
	v_mul_f32_e32 v65, 0x7800000, v65
	v_cmp_gt_u32_e32 vcc, vcc_lo, v14
	v_cndmask_b32_e32 v14, v65, v66, vcc
	v_bfe_i32 v15, v15, 0, 16
	s_brev_b32 vcc_lo, 1
	v_and_or_b32 v65, v15, vcc_lo, v14
.LBB14_2828:                            ;   in Loop: Header=BB14_17 Depth=1
	s_or_b64 exec, exec, s[66:67]
	s_or_b64 s[74:75], s[78:79], exec
                                        ; implicit-def: $vgpr14_vgpr15
.LBB14_2829:                            ;   in Loop: Header=BB14_17 Depth=1
	s_or_saveexec_b64 s[72:73], s[72:73]
                                        ; implicit-def: $vcc
                                        ; implicit-def: $sgpr68_sgpr69
	s_xor_b64 exec, exec, s[72:73]
	s_cbranch_execz .LBB14_2839
; %bb.2830:                             ;   in Loop: Header=BB14_17 Depth=1
	v_cmp_gt_i16_sdwa vcc, v8, v35 src0_sel:BYTE_0 src1_sel:DWORD
	s_mov_b64 s[66:67], s[74:75]
                                        ; implicit-def: $sgpr68_sgpr69
                                        ; implicit-def: $sgpr76_sgpr77
                                        ; implicit-def: $vgpr65
	s_and_saveexec_b64 s[60:61], vcc
	s_xor_b64 vcc, exec, s[60:61]
	s_cbranch_execz .LBB14_2834
; %bb.2831:                             ;   in Loop: Header=BB14_17 Depth=1
	v_cmp_eq_u16_sdwa s[62:63], v8, v36 src0_sel:BYTE_0 src1_sel:DWORD
	s_mov_b64 s[66:67], s[74:75]
                                        ; implicit-def: $vgpr65
	s_and_saveexec_b64 s[60:61], s[62:63]
	s_cbranch_execz .LBB14_2833
; %bb.2832:                             ;   in Loop: Header=BB14_17 Depth=1
	flat_load_ushort v14, v[14:15]
	s_or_b64 s[66:67], s[74:75], exec
	s_waitcnt vmcnt(0) lgkmcnt(0)
	v_lshlrev_b32_e32 v65, 16, v14
.LBB14_2833:                            ;   in Loop: Header=BB14_17 Depth=1
	s_or_b64 exec, exec, s[60:61]
	s_andn2_b64 s[60:61], s[74:75], exec
	s_and_b64 s[62:63], s[66:67], exec
	s_mov_b64 s[76:77], 0
	s_mov_b64 s[68:69], -1
	s_or_b64 s[66:67], s[60:61], s[62:63]
                                        ; implicit-def: $vgpr14_vgpr15
.LBB14_2834:                            ;   in Loop: Header=BB14_17 Depth=1
	s_andn2_saveexec_b64 s[70:71], vcc
	s_cbranch_execz .LBB14_2838
; %bb.2835:                             ;   in Loop: Header=BB14_17 Depth=1
	v_cmp_eq_u16_sdwa s[62:63], v8, v37 src0_sel:BYTE_0 src1_sel:DWORD
	s_mov_b64 vcc, s[66:67]
                                        ; implicit-def: $vgpr65
	s_and_saveexec_b64 s[60:61], s[62:63]
	s_cbranch_execz .LBB14_2837
; %bb.2836:                             ;   in Loop: Header=BB14_17 Depth=1
	flat_load_ubyte v14, v[14:15]
	s_waitcnt vmcnt(0) lgkmcnt(0)
	v_cmp_ne_u16_e32 vcc, 0, v14
	v_cndmask_b32_e64 v65, 0, 1.0, vcc
	s_or_b64 vcc, s[66:67], exec
.LBB14_2837:                            ;   in Loop: Header=BB14_17 Depth=1
	s_or_b64 exec, exec, s[60:61]
	s_andn2_b64 s[60:61], s[66:67], exec
	s_and_b64 vcc, vcc, exec
	s_or_b64 s[68:69], s[68:69], exec
	s_andn2_b64 s[76:77], s[76:77], exec
	s_or_b64 s[66:67], s[60:61], vcc
.LBB14_2838:                            ;   in Loop: Header=BB14_17 Depth=1
	s_or_b64 exec, exec, s[70:71]
	s_andn2_b64 s[60:61], s[74:75], exec
	s_and_b64 s[62:63], s[66:67], exec
	s_and_b64 s[68:69], s[68:69], exec
	s_and_b64 vcc, s[76:77], exec
	s_or_b64 s[74:75], s[60:61], s[62:63]
.LBB14_2839:                            ;   in Loop: Header=BB14_17 Depth=1
	s_or_b64 exec, exec, s[72:73]
	s_andn2_b64 s[60:61], s[96:97], exec
	s_and_b64 s[62:63], s[68:69], exec
	s_or_b64 s[96:97], s[60:61], s[62:63]
	s_andn2_b64 s[60:61], s[80:81], exec
	s_and_b64 vcc, vcc, exec
	s_or_b64 s[80:81], s[60:61], vcc
	s_andn2_b64 vcc, s[78:79], exec
	s_and_b64 s[60:61], s[74:75], exec
	s_or_b64 s[78:79], vcc, s[60:61]
.LBB14_2840:                            ;   in Loop: Header=BB14_17 Depth=1
	s_or_b64 exec, exec, s[94:95]
	s_and_b64 s[96:97], s[96:97], exec
	s_and_b64 vcc, s[80:81], exec
	s_and_b64 s[78:79], s[78:79], exec
                                        ; implicit-def: $vgpr14_vgpr15
.LBB14_2841:                            ;   in Loop: Header=BB14_17 Depth=1
	v_readlane_b32 s60, v44, 24
	v_readlane_b32 s61, v44, 25
	s_andn2_saveexec_b64 s[80:81], s[60:61]
	s_cbranch_execz .LBB14_2883
; %bb.2842:                             ;   in Loop: Header=BB14_17 Depth=1
	v_cmp_gt_i16_sdwa s[60:61], v8, v38 src0_sel:BYTE_0 src1_sel:DWORD
                                        ; implicit-def: $vgpr65
	s_and_saveexec_b64 s[62:63], s[60:61]
	s_xor_b64 s[72:73], exec, s[62:63]
	s_cbranch_execz .LBB14_2864
; %bb.2843:                             ;   in Loop: Header=BB14_17 Depth=1
	v_cmp_gt_i16_sdwa s[60:61], v8, v39 src0_sel:BYTE_0 src1_sel:DWORD
                                        ; implicit-def: $vgpr65
	s_and_saveexec_b64 s[62:63], s[60:61]
	s_xor_b64 s[66:67], exec, s[62:63]
	;; [unrolled: 6-line block ×4, first 2 shown]
	s_cbranch_execz .LBB14_2847
; %bb.2846:                             ;   in Loop: Header=BB14_17 Depth=1
	flat_load_dwordx2 v[14:15], v[14:15]
	s_waitcnt vmcnt(0) lgkmcnt(0)
	v_cvt_f32_f64_e32 v65, v[14:15]
                                        ; implicit-def: $vgpr14_vgpr15
.LBB14_2847:                            ;   in Loop: Header=BB14_17 Depth=1
	s_andn2_saveexec_b64 s[60:61], s[60:61]
	s_cbranch_execz .LBB14_2849
; %bb.2848:                             ;   in Loop: Header=BB14_17 Depth=1
	flat_load_dword v65, v[14:15]
.LBB14_2849:                            ;   in Loop: Header=BB14_17 Depth=1
	s_or_b64 exec, exec, s[60:61]
                                        ; implicit-def: $vgpr14_vgpr15
.LBB14_2850:                            ;   in Loop: Header=BB14_17 Depth=1
	s_andn2_saveexec_b64 s[60:61], s[68:69]
	s_cbranch_execz .LBB14_2852
; %bb.2851:                             ;   in Loop: Header=BB14_17 Depth=1
	flat_load_dword v14, v[14:15]
	s_waitcnt vmcnt(0) lgkmcnt(0)
	v_cvt_f32_f16_e32 v65, v14
.LBB14_2852:                            ;   in Loop: Header=BB14_17 Depth=1
	s_or_b64 exec, exec, s[60:61]
                                        ; implicit-def: $vgpr14_vgpr15
.LBB14_2853:                            ;   in Loop: Header=BB14_17 Depth=1
	s_andn2_saveexec_b64 s[66:67], s[66:67]
	s_cbranch_execz .LBB14_2863
; %bb.2854:                             ;   in Loop: Header=BB14_17 Depth=1
	v_cmp_gt_i16_sdwa s[60:61], v8, v50 src0_sel:BYTE_0 src1_sel:DWORD
                                        ; implicit-def: $vgpr65
	s_and_saveexec_b64 s[62:63], s[60:61]
	s_xor_b64 s[68:69], exec, s[62:63]
	s_cbranch_execz .LBB14_2860
; %bb.2855:                             ;   in Loop: Header=BB14_17 Depth=1
	v_cmp_gt_i16_sdwa s[60:61], v8, v51 src0_sel:BYTE_0 src1_sel:DWORD
                                        ; implicit-def: $vgpr65
	s_and_saveexec_b64 s[62:63], s[60:61]
	s_xor_b64 s[60:61], exec, s[62:63]
	s_cbranch_execz .LBB14_2857
; %bb.2856:                             ;   in Loop: Header=BB14_17 Depth=1
	flat_load_dwordx2 v[14:15], v[14:15]
	s_waitcnt vmcnt(0) lgkmcnt(0)
	v_cvt_f32_f64_e32 v65, v[14:15]
                                        ; implicit-def: $vgpr14_vgpr15
.LBB14_2857:                            ;   in Loop: Header=BB14_17 Depth=1
	s_andn2_saveexec_b64 s[60:61], s[60:61]
	s_cbranch_execz .LBB14_2859
; %bb.2858:                             ;   in Loop: Header=BB14_17 Depth=1
	s_waitcnt vmcnt(0) lgkmcnt(0)
	flat_load_dword v65, v[14:15]
.LBB14_2859:                            ;   in Loop: Header=BB14_17 Depth=1
	s_or_b64 exec, exec, s[60:61]
                                        ; implicit-def: $vgpr14_vgpr15
.LBB14_2860:                            ;   in Loop: Header=BB14_17 Depth=1
	s_andn2_saveexec_b64 s[60:61], s[68:69]
	s_cbranch_execz .LBB14_2862
; %bb.2861:                             ;   in Loop: Header=BB14_17 Depth=1
	flat_load_ushort v14, v[14:15]
	s_waitcnt vmcnt(0) lgkmcnt(0)
	v_cvt_f32_f16_e32 v65, v14
.LBB14_2862:                            ;   in Loop: Header=BB14_17 Depth=1
	s_or_b64 exec, exec, s[60:61]
.LBB14_2863:                            ;   in Loop: Header=BB14_17 Depth=1
	s_or_b64 exec, exec, s[66:67]
                                        ; implicit-def: $vgpr14_vgpr15
.LBB14_2864:                            ;   in Loop: Header=BB14_17 Depth=1
	s_andn2_saveexec_b64 s[72:73], s[72:73]
	s_cbranch_execz .LBB14_2882
; %bb.2865:                             ;   in Loop: Header=BB14_17 Depth=1
	v_cmp_gt_i16_sdwa s[60:61], v8, v52 src0_sel:BYTE_0 src1_sel:DWORD
                                        ; implicit-def: $vgpr65
	s_and_saveexec_b64 s[62:63], s[60:61]
	s_xor_b64 s[74:75], exec, s[62:63]
	s_cbranch_execz .LBB14_2875
; %bb.2866:                             ;   in Loop: Header=BB14_17 Depth=1
	v_cmp_gt_i16_sdwa s[60:61], v8, v53 src0_sel:BYTE_0 src1_sel:DWORD
                                        ; implicit-def: $vgpr65
	s_and_saveexec_b64 s[62:63], s[60:61]
	s_xor_b64 s[66:67], exec, s[62:63]
	;; [unrolled: 6-line block ×3, first 2 shown]
	s_cbranch_execz .LBB14_2869
; %bb.2868:                             ;   in Loop: Header=BB14_17 Depth=1
	flat_load_dwordx2 v[14:15], v[14:15]
	s_waitcnt vmcnt(0) lgkmcnt(0)
	v_xor_b32_e32 v66, v14, v15
	v_ffbh_i32_e32 v65, v15
	v_ashrrev_i32_e32 v66, 31, v66
	v_add_u32_e32 v65, -1, v65
	v_add_u32_e32 v66, 32, v66
	v_min_u32_e32 v65, v65, v66
	v_lshlrev_b64 v[14:15], v65, v[14:15]
	v_min_u32_e32 v14, 1, v14
	v_or_b32_e32 v14, v15, v14
	v_cvt_f32_i32_e32 v14, v14
	v_sub_u32_e32 v15, 32, v65
	v_ldexp_f32 v65, v14, v15
                                        ; implicit-def: $vgpr14_vgpr15
.LBB14_2869:                            ;   in Loop: Header=BB14_17 Depth=1
	s_andn2_saveexec_b64 s[60:61], s[68:69]
	s_cbranch_execz .LBB14_2871
; %bb.2870:                             ;   in Loop: Header=BB14_17 Depth=1
	flat_load_dword v14, v[14:15]
	s_waitcnt vmcnt(0) lgkmcnt(0)
	v_cvt_f32_i32_e32 v65, v14
.LBB14_2871:                            ;   in Loop: Header=BB14_17 Depth=1
	s_or_b64 exec, exec, s[60:61]
                                        ; implicit-def: $vgpr14_vgpr15
.LBB14_2872:                            ;   in Loop: Header=BB14_17 Depth=1
	s_andn2_saveexec_b64 s[60:61], s[66:67]
	s_cbranch_execz .LBB14_2874
; %bb.2873:                             ;   in Loop: Header=BB14_17 Depth=1
	flat_load_sshort v14, v[14:15]
	s_waitcnt vmcnt(0) lgkmcnt(0)
	v_cvt_f32_i32_e32 v65, v14
.LBB14_2874:                            ;   in Loop: Header=BB14_17 Depth=1
	s_or_b64 exec, exec, s[60:61]
                                        ; implicit-def: $vgpr14_vgpr15
.LBB14_2875:                            ;   in Loop: Header=BB14_17 Depth=1
	s_andn2_saveexec_b64 s[66:67], s[74:75]
	s_cbranch_execz .LBB14_2881
; %bb.2876:                             ;   in Loop: Header=BB14_17 Depth=1
	v_cmp_gt_i16_sdwa s[60:61], v8, v16 src0_sel:BYTE_0 src1_sel:DWORD
                                        ; implicit-def: $vgpr65
	s_and_saveexec_b64 s[62:63], s[60:61]
	s_xor_b64 s[60:61], exec, s[62:63]
	s_cbranch_execz .LBB14_2878
; %bb.2877:                             ;   in Loop: Header=BB14_17 Depth=1
	flat_load_sbyte v14, v[14:15]
	s_waitcnt vmcnt(0) lgkmcnt(0)
	v_cvt_f32_i32_e32 v65, v14
                                        ; implicit-def: $vgpr14_vgpr15
.LBB14_2878:                            ;   in Loop: Header=BB14_17 Depth=1
	s_andn2_saveexec_b64 s[60:61], s[60:61]
	s_cbranch_execz .LBB14_2880
; %bb.2879:                             ;   in Loop: Header=BB14_17 Depth=1
	flat_load_ubyte v14, v[14:15]
	s_waitcnt vmcnt(0) lgkmcnt(0)
	v_cvt_f32_ubyte0_e32 v65, v14
.LBB14_2880:                            ;   in Loop: Header=BB14_17 Depth=1
	s_or_b64 exec, exec, s[60:61]
.LBB14_2881:                            ;   in Loop: Header=BB14_17 Depth=1
	s_or_b64 exec, exec, s[66:67]
.LBB14_2882:                            ;   in Loop: Header=BB14_17 Depth=1
	s_or_b64 exec, exec, s[72:73]
	s_andn2_b64 s[96:97], s[96:97], exec
	s_andn2_b64 vcc, vcc, exec
	s_or_b64 s[78:79], s[78:79], exec
.LBB14_2883:                            ;   in Loop: Header=BB14_17 Depth=1
	s_or_b64 exec, exec, s[80:81]
	s_mov_b64 s[66:67], 0
	s_and_saveexec_b64 s[68:69], s[78:79]
	s_cbranch_execz .LBB14_2885
; %bb.2884:                             ;   in Loop: Header=BB14_17 Depth=1
	s_mov_b64 s[66:67], exec
	v_add_u32_e32 v55, 0x200, v55
	s_andn2_b64 s[96:97], s[96:97], exec
	s_andn2_b64 vcc, vcc, exec
	s_waitcnt vmcnt(0) lgkmcnt(0)
	buffer_store_dword v65, v64, s[0:3], 0 offen offset:96
.LBB14_2885:                            ;   in Loop: Header=BB14_17 Depth=1
	s_or_b64 exec, exec, s[68:69]
	s_andn2_b64 s[60:61], s[86:87], exec
	s_and_b64 s[62:63], s[96:97], exec
	s_or_b64 s[86:87], s[60:61], s[62:63]
	s_andn2_b64 s[60:61], s[84:85], exec
	s_and_b64 vcc, vcc, exec
	s_or_b64 s[84:85], s[60:61], vcc
	s_and_b64 s[66:67], s[66:67], exec
.LBB14_2886:                            ;   in Loop: Header=BB14_17 Depth=1
	s_or_b64 exec, exec, s[92:93]
	s_and_b64 vcc, s[86:87], exec
	v_writelane_b32 v44, vcc_lo, 22
	v_writelane_b32 v44, vcc_hi, 23
	s_and_b64 s[62:63], s[84:85], exec
	s_orn2_b64 s[66:67], s[66:67], exec
.LBB14_2887:                            ;   in Loop: Header=BB14_17 Depth=1
	s_or_b64 exec, exec, s[88:89]
	s_and_saveexec_b64 s[88:89], s[66:67]
	s_cbranch_execz .LBB14_4
; %bb.2888:                             ;   in Loop: Header=BB14_17 Depth=1
	v_writelane_b32 v44, s62, 26
	v_cmp_lt_i32_e32 vcc, v55, v6
	s_mov_b64 s[96:97], -1
	s_mov_b64 s[66:67], -1
                                        ; implicit-def: $sgpr60_sgpr61
	v_writelane_b32 v44, s63, 27
                                        ; kill: killed $sgpr60_sgpr61
                                        ; implicit-def: $sgpr60_sgpr61
                                        ; kill: killed $sgpr60_sgpr61
	s_and_saveexec_b64 s[90:91], vcc
	s_cbranch_execz .LBB14_3114
; %bb.2889:                             ;   in Loop: Header=BB14_17 Depth=1
	v_readlane_b32 vcc_lo, v44, 1
	s_waitcnt vmcnt(0) lgkmcnt(0)
	v_add_u32_e32 v65, vcc_lo, v55
	v_mul_lo_u32 v14, v65, v9
	v_add_co_u32_e32 v14, vcc, v2, v14
	v_addc_co_u32_e32 v15, vcc, 0, v3, vcc
	v_cmp_gt_i16_sdwa s[60:61], v7, v18 src0_sel:BYTE_0 src1_sel:DWORD
	s_mov_b64 vcc, 0
                                        ; implicit-def: $sgpr94_sgpr95
                                        ; implicit-def: $sgpr92_sgpr93
                                        ; implicit-def: $vgpr66
	s_and_saveexec_b64 s[62:63], s[60:61]
	s_xor_b64 s[84:85], exec, s[62:63]
	s_cbranch_execnz .LBB14_2908
; %bb.2890:                             ;   in Loop: Header=BB14_17 Depth=1
	s_andn2_saveexec_b64 s[78:79], s[84:85]
	s_cbranch_execnz .LBB14_2967
.LBB14_2891:                            ;   in Loop: Header=BB14_17 Depth=1
	s_or_b64 exec, exec, s[78:79]
	s_mov_b64 s[66:67], 0
	s_and_saveexec_b64 s[84:85], vcc
	s_cbranch_execnz .LBB14_3008
	s_branch .LBB14_3113
.LBB14_2892:                            ;   in Loop: Header=BB14_17 Depth=1
	s_movk_i32 vcc_lo, 0x80
	v_cmp_eq_u16_e32 vcc, vcc_lo, v14
	s_mov_b64 s[80:81], -1
                                        ; implicit-def: $sgpr86
	s_and_saveexec_b64 s[84:85], vcc
; %bb.2893:                             ;   in Loop: Header=BB14_17 Depth=1
	s_mov_b32 s86, 0x7f800001
	s_xor_b64 s[80:81], exec, -1
; %bb.2894:                             ;   in Loop: Header=BB14_17 Depth=1
	s_or_b64 exec, exec, s[84:85]
	s_and_b64 s[80:81], s[80:81], exec
	s_or_saveexec_b64 s[82:83], s[82:83]
	v_mov_b32_e32 v64, s86
	s_xor_b64 exec, exec, s[82:83]
	s_cbranch_execz .LBB14_1711
.LBB14_2895:                            ;   in Loop: Header=BB14_17 Depth=1
	v_cmp_ne_u16_e32 vcc, 0, v14
	s_andn2_b64 s[80:81], s[80:81], exec
	s_and_b64 vcc, vcc, exec
	v_mov_b32_e32 v64, 0
	s_or_b64 s[80:81], s[80:81], vcc
	s_or_b64 exec, exec, s[82:83]
	s_and_saveexec_b64 s[82:83], s[80:81]
	s_cbranch_execnz .LBB14_1712
	s_branch .LBB14_1713
.LBB14_2896:                            ;   in Loop: Header=BB14_17 Depth=1
	s_movk_i32 vcc_lo, 0x80
	v_cmp_eq_u16_e32 vcc, vcc_lo, v14
	s_mov_b64 s[80:81], -1
                                        ; implicit-def: $sgpr86
	s_and_saveexec_b64 s[84:85], vcc
; %bb.2897:                             ;   in Loop: Header=BB14_17 Depth=1
	s_mov_b32 s86, 0x7f800001
	s_xor_b64 s[80:81], exec, -1
; %bb.2898:                             ;   in Loop: Header=BB14_17 Depth=1
	s_or_b64 exec, exec, s[84:85]
	s_and_b64 s[80:81], s[80:81], exec
	s_or_saveexec_b64 s[82:83], s[82:83]
	v_mov_b32_e32 v66, s86
	s_xor_b64 exec, exec, s[82:83]
	s_cbranch_execz .LBB14_1811
.LBB14_2899:                            ;   in Loop: Header=BB14_17 Depth=1
	v_cmp_ne_u16_e32 vcc, 0, v14
	s_andn2_b64 s[80:81], s[80:81], exec
	s_and_b64 vcc, vcc, exec
	v_mov_b32_e32 v66, 0
	s_or_b64 s[80:81], s[80:81], vcc
	s_or_b64 exec, exec, s[82:83]
	s_and_saveexec_b64 s[82:83], s[80:81]
	s_cbranch_execnz .LBB14_1812
	s_branch .LBB14_1813
.LBB14_2900:                            ;   in Loop: Header=BB14_17 Depth=1
	s_movk_i32 vcc_lo, 0x80
	v_cmp_eq_u16_e32 vcc, vcc_lo, v14
	s_mov_b64 s[84:85], -1
                                        ; implicit-def: $sgpr90
	s_and_saveexec_b64 s[88:89], vcc
; %bb.2901:                             ;   in Loop: Header=BB14_17 Depth=1
	s_mov_b32 s90, 0x7f800001
	s_xor_b64 s[84:85], exec, -1
; %bb.2902:                             ;   in Loop: Header=BB14_17 Depth=1
	s_or_b64 exec, exec, s[88:89]
	s_and_b64 s[84:85], s[84:85], exec
	s_or_saveexec_b64 s[86:87], s[86:87]
	v_mov_b32_e32 v64, s90
	s_xor_b64 exec, exec, s[86:87]
	s_cbranch_execz .LBB14_1927
.LBB14_2903:                            ;   in Loop: Header=BB14_17 Depth=1
	v_cmp_ne_u16_e32 vcc, 0, v14
	s_andn2_b64 s[84:85], s[84:85], exec
	s_and_b64 vcc, vcc, exec
	v_mov_b32_e32 v64, 0
	s_or_b64 s[84:85], s[84:85], vcc
	s_or_b64 exec, exec, s[86:87]
	s_and_saveexec_b64 s[86:87], s[84:85]
	s_cbranch_execnz .LBB14_1928
	s_branch .LBB14_1929
.LBB14_2904:                            ;   in Loop: Header=BB14_17 Depth=1
	s_movk_i32 vcc_lo, 0x80
	v_cmp_eq_u16_e32 vcc, vcc_lo, v14
	s_mov_b64 s[84:85], -1
                                        ; implicit-def: $sgpr88
	s_and_saveexec_b64 s[60:61], vcc
; %bb.2905:                             ;   in Loop: Header=BB14_17 Depth=1
	s_mov_b32 s88, 0x7f800001
	s_xor_b64 s[84:85], exec, -1
; %bb.2906:                             ;   in Loop: Header=BB14_17 Depth=1
	s_or_b64 exec, exec, s[60:61]
	s_and_b64 s[84:85], s[84:85], exec
	s_or_saveexec_b64 s[86:87], s[86:87]
	v_mov_b32_e32 v66, s88
	s_xor_b64 exec, exec, s[86:87]
	s_cbranch_execz .LBB14_2027
.LBB14_2907:                            ;   in Loop: Header=BB14_17 Depth=1
	v_cmp_ne_u16_e32 vcc, 0, v14
	s_andn2_b64 s[60:61], s[84:85], exec
	s_and_b64 vcc, vcc, exec
	v_mov_b32_e32 v66, 0
	s_or_b64 s[84:85], s[60:61], vcc
	s_or_b64 exec, exec, s[86:87]
	s_and_saveexec_b64 s[86:87], s[84:85]
	s_cbranch_execnz .LBB14_2028
	s_branch .LBB14_2029
.LBB14_2908:                            ;   in Loop: Header=BB14_17 Depth=1
	v_cmp_gt_i16_sdwa vcc, v7, v19 src0_sel:BYTE_0 src1_sel:DWORD
	s_mov_b64 s[78:79], 0
                                        ; implicit-def: $sgpr80_sgpr81
                                        ; implicit-def: $sgpr94_sgpr95
                                        ; implicit-def: $vgpr66
	s_and_saveexec_b64 s[60:61], vcc
	s_xor_b64 s[92:93], exec, s[60:61]
	s_cbranch_execz .LBB14_2940
; %bb.2909:                             ;   in Loop: Header=BB14_17 Depth=1
	v_cmp_gt_i16_sdwa vcc, v7, v20 src0_sel:BYTE_0 src1_sel:DWORD
                                        ; implicit-def: $sgpr72_sgpr73
                                        ; implicit-def: $sgpr86_sgpr87
                                        ; implicit-def: $vgpr66
	s_and_saveexec_b64 s[60:61], vcc
	s_xor_b64 s[80:81], exec, s[60:61]
	s_cbranch_execz .LBB14_2925
; %bb.2910:                             ;   in Loop: Header=BB14_17 Depth=1
	v_cmp_gt_i16_sdwa s[60:61], v7, v21 src0_sel:BYTE_0 src1_sel:DWORD
	s_mov_b64 s[74:75], 0
                                        ; implicit-def: $vcc
                                        ; implicit-def: $sgpr86_sgpr87
                                        ; implicit-def: $vgpr66
	s_and_saveexec_b64 s[62:63], s[60:61]
	s_xor_b64 s[72:73], exec, s[62:63]
	s_cbranch_execz .LBB14_2920
; %bb.2911:                             ;   in Loop: Header=BB14_17 Depth=1
	v_cmp_gt_i16_sdwa vcc, v7, v22 src0_sel:BYTE_0 src1_sel:DWORD
                                        ; implicit-def: $sgpr74_sgpr75
                                        ; implicit-def: $sgpr94_sgpr95
                                        ; implicit-def: $vgpr66
	s_and_saveexec_b64 s[60:61], vcc
	s_xor_b64 vcc, exec, s[60:61]
	s_cbranch_execz .LBB14_2915
; %bb.2912:                             ;   in Loop: Header=BB14_17 Depth=1
	v_cmp_eq_u16_sdwa s[62:63], v7, v23 src0_sel:BYTE_0 src1_sel:DWORD
	s_mov_b64 s[74:75], 0
	s_mov_b64 s[66:67], 0
                                        ; implicit-def: $vgpr66
	s_and_saveexec_b64 s[60:61], s[62:63]
	s_cbranch_execz .LBB14_2914
; %bb.2913:                             ;   in Loop: Header=BB14_17 Depth=1
	flat_load_dword v14, v[14:15]
	s_mov_b64 s[66:67], exec
	s_waitcnt vmcnt(0) lgkmcnt(0)
	v_lshlrev_b32_e32 v66, 16, v14
.LBB14_2914:                            ;   in Loop: Header=BB14_17 Depth=1
	s_or_b64 exec, exec, s[60:61]
	s_mov_b64 s[94:95], -1
	s_and_b64 s[78:79], s[66:67], exec
                                        ; implicit-def: $vgpr14_vgpr15
.LBB14_2915:                            ;   in Loop: Header=BB14_17 Depth=1
	s_andn2_saveexec_b64 s[66:67], vcc
	s_cbranch_execz .LBB14_2919
; %bb.2916:                             ;   in Loop: Header=BB14_17 Depth=1
	v_cmp_eq_u16_sdwa s[60:61], v7, v24 src0_sel:BYTE_0 src1_sel:DWORD
	s_mov_b64 vcc, s[78:79]
                                        ; implicit-def: $vgpr66
	s_and_saveexec_b64 s[68:69], s[60:61]
	s_cbranch_execz .LBB14_2918
; %bb.2917:                             ;   in Loop: Header=BB14_17 Depth=1
	flat_load_ubyte v14, v[14:15]
	s_movk_i32 vcc_lo, 0xff
	s_waitcnt vmcnt(0) lgkmcnt(0)
	v_lshlrev_b32_e32 v15, 23, v14
	v_cmp_ne_u32_e32 vcc, vcc_lo, v14
	v_cndmask_b32_e32 v15, v25, v15, vcc
	v_cmp_ne_u32_e32 vcc, 0, v14
	v_cndmask_b32_e32 v66, v26, v15, vcc
	s_or_b64 vcc, s[78:79], exec
.LBB14_2918:                            ;   in Loop: Header=BB14_17 Depth=1
	s_or_b64 exec, exec, s[68:69]
	s_andn2_b64 s[60:61], s[78:79], exec
	s_and_b64 vcc, vcc, exec
	s_andn2_b64 s[74:75], s[74:75], exec
	s_or_b64 s[94:95], s[94:95], exec
	s_or_b64 s[78:79], s[60:61], vcc
.LBB14_2919:                            ;   in Loop: Header=BB14_17 Depth=1
	s_or_b64 exec, exec, s[66:67]
	s_and_b64 s[86:87], s[74:75], exec
	s_and_b64 vcc, s[94:95], exec
	s_and_b64 s[74:75], s[78:79], exec
                                        ; implicit-def: $vgpr14_vgpr15
.LBB14_2920:                            ;   in Loop: Header=BB14_17 Depth=1
	s_andn2_saveexec_b64 s[66:67], s[72:73]
	s_cbranch_execz .LBB14_2924
; %bb.2921:                             ;   in Loop: Header=BB14_17 Depth=1
	v_cmp_eq_u16_sdwa s[60:61], v7, v27 src0_sel:BYTE_0 src1_sel:DWORD
	s_mov_b64 s[70:71], s[74:75]
                                        ; implicit-def: $vgpr66
	s_and_saveexec_b64 s[68:69], s[60:61]
	s_cbranch_execz .LBB14_2923
; %bb.2922:                             ;   in Loop: Header=BB14_17 Depth=1
	flat_load_dwordx2 v[14:15], v[14:15]
	s_or_b64 s[70:71], s[74:75], exec
	s_waitcnt vmcnt(0) lgkmcnt(0)
	v_ffbh_u32_e32 v64, v15
	v_min_u32_e32 v64, 32, v64
	v_lshlrev_b64 v[14:15], v64, v[14:15]
	v_min_u32_e32 v14, 1, v14
	v_or_b32_e32 v14, v15, v14
	v_cvt_f32_u32_e32 v14, v14
	v_sub_u32_e32 v15, 32, v64
	v_ldexp_f32 v66, v14, v15
.LBB14_2923:                            ;   in Loop: Header=BB14_17 Depth=1
	s_or_b64 exec, exec, s[68:69]
	s_andn2_b64 s[60:61], s[74:75], exec
	s_and_b64 s[62:63], s[70:71], exec
	s_andn2_b64 s[86:87], s[86:87], exec
	s_or_b64 vcc, vcc, exec
	s_or_b64 s[74:75], s[60:61], s[62:63]
.LBB14_2924:                            ;   in Loop: Header=BB14_17 Depth=1
	s_or_b64 exec, exec, s[66:67]
	s_and_b64 s[86:87], s[86:87], exec
	s_and_b64 s[72:73], vcc, exec
	s_and_b64 s[78:79], s[74:75], exec
                                        ; implicit-def: $vgpr14_vgpr15
.LBB14_2925:                            ;   in Loop: Header=BB14_17 Depth=1
	s_andn2_saveexec_b64 s[80:81], s[80:81]
	s_cbranch_execz .LBB14_2939
; %bb.2926:                             ;   in Loop: Header=BB14_17 Depth=1
	v_cmp_gt_i16_sdwa vcc, v7, v28 src0_sel:BYTE_0 src1_sel:DWORD
                                        ; implicit-def: $vgpr66
	s_and_saveexec_b64 s[60:61], vcc
	s_xor_b64 vcc, exec, s[60:61]
	s_cbranch_execz .LBB14_2932
; %bb.2927:                             ;   in Loop: Header=BB14_17 Depth=1
	v_cmp_gt_i16_sdwa s[60:61], v7, v29 src0_sel:BYTE_0 src1_sel:DWORD
                                        ; implicit-def: $vgpr66
	s_and_saveexec_b64 s[62:63], s[60:61]
	s_xor_b64 s[60:61], exec, s[62:63]
	s_cbranch_execz .LBB14_2929
; %bb.2928:                             ;   in Loop: Header=BB14_17 Depth=1
	flat_load_dword v14, v[14:15]
	s_waitcnt vmcnt(0) lgkmcnt(0)
	v_cvt_f32_u32_e32 v66, v14
                                        ; implicit-def: $vgpr14_vgpr15
.LBB14_2929:                            ;   in Loop: Header=BB14_17 Depth=1
	s_andn2_saveexec_b64 s[60:61], s[60:61]
	s_cbranch_execz .LBB14_2931
; %bb.2930:                             ;   in Loop: Header=BB14_17 Depth=1
	flat_load_ushort v14, v[14:15]
	s_waitcnt vmcnt(0) lgkmcnt(0)
	v_cvt_f32_u32_e32 v66, v14
.LBB14_2931:                            ;   in Loop: Header=BB14_17 Depth=1
	s_or_b64 exec, exec, s[60:61]
                                        ; implicit-def: $vgpr14_vgpr15
.LBB14_2932:                            ;   in Loop: Header=BB14_17 Depth=1
	s_andn2_saveexec_b64 s[74:75], vcc
	s_cbranch_execz .LBB14_2938
; %bb.2933:                             ;   in Loop: Header=BB14_17 Depth=1
	flat_load_ubyte v14, v[14:15]
	s_movk_i32 vcc_lo, 0x7f
	s_mov_b64 s[66:67], 0
                                        ; implicit-def: $sgpr70
	s_waitcnt vmcnt(0) lgkmcnt(0)
	v_cmp_lt_i16_e32 vcc, vcc_lo, v14
	s_and_saveexec_b64 s[60:61], vcc
	s_xor_b64 s[68:69], exec, s[60:61]
	s_cbranch_execnz .LBB14_3598
; %bb.2934:                             ;   in Loop: Header=BB14_17 Depth=1
	s_or_saveexec_b64 s[68:69], s[68:69]
	v_mov_b32_e32 v66, s70
	s_xor_b64 exec, exec, s[68:69]
	s_cbranch_execnz .LBB14_3601
.LBB14_2935:                            ;   in Loop: Header=BB14_17 Depth=1
	s_or_b64 exec, exec, s[68:69]
	s_and_saveexec_b64 s[68:69], s[66:67]
	s_cbranch_execz .LBB14_2937
.LBB14_2936:                            ;   in Loop: Header=BB14_17 Depth=1
	v_lshlrev_b32_e32 v15, 24, v14
	v_and_b32_e32 v14, 0xffff, v14
	v_and_b32_e32 v64, 7, v14
	v_ffbh_u32_e32 v67, v64
	v_min_u32_e32 v67, 32, v67
	v_subrev_u32_e32 v68, 28, v67
	v_bfe_u32 v66, v14, 3, 4
	v_lshlrev_b32_e32 v14, v68, v14
	v_sub_u32_e32 v67, 29, v67
	v_and_b32_e32 v14, 7, v14
	v_cmp_eq_u32_e32 vcc, 0, v66
	v_cndmask_b32_e32 v66, v66, v67, vcc
	v_cndmask_b32_e32 v14, v64, v14, vcc
	v_lshlrev_b32_e32 v14, 20, v14
	v_and_b32_e32 v15, 0x80000000, v15
	v_lshl_add_u32 v64, v66, 23, v30
	v_or3_b32 v66, v15, v64, v14
.LBB14_2937:                            ;   in Loop: Header=BB14_17 Depth=1
	s_or_b64 exec, exec, s[68:69]
.LBB14_2938:                            ;   in Loop: Header=BB14_17 Depth=1
	s_or_b64 exec, exec, s[74:75]
	s_andn2_b64 s[86:87], s[86:87], exec
	s_andn2_b64 s[72:73], s[72:73], exec
	s_or_b64 s[78:79], s[78:79], exec
.LBB14_2939:                            ;   in Loop: Header=BB14_17 Depth=1
	s_or_b64 exec, exec, s[80:81]
	s_and_b64 s[94:95], s[86:87], exec
	s_and_b64 s[80:81], s[72:73], exec
	s_and_b64 s[78:79], s[78:79], exec
                                        ; implicit-def: $vgpr14_vgpr15
.LBB14_2940:                            ;   in Loop: Header=BB14_17 Depth=1
	s_andn2_saveexec_b64 s[86:87], s[92:93]
	s_cbranch_execz .LBB14_2966
; %bb.2941:                             ;   in Loop: Header=BB14_17 Depth=1
	v_cmp_gt_i16_sdwa vcc, v7, v31 src0_sel:BYTE_0 src1_sel:DWORD
	s_mov_b64 s[74:75], s[78:79]
                                        ; implicit-def: $vgpr66
	s_and_saveexec_b64 s[60:61], vcc
	s_xor_b64 s[72:73], exec, s[60:61]
	s_cbranch_execz .LBB14_2955
; %bb.2942:                             ;   in Loop: Header=BB14_17 Depth=1
	v_cmp_gt_i16_sdwa vcc, v7, v32 src0_sel:BYTE_0 src1_sel:DWORD
                                        ; implicit-def: $vgpr66
	s_and_saveexec_b64 s[60:61], vcc
	s_xor_b64 s[92:93], exec, s[60:61]
	s_cbranch_execz .LBB14_2952
; %bb.2943:                             ;   in Loop: Header=BB14_17 Depth=1
	v_cmp_gt_i16_sdwa vcc, v7, v33 src0_sel:BYTE_0 src1_sel:DWORD
                                        ; implicit-def: $vgpr66
	s_and_saveexec_b64 s[60:61], vcc
	s_xor_b64 s[74:75], exec, s[60:61]
	s_cbranch_execz .LBB14_2949
; %bb.2944:                             ;   in Loop: Header=BB14_17 Depth=1
	flat_load_ubyte v14, v[14:15]
	s_movk_i32 vcc_lo, 0x7f
	s_mov_b64 s[66:67], 0
                                        ; implicit-def: $sgpr70
	s_waitcnt vmcnt(0) lgkmcnt(0)
	v_cmp_lt_i16_e32 vcc, vcc_lo, v14
	s_and_saveexec_b64 s[60:61], vcc
	s_xor_b64 s[68:69], exec, s[60:61]
	s_cbranch_execnz .LBB14_3606
; %bb.2945:                             ;   in Loop: Header=BB14_17 Depth=1
	s_or_saveexec_b64 s[68:69], s[68:69]
	v_mov_b32_e32 v66, s70
	s_xor_b64 exec, exec, s[68:69]
	s_cbranch_execnz .LBB14_3609
.LBB14_2946:                            ;   in Loop: Header=BB14_17 Depth=1
	s_or_b64 exec, exec, s[68:69]
	s_and_saveexec_b64 s[68:69], s[66:67]
	s_cbranch_execz .LBB14_2948
.LBB14_2947:                            ;   in Loop: Header=BB14_17 Depth=1
	v_lshlrev_b32_e32 v15, 24, v14
	v_and_b32_e32 v14, 0xffff, v14
	v_and_b32_e32 v64, 3, v14
	v_ffbh_u32_e32 v67, v64
	v_min_u32_e32 v67, 32, v67
	v_subrev_u32_e32 v68, 29, v67
	v_bfe_u32 v66, v14, 2, 5
	v_lshlrev_b32_e32 v14, v68, v14
	v_sub_u32_e32 v67, 30, v67
	v_and_b32_e32 v14, 3, v14
	v_cmp_eq_u32_e32 vcc, 0, v66
	v_cndmask_b32_e32 v66, v66, v67, vcc
	v_cndmask_b32_e32 v14, v64, v14, vcc
	v_lshlrev_b32_e32 v14, 21, v14
	v_and_b32_e32 v15, 0x80000000, v15
	v_lshl_add_u32 v64, v66, 23, v34
	v_or3_b32 v66, v15, v64, v14
.LBB14_2948:                            ;   in Loop: Header=BB14_17 Depth=1
	s_or_b64 exec, exec, s[68:69]
                                        ; implicit-def: $vgpr14_vgpr15
.LBB14_2949:                            ;   in Loop: Header=BB14_17 Depth=1
	s_andn2_saveexec_b64 s[66:67], s[74:75]
	s_cbranch_execz .LBB14_2951
; %bb.2950:                             ;   in Loop: Header=BB14_17 Depth=1
	flat_load_ubyte v14, v[14:15]
	s_mov_b32 vcc_lo, 0x7f800000
	s_waitcnt vmcnt(0) lgkmcnt(0)
	v_lshlrev_b32_e32 v14, 24, v14
	v_and_b32_e32 v15, 0x7f000000, v14
	v_ffbh_u32_e32 v64, v15
	v_min_u32_e32 v64, 32, v64
	v_sub_u32_e64 v64, v64, 4 clamp
	v_lshlrev_b32_e32 v67, v64, v15
	v_lshlrev_b32_e32 v64, 23, v64
	v_lshrrev_b32_e32 v67, 4, v67
	v_add_u32_e32 v66, 0x1000000, v15
	v_sub_u32_e32 v64, v67, v64
	v_ashrrev_i32_e32 v66, 8, v66
	v_add_u32_e32 v64, 0x3c000000, v64
	v_and_or_b32 v64, v66, vcc_lo, v64
	v_cmp_ne_u32_e32 vcc, 0, v15
	v_cndmask_b32_e32 v15, 0, v64, vcc
	s_brev_b32 vcc_lo, 1
	v_and_or_b32 v66, v14, vcc_lo, v15
.LBB14_2951:                            ;   in Loop: Header=BB14_17 Depth=1
	s_or_b64 exec, exec, s[66:67]
                                        ; implicit-def: $vgpr14_vgpr15
.LBB14_2952:                            ;   in Loop: Header=BB14_17 Depth=1
	s_andn2_saveexec_b64 s[66:67], s[92:93]
	s_cbranch_execz .LBB14_2954
; %bb.2953:                             ;   in Loop: Header=BB14_17 Depth=1
	flat_load_ubyte v14, v[14:15]
	s_movk_i32 vcc_lo, 0x7f00
	s_waitcnt vmcnt(0) lgkmcnt(0)
	v_lshlrev_b16_e32 v15, 8, v14
	v_lshlrev_b32_e32 v14, 25, v14
	v_lshrrev_b32_e32 v64, 4, v14
	v_and_or_b32 v66, v15, vcc_lo, 0.5
	v_or_b32_e32 v64, 0x70000000, v64
	s_brev_b32 vcc_lo, 16
	v_add_f32_e32 v66, -0.5, v66
	v_mul_f32_e32 v64, 0x7800000, v64
	v_cmp_gt_u32_e32 vcc, vcc_lo, v14
	v_cndmask_b32_e32 v14, v64, v66, vcc
	v_bfe_i32 v15, v15, 0, 16
	s_brev_b32 vcc_lo, 1
	v_and_or_b32 v66, v15, vcc_lo, v14
.LBB14_2954:                            ;   in Loop: Header=BB14_17 Depth=1
	s_or_b64 exec, exec, s[66:67]
	s_or_b64 s[74:75], s[78:79], exec
                                        ; implicit-def: $vgpr14_vgpr15
.LBB14_2955:                            ;   in Loop: Header=BB14_17 Depth=1
	s_or_saveexec_b64 s[72:73], s[72:73]
                                        ; implicit-def: $vcc
                                        ; implicit-def: $sgpr68_sgpr69
	s_xor_b64 exec, exec, s[72:73]
	s_cbranch_execz .LBB14_2965
; %bb.2956:                             ;   in Loop: Header=BB14_17 Depth=1
	v_cmp_gt_i16_sdwa vcc, v7, v35 src0_sel:BYTE_0 src1_sel:DWORD
	s_mov_b64 s[66:67], s[74:75]
                                        ; implicit-def: $sgpr68_sgpr69
                                        ; implicit-def: $sgpr76_sgpr77
                                        ; implicit-def: $vgpr66
	s_and_saveexec_b64 s[60:61], vcc
	s_xor_b64 vcc, exec, s[60:61]
	s_cbranch_execz .LBB14_2960
; %bb.2957:                             ;   in Loop: Header=BB14_17 Depth=1
	v_cmp_eq_u16_sdwa s[62:63], v7, v36 src0_sel:BYTE_0 src1_sel:DWORD
	s_mov_b64 s[66:67], s[74:75]
                                        ; implicit-def: $vgpr66
	s_and_saveexec_b64 s[60:61], s[62:63]
	s_cbranch_execz .LBB14_2959
; %bb.2958:                             ;   in Loop: Header=BB14_17 Depth=1
	flat_load_ushort v14, v[14:15]
	s_or_b64 s[66:67], s[74:75], exec
	s_waitcnt vmcnt(0) lgkmcnt(0)
	v_lshlrev_b32_e32 v66, 16, v14
.LBB14_2959:                            ;   in Loop: Header=BB14_17 Depth=1
	s_or_b64 exec, exec, s[60:61]
	s_andn2_b64 s[60:61], s[74:75], exec
	s_and_b64 s[62:63], s[66:67], exec
	s_mov_b64 s[76:77], -1
	s_mov_b64 s[68:69], 0
	s_or_b64 s[66:67], s[60:61], s[62:63]
                                        ; implicit-def: $vgpr14_vgpr15
.LBB14_2960:                            ;   in Loop: Header=BB14_17 Depth=1
	s_andn2_saveexec_b64 s[70:71], vcc
	s_cbranch_execz .LBB14_2964
; %bb.2961:                             ;   in Loop: Header=BB14_17 Depth=1
	v_cmp_eq_u16_sdwa s[62:63], v7, v37 src0_sel:BYTE_0 src1_sel:DWORD
	s_mov_b64 vcc, s[66:67]
                                        ; implicit-def: $vgpr66
	s_and_saveexec_b64 s[60:61], s[62:63]
	s_cbranch_execz .LBB14_2963
; %bb.2962:                             ;   in Loop: Header=BB14_17 Depth=1
	flat_load_ubyte v14, v[14:15]
	s_waitcnt vmcnt(0) lgkmcnt(0)
	v_cmp_ne_u16_e32 vcc, 0, v14
	v_cndmask_b32_e64 v66, 0, 1.0, vcc
	s_or_b64 vcc, s[66:67], exec
.LBB14_2963:                            ;   in Loop: Header=BB14_17 Depth=1
	s_or_b64 exec, exec, s[60:61]
	s_andn2_b64 s[60:61], s[66:67], exec
	s_and_b64 vcc, vcc, exec
	s_andn2_b64 s[68:69], s[68:69], exec
	s_or_b64 s[76:77], s[76:77], exec
	s_or_b64 s[66:67], s[60:61], vcc
.LBB14_2964:                            ;   in Loop: Header=BB14_17 Depth=1
	s_or_b64 exec, exec, s[70:71]
	s_andn2_b64 s[60:61], s[74:75], exec
	s_and_b64 s[62:63], s[66:67], exec
	s_and_b64 s[68:69], s[68:69], exec
	s_and_b64 vcc, s[76:77], exec
	s_or_b64 s[74:75], s[60:61], s[62:63]
.LBB14_2965:                            ;   in Loop: Header=BB14_17 Depth=1
	s_or_b64 exec, exec, s[72:73]
	s_andn2_b64 s[60:61], s[94:95], exec
	s_and_b64 s[62:63], s[68:69], exec
	s_or_b64 s[94:95], s[60:61], s[62:63]
	s_andn2_b64 s[60:61], s[80:81], exec
	s_and_b64 vcc, vcc, exec
	s_or_b64 s[80:81], s[60:61], vcc
	s_andn2_b64 vcc, s[78:79], exec
	s_and_b64 s[60:61], s[74:75], exec
	s_or_b64 s[78:79], vcc, s[60:61]
.LBB14_2966:                            ;   in Loop: Header=BB14_17 Depth=1
	s_or_b64 exec, exec, s[86:87]
	s_and_b64 s[92:93], s[94:95], exec
	s_and_b64 s[94:95], s[80:81], exec
	s_and_b64 vcc, s[78:79], exec
                                        ; implicit-def: $vgpr14_vgpr15
	s_andn2_saveexec_b64 s[78:79], s[84:85]
	s_cbranch_execz .LBB14_2891
.LBB14_2967:                            ;   in Loop: Header=BB14_17 Depth=1
	v_cmp_gt_i16_sdwa s[60:61], v7, v38 src0_sel:BYTE_0 src1_sel:DWORD
                                        ; implicit-def: $vgpr66
	s_and_saveexec_b64 s[62:63], s[60:61]
	s_xor_b64 s[72:73], exec, s[62:63]
	s_cbranch_execz .LBB14_2989
; %bb.2968:                             ;   in Loop: Header=BB14_17 Depth=1
	v_cmp_gt_i16_sdwa s[60:61], v7, v39 src0_sel:BYTE_0 src1_sel:DWORD
                                        ; implicit-def: $vgpr66
	s_and_saveexec_b64 s[62:63], s[60:61]
	s_xor_b64 s[66:67], exec, s[62:63]
	s_cbranch_execz .LBB14_2978
; %bb.2969:                             ;   in Loop: Header=BB14_17 Depth=1
	;; [unrolled: 6-line block ×4, first 2 shown]
	flat_load_dwordx2 v[14:15], v[14:15]
	s_waitcnt vmcnt(0) lgkmcnt(0)
	v_cvt_f32_f64_e32 v66, v[14:15]
                                        ; implicit-def: $vgpr14_vgpr15
.LBB14_2972:                            ;   in Loop: Header=BB14_17 Depth=1
	s_andn2_saveexec_b64 s[60:61], s[60:61]
	s_cbranch_execz .LBB14_2974
; %bb.2973:                             ;   in Loop: Header=BB14_17 Depth=1
	flat_load_dword v66, v[14:15]
.LBB14_2974:                            ;   in Loop: Header=BB14_17 Depth=1
	s_or_b64 exec, exec, s[60:61]
                                        ; implicit-def: $vgpr14_vgpr15
.LBB14_2975:                            ;   in Loop: Header=BB14_17 Depth=1
	s_andn2_saveexec_b64 s[60:61], s[68:69]
	s_cbranch_execz .LBB14_2977
; %bb.2976:                             ;   in Loop: Header=BB14_17 Depth=1
	flat_load_dword v14, v[14:15]
	s_waitcnt vmcnt(0) lgkmcnt(0)
	v_cvt_f32_f16_e32 v66, v14
.LBB14_2977:                            ;   in Loop: Header=BB14_17 Depth=1
	s_or_b64 exec, exec, s[60:61]
                                        ; implicit-def: $vgpr14_vgpr15
.LBB14_2978:                            ;   in Loop: Header=BB14_17 Depth=1
	s_andn2_saveexec_b64 s[66:67], s[66:67]
	s_cbranch_execz .LBB14_2988
; %bb.2979:                             ;   in Loop: Header=BB14_17 Depth=1
	v_cmp_gt_i16_sdwa s[60:61], v7, v50 src0_sel:BYTE_0 src1_sel:DWORD
                                        ; implicit-def: $vgpr66
	s_and_saveexec_b64 s[62:63], s[60:61]
	s_xor_b64 s[68:69], exec, s[62:63]
	s_cbranch_execz .LBB14_2985
; %bb.2980:                             ;   in Loop: Header=BB14_17 Depth=1
	v_cmp_gt_i16_sdwa s[60:61], v7, v51 src0_sel:BYTE_0 src1_sel:DWORD
                                        ; implicit-def: $vgpr66
	s_and_saveexec_b64 s[62:63], s[60:61]
	s_xor_b64 s[60:61], exec, s[62:63]
	s_cbranch_execz .LBB14_2982
; %bb.2981:                             ;   in Loop: Header=BB14_17 Depth=1
	flat_load_dwordx2 v[14:15], v[14:15]
	s_waitcnt vmcnt(0) lgkmcnt(0)
	v_cvt_f32_f64_e32 v66, v[14:15]
                                        ; implicit-def: $vgpr14_vgpr15
.LBB14_2982:                            ;   in Loop: Header=BB14_17 Depth=1
	s_andn2_saveexec_b64 s[60:61], s[60:61]
	s_cbranch_execz .LBB14_2984
; %bb.2983:                             ;   in Loop: Header=BB14_17 Depth=1
	s_waitcnt vmcnt(0) lgkmcnt(0)
	flat_load_dword v66, v[14:15]
.LBB14_2984:                            ;   in Loop: Header=BB14_17 Depth=1
	s_or_b64 exec, exec, s[60:61]
                                        ; implicit-def: $vgpr14_vgpr15
.LBB14_2985:                            ;   in Loop: Header=BB14_17 Depth=1
	s_andn2_saveexec_b64 s[60:61], s[68:69]
	s_cbranch_execz .LBB14_2987
; %bb.2986:                             ;   in Loop: Header=BB14_17 Depth=1
	flat_load_ushort v14, v[14:15]
	s_waitcnt vmcnt(0) lgkmcnt(0)
	v_cvt_f32_f16_e32 v66, v14
.LBB14_2987:                            ;   in Loop: Header=BB14_17 Depth=1
	s_or_b64 exec, exec, s[60:61]
.LBB14_2988:                            ;   in Loop: Header=BB14_17 Depth=1
	s_or_b64 exec, exec, s[66:67]
                                        ; implicit-def: $vgpr14_vgpr15
.LBB14_2989:                            ;   in Loop: Header=BB14_17 Depth=1
	s_andn2_saveexec_b64 s[72:73], s[72:73]
	s_cbranch_execz .LBB14_3007
; %bb.2990:                             ;   in Loop: Header=BB14_17 Depth=1
	v_cmp_gt_i16_sdwa s[60:61], v7, v52 src0_sel:BYTE_0 src1_sel:DWORD
                                        ; implicit-def: $vgpr66
	s_and_saveexec_b64 s[62:63], s[60:61]
	s_xor_b64 s[74:75], exec, s[62:63]
	s_cbranch_execz .LBB14_3000
; %bb.2991:                             ;   in Loop: Header=BB14_17 Depth=1
	v_cmp_gt_i16_sdwa s[60:61], v7, v53 src0_sel:BYTE_0 src1_sel:DWORD
                                        ; implicit-def: $vgpr66
	s_and_saveexec_b64 s[62:63], s[60:61]
	s_xor_b64 s[66:67], exec, s[62:63]
	;; [unrolled: 6-line block ×3, first 2 shown]
	s_cbranch_execz .LBB14_2994
; %bb.2993:                             ;   in Loop: Header=BB14_17 Depth=1
	flat_load_dwordx2 v[14:15], v[14:15]
	s_waitcnt vmcnt(0) lgkmcnt(0)
	v_xor_b32_e32 v66, v14, v15
	v_ffbh_i32_e32 v64, v15
	v_ashrrev_i32_e32 v66, 31, v66
	v_add_u32_e32 v64, -1, v64
	v_add_u32_e32 v66, 32, v66
	v_min_u32_e32 v64, v64, v66
	v_lshlrev_b64 v[14:15], v64, v[14:15]
	v_min_u32_e32 v14, 1, v14
	v_or_b32_e32 v14, v15, v14
	v_cvt_f32_i32_e32 v14, v14
	v_sub_u32_e32 v15, 32, v64
	v_ldexp_f32 v66, v14, v15
                                        ; implicit-def: $vgpr14_vgpr15
.LBB14_2994:                            ;   in Loop: Header=BB14_17 Depth=1
	s_andn2_saveexec_b64 s[60:61], s[68:69]
	s_cbranch_execz .LBB14_2996
; %bb.2995:                             ;   in Loop: Header=BB14_17 Depth=1
	flat_load_dword v14, v[14:15]
	s_waitcnt vmcnt(0) lgkmcnt(0)
	v_cvt_f32_i32_e32 v66, v14
.LBB14_2996:                            ;   in Loop: Header=BB14_17 Depth=1
	s_or_b64 exec, exec, s[60:61]
                                        ; implicit-def: $vgpr14_vgpr15
.LBB14_2997:                            ;   in Loop: Header=BB14_17 Depth=1
	s_andn2_saveexec_b64 s[60:61], s[66:67]
	s_cbranch_execz .LBB14_2999
; %bb.2998:                             ;   in Loop: Header=BB14_17 Depth=1
	flat_load_sshort v14, v[14:15]
	s_waitcnt vmcnt(0) lgkmcnt(0)
	v_cvt_f32_i32_e32 v66, v14
.LBB14_2999:                            ;   in Loop: Header=BB14_17 Depth=1
	s_or_b64 exec, exec, s[60:61]
                                        ; implicit-def: $vgpr14_vgpr15
.LBB14_3000:                            ;   in Loop: Header=BB14_17 Depth=1
	s_andn2_saveexec_b64 s[66:67], s[74:75]
	s_cbranch_execz .LBB14_3006
; %bb.3001:                             ;   in Loop: Header=BB14_17 Depth=1
	v_cmp_gt_i16_sdwa s[60:61], v7, v16 src0_sel:BYTE_0 src1_sel:DWORD
                                        ; implicit-def: $vgpr66
	s_and_saveexec_b64 s[62:63], s[60:61]
	s_xor_b64 s[60:61], exec, s[62:63]
	s_cbranch_execz .LBB14_3003
; %bb.3002:                             ;   in Loop: Header=BB14_17 Depth=1
	flat_load_sbyte v14, v[14:15]
	s_waitcnt vmcnt(0) lgkmcnt(0)
	v_cvt_f32_i32_e32 v66, v14
                                        ; implicit-def: $vgpr14_vgpr15
.LBB14_3003:                            ;   in Loop: Header=BB14_17 Depth=1
	s_andn2_saveexec_b64 s[60:61], s[60:61]
	s_cbranch_execz .LBB14_3005
; %bb.3004:                             ;   in Loop: Header=BB14_17 Depth=1
	flat_load_ubyte v14, v[14:15]
	s_waitcnt vmcnt(0) lgkmcnt(0)
	v_cvt_f32_ubyte0_e32 v66, v14
.LBB14_3005:                            ;   in Loop: Header=BB14_17 Depth=1
	s_or_b64 exec, exec, s[60:61]
.LBB14_3006:                            ;   in Loop: Header=BB14_17 Depth=1
	s_or_b64 exec, exec, s[66:67]
.LBB14_3007:                            ;   in Loop: Header=BB14_17 Depth=1
	s_or_b64 exec, exec, s[72:73]
	s_andn2_b64 s[92:93], s[92:93], exec
	s_andn2_b64 s[94:95], s[94:95], exec
	s_or_b64 vcc, vcc, exec
	s_or_b64 exec, exec, s[78:79]
	s_mov_b64 s[66:67], 0
	s_and_saveexec_b64 s[84:85], vcc
	s_cbranch_execz .LBB14_3113
.LBB14_3008:                            ;   in Loop: Header=BB14_17 Depth=1
	v_mul_lo_u32 v14, v65, v10
	v_readlane_b32 s60, v44, 0
	v_add_co_u32_e32 v14, vcc, v4, v14
	v_add_u32_e32 v64, s60, v17
	v_addc_co_u32_e32 v15, vcc, 0, v5, vcc
	v_cmp_gt_i16_sdwa s[60:61], v8, v18 src0_sel:BYTE_0 src1_sel:DWORD
	s_mov_b64 s[78:79], 0
	s_waitcnt vmcnt(0) lgkmcnt(0)
	buffer_store_dword v66, v64, s[0:3], 0 offen offset:108
                                        ; implicit-def: $vcc
                                        ; implicit-def: $sgpr86_sgpr87
                                        ; implicit-def: $vgpr65
	s_and_saveexec_b64 s[62:63], s[60:61]
	s_xor_b64 s[62:63], exec, s[62:63]
	v_writelane_b32 v44, s62, 32
	v_writelane_b32 v44, s63, 33
	s_cbranch_execz .LBB14_3068
; %bb.3009:                             ;   in Loop: Header=BB14_17 Depth=1
	v_cmp_gt_i16_sdwa vcc, v8, v19 src0_sel:BYTE_0 src1_sel:DWORD
                                        ; implicit-def: $sgpr62_sgpr63
                                        ; implicit-def: $sgpr86_sgpr87
                                        ; implicit-def: $vgpr65
	s_and_saveexec_b64 s[60:61], vcc
	s_xor_b64 s[76:77], exec, s[60:61]
	s_cbranch_execz .LBB14_3041
; %bb.3010:                             ;   in Loop: Header=BB14_17 Depth=1
	v_cmp_gt_i16_sdwa vcc, v8, v20 src0_sel:BYTE_0 src1_sel:DWORD
                                        ; implicit-def: $sgpr72_sgpr73
                                        ; implicit-def: $sgpr86_sgpr87
                                        ; implicit-def: $vgpr65
	s_and_saveexec_b64 s[60:61], vcc
	s_xor_b64 s[80:81], exec, s[60:61]
	s_cbranch_execz .LBB14_3026
; %bb.3011:                             ;   in Loop: Header=BB14_17 Depth=1
	v_cmp_gt_i16_sdwa s[60:61], v8, v21 src0_sel:BYTE_0 src1_sel:DWORD
	s_mov_b64 s[74:75], 0
                                        ; implicit-def: $vcc
                                        ; implicit-def: $sgpr86_sgpr87
                                        ; implicit-def: $vgpr65
	s_and_saveexec_b64 s[62:63], s[60:61]
	s_xor_b64 s[72:73], exec, s[62:63]
	s_cbranch_execz .LBB14_3021
; %bb.3012:                             ;   in Loop: Header=BB14_17 Depth=1
	v_cmp_gt_i16_sdwa vcc, v8, v22 src0_sel:BYTE_0 src1_sel:DWORD
                                        ; implicit-def: $sgpr86_sgpr87
                                        ; implicit-def: $sgpr74_sgpr75
                                        ; implicit-def: $vgpr65
	s_and_saveexec_b64 s[60:61], vcc
	s_xor_b64 vcc, exec, s[60:61]
	s_cbranch_execz .LBB14_3016
; %bb.3013:                             ;   in Loop: Header=BB14_17 Depth=1
	v_cmp_eq_u16_sdwa s[62:63], v8, v23 src0_sel:BYTE_0 src1_sel:DWORD
	s_mov_b64 s[74:75], 0
                                        ; implicit-def: $vgpr65
	s_and_saveexec_b64 s[60:61], s[62:63]
	s_cbranch_execz .LBB14_3015
; %bb.3014:                             ;   in Loop: Header=BB14_17 Depth=1
	flat_load_dword v14, v[14:15]
	s_mov_b64 s[66:67], exec
	s_waitcnt vmcnt(0) lgkmcnt(0)
	v_lshlrev_b32_e32 v65, 16, v14
.LBB14_3015:                            ;   in Loop: Header=BB14_17 Depth=1
	s_or_b64 exec, exec, s[60:61]
	s_mov_b64 s[86:87], -1
	s_and_b64 s[78:79], s[66:67], exec
                                        ; implicit-def: $vgpr14_vgpr15
.LBB14_3016:                            ;   in Loop: Header=BB14_17 Depth=1
	s_andn2_saveexec_b64 s[66:67], vcc
	s_cbranch_execz .LBB14_3020
; %bb.3017:                             ;   in Loop: Header=BB14_17 Depth=1
	v_cmp_eq_u16_sdwa s[60:61], v8, v24 src0_sel:BYTE_0 src1_sel:DWORD
	s_mov_b64 vcc, s[78:79]
                                        ; implicit-def: $vgpr65
	s_and_saveexec_b64 s[68:69], s[60:61]
	s_cbranch_execz .LBB14_3019
; %bb.3018:                             ;   in Loop: Header=BB14_17 Depth=1
	flat_load_ubyte v14, v[14:15]
	s_movk_i32 vcc_lo, 0xff
	s_waitcnt vmcnt(0) lgkmcnt(0)
	v_lshlrev_b32_e32 v15, 23, v14
	v_cmp_ne_u32_e32 vcc, vcc_lo, v14
	v_cndmask_b32_e32 v15, v25, v15, vcc
	v_cmp_ne_u32_e32 vcc, 0, v14
	v_cndmask_b32_e32 v65, v26, v15, vcc
	s_or_b64 vcc, s[78:79], exec
.LBB14_3019:                            ;   in Loop: Header=BB14_17 Depth=1
	s_or_b64 exec, exec, s[68:69]
	s_andn2_b64 s[60:61], s[78:79], exec
	s_and_b64 vcc, vcc, exec
	s_or_b64 s[86:87], s[86:87], exec
	s_andn2_b64 s[74:75], s[74:75], exec
	s_or_b64 s[78:79], s[60:61], vcc
.LBB14_3020:                            ;   in Loop: Header=BB14_17 Depth=1
	s_or_b64 exec, exec, s[66:67]
	s_and_b64 s[86:87], s[86:87], exec
	s_and_b64 vcc, s[74:75], exec
	s_and_b64 s[74:75], s[78:79], exec
                                        ; implicit-def: $vgpr14_vgpr15
.LBB14_3021:                            ;   in Loop: Header=BB14_17 Depth=1
	s_andn2_saveexec_b64 s[66:67], s[72:73]
	s_cbranch_execz .LBB14_3025
; %bb.3022:                             ;   in Loop: Header=BB14_17 Depth=1
	v_cmp_eq_u16_sdwa s[60:61], v8, v27 src0_sel:BYTE_0 src1_sel:DWORD
	s_mov_b64 s[70:71], s[74:75]
                                        ; implicit-def: $vgpr65
	s_and_saveexec_b64 s[68:69], s[60:61]
	s_cbranch_execz .LBB14_3024
; %bb.3023:                             ;   in Loop: Header=BB14_17 Depth=1
	flat_load_dwordx2 v[14:15], v[14:15]
	s_or_b64 s[70:71], s[74:75], exec
	s_waitcnt vmcnt(0) lgkmcnt(0)
	v_ffbh_u32_e32 v65, v15
	v_min_u32_e32 v65, 32, v65
	v_lshlrev_b64 v[14:15], v65, v[14:15]
	v_min_u32_e32 v14, 1, v14
	v_or_b32_e32 v14, v15, v14
	v_cvt_f32_u32_e32 v14, v14
	v_sub_u32_e32 v15, 32, v65
	v_ldexp_f32 v65, v14, v15
.LBB14_3024:                            ;   in Loop: Header=BB14_17 Depth=1
	s_or_b64 exec, exec, s[68:69]
	s_andn2_b64 s[60:61], s[74:75], exec
	s_and_b64 s[62:63], s[70:71], exec
	s_or_b64 s[86:87], s[86:87], exec
	s_andn2_b64 vcc, vcc, exec
	s_or_b64 s[74:75], s[60:61], s[62:63]
.LBB14_3025:                            ;   in Loop: Header=BB14_17 Depth=1
	s_or_b64 exec, exec, s[66:67]
	s_and_b64 s[86:87], s[86:87], exec
	s_and_b64 s[72:73], vcc, exec
	s_and_b64 s[78:79], s[74:75], exec
                                        ; implicit-def: $vgpr14_vgpr15
.LBB14_3026:                            ;   in Loop: Header=BB14_17 Depth=1
	s_andn2_saveexec_b64 s[80:81], s[80:81]
	s_cbranch_execz .LBB14_3040
; %bb.3027:                             ;   in Loop: Header=BB14_17 Depth=1
	v_cmp_gt_i16_sdwa vcc, v8, v28 src0_sel:BYTE_0 src1_sel:DWORD
                                        ; implicit-def: $vgpr65
	s_and_saveexec_b64 s[60:61], vcc
	s_xor_b64 vcc, exec, s[60:61]
	s_cbranch_execz .LBB14_3033
; %bb.3028:                             ;   in Loop: Header=BB14_17 Depth=1
	v_cmp_gt_i16_sdwa s[60:61], v8, v29 src0_sel:BYTE_0 src1_sel:DWORD
                                        ; implicit-def: $vgpr65
	s_and_saveexec_b64 s[62:63], s[60:61]
	s_xor_b64 s[60:61], exec, s[62:63]
	s_cbranch_execz .LBB14_3030
; %bb.3029:                             ;   in Loop: Header=BB14_17 Depth=1
	flat_load_dword v14, v[14:15]
	s_waitcnt vmcnt(0) lgkmcnt(0)
	v_cvt_f32_u32_e32 v65, v14
                                        ; implicit-def: $vgpr14_vgpr15
.LBB14_3030:                            ;   in Loop: Header=BB14_17 Depth=1
	s_andn2_saveexec_b64 s[60:61], s[60:61]
	s_cbranch_execz .LBB14_3032
; %bb.3031:                             ;   in Loop: Header=BB14_17 Depth=1
	flat_load_ushort v14, v[14:15]
	s_waitcnt vmcnt(0) lgkmcnt(0)
	v_cvt_f32_u32_e32 v65, v14
.LBB14_3032:                            ;   in Loop: Header=BB14_17 Depth=1
	s_or_b64 exec, exec, s[60:61]
                                        ; implicit-def: $vgpr14_vgpr15
.LBB14_3033:                            ;   in Loop: Header=BB14_17 Depth=1
	s_andn2_saveexec_b64 s[74:75], vcc
	s_cbranch_execz .LBB14_3039
; %bb.3034:                             ;   in Loop: Header=BB14_17 Depth=1
	flat_load_ubyte v14, v[14:15]
	s_movk_i32 vcc_lo, 0x7f
	s_mov_b64 s[66:67], 0
                                        ; implicit-def: $sgpr70
	s_waitcnt vmcnt(0) lgkmcnt(0)
	v_cmp_lt_i16_e32 vcc, vcc_lo, v14
	s_and_saveexec_b64 s[60:61], vcc
	s_xor_b64 s[68:69], exec, s[60:61]
	s_cbranch_execnz .LBB14_3610
; %bb.3035:                             ;   in Loop: Header=BB14_17 Depth=1
	s_or_saveexec_b64 s[68:69], s[68:69]
	v_mov_b32_e32 v65, s70
	s_xor_b64 exec, exec, s[68:69]
	s_cbranch_execnz .LBB14_3613
.LBB14_3036:                            ;   in Loop: Header=BB14_17 Depth=1
	s_or_b64 exec, exec, s[68:69]
	s_and_saveexec_b64 s[68:69], s[66:67]
	s_cbranch_execz .LBB14_3038
.LBB14_3037:                            ;   in Loop: Header=BB14_17 Depth=1
	v_lshlrev_b32_e32 v15, 24, v14
	v_and_b32_e32 v14, 0xffff, v14
	v_and_b32_e32 v65, 7, v14
	v_ffbh_u32_e32 v67, v65
	v_min_u32_e32 v67, 32, v67
	v_subrev_u32_e32 v68, 28, v67
	v_bfe_u32 v66, v14, 3, 4
	v_lshlrev_b32_e32 v14, v68, v14
	v_sub_u32_e32 v67, 29, v67
	v_and_b32_e32 v14, 7, v14
	v_cmp_eq_u32_e32 vcc, 0, v66
	v_cndmask_b32_e32 v66, v66, v67, vcc
	v_cndmask_b32_e32 v14, v65, v14, vcc
	v_lshlrev_b32_e32 v14, 20, v14
	v_and_b32_e32 v15, 0x80000000, v15
	v_lshl_add_u32 v65, v66, 23, v30
	v_or3_b32 v65, v15, v65, v14
.LBB14_3038:                            ;   in Loop: Header=BB14_17 Depth=1
	s_or_b64 exec, exec, s[68:69]
.LBB14_3039:                            ;   in Loop: Header=BB14_17 Depth=1
	s_or_b64 exec, exec, s[74:75]
	s_andn2_b64 s[86:87], s[86:87], exec
	s_andn2_b64 s[72:73], s[72:73], exec
	s_or_b64 s[78:79], s[78:79], exec
.LBB14_3040:                            ;   in Loop: Header=BB14_17 Depth=1
	s_or_b64 exec, exec, s[80:81]
	s_and_b64 s[86:87], s[86:87], exec
	s_and_b64 s[62:63], s[72:73], exec
	;; [unrolled: 1-line block ×3, first 2 shown]
                                        ; implicit-def: $vgpr14_vgpr15
.LBB14_3041:                            ;   in Loop: Header=BB14_17 Depth=1
	s_andn2_saveexec_b64 s[80:81], s[76:77]
	s_cbranch_execz .LBB14_3067
; %bb.3042:                             ;   in Loop: Header=BB14_17 Depth=1
	v_writelane_b32 v44, s62, 34
	v_cmp_gt_i16_sdwa vcc, v8, v31 src0_sel:BYTE_0 src1_sel:DWORD
	s_mov_b64 s[74:75], s[78:79]
	v_writelane_b32 v44, s63, 35
                                        ; implicit-def: $vgpr65
	s_and_saveexec_b64 s[60:61], vcc
	s_xor_b64 s[72:73], exec, s[60:61]
	s_cbranch_execz .LBB14_3056
; %bb.3043:                             ;   in Loop: Header=BB14_17 Depth=1
	v_cmp_gt_i16_sdwa vcc, v8, v32 src0_sel:BYTE_0 src1_sel:DWORD
                                        ; implicit-def: $vgpr65
	s_and_saveexec_b64 s[60:61], vcc
	s_xor_b64 s[62:63], exec, s[60:61]
	s_cbranch_execz .LBB14_3053
; %bb.3044:                             ;   in Loop: Header=BB14_17 Depth=1
	v_cmp_gt_i16_sdwa vcc, v8, v33 src0_sel:BYTE_0 src1_sel:DWORD
                                        ; implicit-def: $vgpr65
	s_and_saveexec_b64 s[60:61], vcc
	s_xor_b64 s[74:75], exec, s[60:61]
	s_cbranch_execz .LBB14_3050
; %bb.3045:                             ;   in Loop: Header=BB14_17 Depth=1
	flat_load_ubyte v14, v[14:15]
	s_movk_i32 vcc_lo, 0x7f
	s_mov_b64 s[66:67], 0
                                        ; implicit-def: $sgpr70
	s_waitcnt vmcnt(0) lgkmcnt(0)
	v_cmp_lt_i16_e32 vcc, vcc_lo, v14
	s_and_saveexec_b64 s[60:61], vcc
	s_xor_b64 s[68:69], exec, s[60:61]
	s_cbranch_execnz .LBB14_3618
; %bb.3046:                             ;   in Loop: Header=BB14_17 Depth=1
	s_or_saveexec_b64 s[68:69], s[68:69]
	v_mov_b32_e32 v65, s70
	s_xor_b64 exec, exec, s[68:69]
	s_cbranch_execnz .LBB14_3621
.LBB14_3047:                            ;   in Loop: Header=BB14_17 Depth=1
	s_or_b64 exec, exec, s[68:69]
	s_and_saveexec_b64 s[68:69], s[66:67]
	s_cbranch_execz .LBB14_3049
.LBB14_3048:                            ;   in Loop: Header=BB14_17 Depth=1
	v_lshlrev_b32_e32 v15, 24, v14
	v_and_b32_e32 v14, 0xffff, v14
	v_and_b32_e32 v65, 3, v14
	v_ffbh_u32_e32 v67, v65
	v_min_u32_e32 v67, 32, v67
	v_subrev_u32_e32 v68, 29, v67
	v_bfe_u32 v66, v14, 2, 5
	v_lshlrev_b32_e32 v14, v68, v14
	v_sub_u32_e32 v67, 30, v67
	v_and_b32_e32 v14, 3, v14
	v_cmp_eq_u32_e32 vcc, 0, v66
	v_cndmask_b32_e32 v66, v66, v67, vcc
	v_cndmask_b32_e32 v14, v65, v14, vcc
	v_lshlrev_b32_e32 v14, 21, v14
	v_and_b32_e32 v15, 0x80000000, v15
	v_lshl_add_u32 v65, v66, 23, v34
	v_or3_b32 v65, v15, v65, v14
.LBB14_3049:                            ;   in Loop: Header=BB14_17 Depth=1
	s_or_b64 exec, exec, s[68:69]
                                        ; implicit-def: $vgpr14_vgpr15
.LBB14_3050:                            ;   in Loop: Header=BB14_17 Depth=1
	s_andn2_saveexec_b64 s[66:67], s[74:75]
	s_cbranch_execz .LBB14_3052
; %bb.3051:                             ;   in Loop: Header=BB14_17 Depth=1
	flat_load_ubyte v14, v[14:15]
	s_mov_b32 vcc_lo, 0x7f800000
	s_waitcnt vmcnt(0) lgkmcnt(0)
	v_lshlrev_b32_e32 v14, 24, v14
	v_and_b32_e32 v15, 0x7f000000, v14
	v_ffbh_u32_e32 v65, v15
	v_min_u32_e32 v65, 32, v65
	v_sub_u32_e64 v65, v65, 4 clamp
	v_lshlrev_b32_e32 v67, v65, v15
	v_lshlrev_b32_e32 v65, 23, v65
	v_lshrrev_b32_e32 v67, 4, v67
	v_add_u32_e32 v66, 0x1000000, v15
	v_sub_u32_e32 v65, v67, v65
	v_ashrrev_i32_e32 v66, 8, v66
	v_add_u32_e32 v65, 0x3c000000, v65
	v_and_or_b32 v65, v66, vcc_lo, v65
	v_cmp_ne_u32_e32 vcc, 0, v15
	v_cndmask_b32_e32 v15, 0, v65, vcc
	s_brev_b32 vcc_lo, 1
	v_and_or_b32 v65, v14, vcc_lo, v15
.LBB14_3052:                            ;   in Loop: Header=BB14_17 Depth=1
	s_or_b64 exec, exec, s[66:67]
                                        ; implicit-def: $vgpr14_vgpr15
.LBB14_3053:                            ;   in Loop: Header=BB14_17 Depth=1
	s_andn2_saveexec_b64 s[66:67], s[62:63]
	s_cbranch_execz .LBB14_3055
; %bb.3054:                             ;   in Loop: Header=BB14_17 Depth=1
	flat_load_ubyte v14, v[14:15]
	s_movk_i32 vcc_lo, 0x7f00
	s_waitcnt vmcnt(0) lgkmcnt(0)
	v_lshlrev_b16_e32 v15, 8, v14
	v_lshlrev_b32_e32 v14, 25, v14
	v_lshrrev_b32_e32 v65, 4, v14
	v_and_or_b32 v66, v15, vcc_lo, 0.5
	v_or_b32_e32 v65, 0x70000000, v65
	s_brev_b32 vcc_lo, 16
	v_add_f32_e32 v66, -0.5, v66
	v_mul_f32_e32 v65, 0x7800000, v65
	v_cmp_gt_u32_e32 vcc, vcc_lo, v14
	v_cndmask_b32_e32 v14, v65, v66, vcc
	v_bfe_i32 v15, v15, 0, 16
	s_brev_b32 vcc_lo, 1
	v_and_or_b32 v65, v15, vcc_lo, v14
.LBB14_3055:                            ;   in Loop: Header=BB14_17 Depth=1
	s_or_b64 exec, exec, s[66:67]
	s_or_b64 s[74:75], s[78:79], exec
                                        ; implicit-def: $vgpr14_vgpr15
.LBB14_3056:                            ;   in Loop: Header=BB14_17 Depth=1
	s_or_saveexec_b64 s[72:73], s[72:73]
                                        ; implicit-def: $vcc
                                        ; implicit-def: $sgpr68_sgpr69
	s_xor_b64 exec, exec, s[72:73]
	s_cbranch_execz .LBB14_3066
; %bb.3057:                             ;   in Loop: Header=BB14_17 Depth=1
	v_cmp_gt_i16_sdwa vcc, v8, v35 src0_sel:BYTE_0 src1_sel:DWORD
	s_mov_b64 s[66:67], s[74:75]
                                        ; implicit-def: $sgpr68_sgpr69
                                        ; implicit-def: $sgpr76_sgpr77
                                        ; implicit-def: $vgpr65
	s_and_saveexec_b64 s[60:61], vcc
	s_xor_b64 vcc, exec, s[60:61]
	s_cbranch_execz .LBB14_3061
; %bb.3058:                             ;   in Loop: Header=BB14_17 Depth=1
	v_cmp_eq_u16_sdwa s[62:63], v8, v36 src0_sel:BYTE_0 src1_sel:DWORD
	s_mov_b64 s[66:67], s[74:75]
                                        ; implicit-def: $vgpr65
	s_and_saveexec_b64 s[60:61], s[62:63]
	s_cbranch_execz .LBB14_3060
; %bb.3059:                             ;   in Loop: Header=BB14_17 Depth=1
	flat_load_ushort v14, v[14:15]
	s_or_b64 s[66:67], s[74:75], exec
	s_waitcnt vmcnt(0) lgkmcnt(0)
	v_lshlrev_b32_e32 v65, 16, v14
.LBB14_3060:                            ;   in Loop: Header=BB14_17 Depth=1
	s_or_b64 exec, exec, s[60:61]
	s_andn2_b64 s[60:61], s[74:75], exec
	s_and_b64 s[62:63], s[66:67], exec
	s_mov_b64 s[76:77], 0
	s_mov_b64 s[68:69], -1
	s_or_b64 s[66:67], s[60:61], s[62:63]
                                        ; implicit-def: $vgpr14_vgpr15
.LBB14_3061:                            ;   in Loop: Header=BB14_17 Depth=1
	s_andn2_saveexec_b64 s[70:71], vcc
	s_cbranch_execz .LBB14_3065
; %bb.3062:                             ;   in Loop: Header=BB14_17 Depth=1
	v_cmp_eq_u16_sdwa s[62:63], v8, v37 src0_sel:BYTE_0 src1_sel:DWORD
	s_mov_b64 vcc, s[66:67]
                                        ; implicit-def: $vgpr65
	s_and_saveexec_b64 s[60:61], s[62:63]
	s_cbranch_execz .LBB14_3064
; %bb.3063:                             ;   in Loop: Header=BB14_17 Depth=1
	flat_load_ubyte v14, v[14:15]
	s_waitcnt vmcnt(0) lgkmcnt(0)
	v_cmp_ne_u16_e32 vcc, 0, v14
	v_cndmask_b32_e64 v65, 0, 1.0, vcc
	s_or_b64 vcc, s[66:67], exec
.LBB14_3064:                            ;   in Loop: Header=BB14_17 Depth=1
	s_or_b64 exec, exec, s[60:61]
	s_andn2_b64 s[60:61], s[66:67], exec
	s_and_b64 vcc, vcc, exec
	s_or_b64 s[68:69], s[68:69], exec
	s_andn2_b64 s[76:77], s[76:77], exec
	s_or_b64 s[66:67], s[60:61], vcc
.LBB14_3065:                            ;   in Loop: Header=BB14_17 Depth=1
	s_or_b64 exec, exec, s[70:71]
	s_andn2_b64 s[60:61], s[74:75], exec
	s_and_b64 s[62:63], s[66:67], exec
	s_and_b64 s[68:69], s[68:69], exec
	s_and_b64 vcc, s[76:77], exec
	s_or_b64 s[74:75], s[60:61], s[62:63]
.LBB14_3066:                            ;   in Loop: Header=BB14_17 Depth=1
	s_or_b64 exec, exec, s[72:73]
	s_andn2_b64 s[60:61], s[86:87], exec
	s_and_b64 s[62:63], s[68:69], exec
	s_or_b64 s[86:87], s[60:61], s[62:63]
	v_readlane_b32 s60, v44, 34
	v_readlane_b32 s61, v44, 35
	s_andn2_b64 s[60:61], s[60:61], exec
	s_and_b64 vcc, vcc, exec
	s_or_b64 s[62:63], s[60:61], vcc
	s_andn2_b64 vcc, s[78:79], exec
	s_and_b64 s[60:61], s[74:75], exec
	s_or_b64 s[78:79], vcc, s[60:61]
.LBB14_3067:                            ;   in Loop: Header=BB14_17 Depth=1
	s_or_b64 exec, exec, s[80:81]
	s_and_b64 s[86:87], s[86:87], exec
	s_and_b64 vcc, s[62:63], exec
	s_and_b64 s[78:79], s[78:79], exec
                                        ; implicit-def: $vgpr14_vgpr15
.LBB14_3068:                            ;   in Loop: Header=BB14_17 Depth=1
	v_readlane_b32 s60, v44, 32
	v_readlane_b32 s61, v44, 33
	s_andn2_saveexec_b64 s[80:81], s[60:61]
	s_cbranch_execz .LBB14_3110
; %bb.3069:                             ;   in Loop: Header=BB14_17 Depth=1
	v_cmp_gt_i16_sdwa s[60:61], v8, v38 src0_sel:BYTE_0 src1_sel:DWORD
                                        ; implicit-def: $vgpr65
	s_and_saveexec_b64 s[62:63], s[60:61]
	s_xor_b64 s[72:73], exec, s[62:63]
	s_cbranch_execz .LBB14_3091
; %bb.3070:                             ;   in Loop: Header=BB14_17 Depth=1
	v_cmp_gt_i16_sdwa s[60:61], v8, v39 src0_sel:BYTE_0 src1_sel:DWORD
                                        ; implicit-def: $vgpr65
	s_and_saveexec_b64 s[62:63], s[60:61]
	s_xor_b64 s[66:67], exec, s[62:63]
	;; [unrolled: 6-line block ×4, first 2 shown]
	s_cbranch_execz .LBB14_3074
; %bb.3073:                             ;   in Loop: Header=BB14_17 Depth=1
	flat_load_dwordx2 v[14:15], v[14:15]
	s_waitcnt vmcnt(0) lgkmcnt(0)
	v_cvt_f32_f64_e32 v65, v[14:15]
                                        ; implicit-def: $vgpr14_vgpr15
.LBB14_3074:                            ;   in Loop: Header=BB14_17 Depth=1
	s_andn2_saveexec_b64 s[60:61], s[60:61]
	s_cbranch_execz .LBB14_3076
; %bb.3075:                             ;   in Loop: Header=BB14_17 Depth=1
	flat_load_dword v65, v[14:15]
.LBB14_3076:                            ;   in Loop: Header=BB14_17 Depth=1
	s_or_b64 exec, exec, s[60:61]
                                        ; implicit-def: $vgpr14_vgpr15
.LBB14_3077:                            ;   in Loop: Header=BB14_17 Depth=1
	s_andn2_saveexec_b64 s[60:61], s[68:69]
	s_cbranch_execz .LBB14_3079
; %bb.3078:                             ;   in Loop: Header=BB14_17 Depth=1
	flat_load_dword v14, v[14:15]
	s_waitcnt vmcnt(0) lgkmcnt(0)
	v_cvt_f32_f16_e32 v65, v14
.LBB14_3079:                            ;   in Loop: Header=BB14_17 Depth=1
	s_or_b64 exec, exec, s[60:61]
                                        ; implicit-def: $vgpr14_vgpr15
.LBB14_3080:                            ;   in Loop: Header=BB14_17 Depth=1
	s_andn2_saveexec_b64 s[66:67], s[66:67]
	s_cbranch_execz .LBB14_3090
; %bb.3081:                             ;   in Loop: Header=BB14_17 Depth=1
	v_cmp_gt_i16_sdwa s[60:61], v8, v50 src0_sel:BYTE_0 src1_sel:DWORD
                                        ; implicit-def: $vgpr65
	s_and_saveexec_b64 s[62:63], s[60:61]
	s_xor_b64 s[68:69], exec, s[62:63]
	s_cbranch_execz .LBB14_3087
; %bb.3082:                             ;   in Loop: Header=BB14_17 Depth=1
	v_cmp_gt_i16_sdwa s[60:61], v8, v51 src0_sel:BYTE_0 src1_sel:DWORD
                                        ; implicit-def: $vgpr65
	s_and_saveexec_b64 s[62:63], s[60:61]
	s_xor_b64 s[60:61], exec, s[62:63]
	s_cbranch_execz .LBB14_3084
; %bb.3083:                             ;   in Loop: Header=BB14_17 Depth=1
	flat_load_dwordx2 v[14:15], v[14:15]
	s_waitcnt vmcnt(0) lgkmcnt(0)
	v_cvt_f32_f64_e32 v65, v[14:15]
                                        ; implicit-def: $vgpr14_vgpr15
.LBB14_3084:                            ;   in Loop: Header=BB14_17 Depth=1
	s_andn2_saveexec_b64 s[60:61], s[60:61]
	s_cbranch_execz .LBB14_3086
; %bb.3085:                             ;   in Loop: Header=BB14_17 Depth=1
	s_waitcnt vmcnt(0) lgkmcnt(0)
	flat_load_dword v65, v[14:15]
.LBB14_3086:                            ;   in Loop: Header=BB14_17 Depth=1
	s_or_b64 exec, exec, s[60:61]
                                        ; implicit-def: $vgpr14_vgpr15
.LBB14_3087:                            ;   in Loop: Header=BB14_17 Depth=1
	s_andn2_saveexec_b64 s[60:61], s[68:69]
	s_cbranch_execz .LBB14_3089
; %bb.3088:                             ;   in Loop: Header=BB14_17 Depth=1
	flat_load_ushort v14, v[14:15]
	s_waitcnt vmcnt(0) lgkmcnt(0)
	v_cvt_f32_f16_e32 v65, v14
.LBB14_3089:                            ;   in Loop: Header=BB14_17 Depth=1
	s_or_b64 exec, exec, s[60:61]
.LBB14_3090:                            ;   in Loop: Header=BB14_17 Depth=1
	s_or_b64 exec, exec, s[66:67]
                                        ; implicit-def: $vgpr14_vgpr15
.LBB14_3091:                            ;   in Loop: Header=BB14_17 Depth=1
	s_andn2_saveexec_b64 s[72:73], s[72:73]
	s_cbranch_execz .LBB14_3109
; %bb.3092:                             ;   in Loop: Header=BB14_17 Depth=1
	v_cmp_gt_i16_sdwa s[60:61], v8, v52 src0_sel:BYTE_0 src1_sel:DWORD
                                        ; implicit-def: $vgpr65
	s_and_saveexec_b64 s[62:63], s[60:61]
	s_xor_b64 s[74:75], exec, s[62:63]
	s_cbranch_execz .LBB14_3102
; %bb.3093:                             ;   in Loop: Header=BB14_17 Depth=1
	v_cmp_gt_i16_sdwa s[60:61], v8, v53 src0_sel:BYTE_0 src1_sel:DWORD
                                        ; implicit-def: $vgpr65
	s_and_saveexec_b64 s[62:63], s[60:61]
	s_xor_b64 s[66:67], exec, s[62:63]
	;; [unrolled: 6-line block ×3, first 2 shown]
	s_cbranch_execz .LBB14_3096
; %bb.3095:                             ;   in Loop: Header=BB14_17 Depth=1
	flat_load_dwordx2 v[14:15], v[14:15]
	s_waitcnt vmcnt(0) lgkmcnt(0)
	v_xor_b32_e32 v66, v14, v15
	v_ffbh_i32_e32 v65, v15
	v_ashrrev_i32_e32 v66, 31, v66
	v_add_u32_e32 v65, -1, v65
	v_add_u32_e32 v66, 32, v66
	v_min_u32_e32 v65, v65, v66
	v_lshlrev_b64 v[14:15], v65, v[14:15]
	v_min_u32_e32 v14, 1, v14
	v_or_b32_e32 v14, v15, v14
	v_cvt_f32_i32_e32 v14, v14
	v_sub_u32_e32 v15, 32, v65
	v_ldexp_f32 v65, v14, v15
                                        ; implicit-def: $vgpr14_vgpr15
.LBB14_3096:                            ;   in Loop: Header=BB14_17 Depth=1
	s_andn2_saveexec_b64 s[60:61], s[68:69]
	s_cbranch_execz .LBB14_3098
; %bb.3097:                             ;   in Loop: Header=BB14_17 Depth=1
	flat_load_dword v14, v[14:15]
	s_waitcnt vmcnt(0) lgkmcnt(0)
	v_cvt_f32_i32_e32 v65, v14
.LBB14_3098:                            ;   in Loop: Header=BB14_17 Depth=1
	s_or_b64 exec, exec, s[60:61]
                                        ; implicit-def: $vgpr14_vgpr15
.LBB14_3099:                            ;   in Loop: Header=BB14_17 Depth=1
	s_andn2_saveexec_b64 s[60:61], s[66:67]
	s_cbranch_execz .LBB14_3101
; %bb.3100:                             ;   in Loop: Header=BB14_17 Depth=1
	flat_load_sshort v14, v[14:15]
	s_waitcnt vmcnt(0) lgkmcnt(0)
	v_cvt_f32_i32_e32 v65, v14
.LBB14_3101:                            ;   in Loop: Header=BB14_17 Depth=1
	s_or_b64 exec, exec, s[60:61]
                                        ; implicit-def: $vgpr14_vgpr15
.LBB14_3102:                            ;   in Loop: Header=BB14_17 Depth=1
	s_andn2_saveexec_b64 s[66:67], s[74:75]
	s_cbranch_execz .LBB14_3108
; %bb.3103:                             ;   in Loop: Header=BB14_17 Depth=1
	v_cmp_gt_i16_sdwa s[60:61], v8, v16 src0_sel:BYTE_0 src1_sel:DWORD
                                        ; implicit-def: $vgpr65
	s_and_saveexec_b64 s[62:63], s[60:61]
	s_xor_b64 s[60:61], exec, s[62:63]
	s_cbranch_execz .LBB14_3105
; %bb.3104:                             ;   in Loop: Header=BB14_17 Depth=1
	flat_load_sbyte v14, v[14:15]
	s_waitcnt vmcnt(0) lgkmcnt(0)
	v_cvt_f32_i32_e32 v65, v14
                                        ; implicit-def: $vgpr14_vgpr15
.LBB14_3105:                            ;   in Loop: Header=BB14_17 Depth=1
	s_andn2_saveexec_b64 s[60:61], s[60:61]
	s_cbranch_execz .LBB14_3107
; %bb.3106:                             ;   in Loop: Header=BB14_17 Depth=1
	flat_load_ubyte v14, v[14:15]
	s_waitcnt vmcnt(0) lgkmcnt(0)
	v_cvt_f32_ubyte0_e32 v65, v14
.LBB14_3107:                            ;   in Loop: Header=BB14_17 Depth=1
	s_or_b64 exec, exec, s[60:61]
.LBB14_3108:                            ;   in Loop: Header=BB14_17 Depth=1
	s_or_b64 exec, exec, s[66:67]
.LBB14_3109:                            ;   in Loop: Header=BB14_17 Depth=1
	s_or_b64 exec, exec, s[72:73]
	s_andn2_b64 s[86:87], s[86:87], exec
	s_andn2_b64 vcc, vcc, exec
	s_or_b64 s[78:79], s[78:79], exec
.LBB14_3110:                            ;   in Loop: Header=BB14_17 Depth=1
	s_or_b64 exec, exec, s[80:81]
	s_mov_b64 s[66:67], 0
	s_and_saveexec_b64 s[68:69], s[78:79]
	s_cbranch_execz .LBB14_3112
; %bb.3111:                             ;   in Loop: Header=BB14_17 Depth=1
	s_mov_b64 s[66:67], exec
	v_add_u32_e32 v55, 0x200, v55
	s_andn2_b64 s[86:87], s[86:87], exec
	s_andn2_b64 vcc, vcc, exec
	s_waitcnt vmcnt(0) lgkmcnt(0)
	buffer_store_dword v65, v64, s[0:3], 0 offen offset:104
.LBB14_3112:                            ;   in Loop: Header=BB14_17 Depth=1
	s_or_b64 exec, exec, s[68:69]
	s_andn2_b64 s[60:61], s[92:93], exec
	s_and_b64 s[62:63], s[86:87], exec
	s_or_b64 s[92:93], s[60:61], s[62:63]
	s_andn2_b64 s[60:61], s[94:95], exec
	s_and_b64 vcc, vcc, exec
	s_or_b64 s[94:95], s[60:61], vcc
	s_and_b64 s[66:67], s[66:67], exec
.LBB14_3113:                            ;   in Loop: Header=BB14_17 Depth=1
	s_or_b64 exec, exec, s[84:85]
	s_and_b64 vcc, s[92:93], exec
	v_writelane_b32 v44, vcc_lo, 28
	v_writelane_b32 v44, vcc_hi, 29
	s_and_b64 vcc, s[94:95], exec
	v_writelane_b32 v44, vcc_lo, 30
	v_writelane_b32 v44, vcc_hi, 31
	s_orn2_b64 s[66:67], s[66:67], exec
.LBB14_3114:                            ;   in Loop: Header=BB14_17 Depth=1
	s_or_b64 exec, exec, s[90:91]
	s_and_saveexec_b64 s[94:95], s[66:67]
	s_cbranch_execz .LBB14_3
; %bb.3115:                             ;   in Loop: Header=BB14_17 Depth=1
	s_mov_b64 s[60:61], -1
	v_cmp_lt_i32_e32 vcc, v55, v6
	v_writelane_b32 v44, s60, 36
	s_mov_b64 s[66:67], -1
	v_writelane_b32 v44, s61, 37
                                        ; implicit-def: $sgpr62_sgpr63
                                        ; implicit-def: $sgpr60_sgpr61
                                        ; kill: killed $sgpr60_sgpr61
	s_and_saveexec_b64 s[96:97], vcc
	s_cbranch_execz .LBB14_3341
; %bb.3116:                             ;   in Loop: Header=BB14_17 Depth=1
	v_readlane_b32 vcc_lo, v44, 1
	s_waitcnt vmcnt(0) lgkmcnt(0)
	v_add_u32_e32 v65, vcc_lo, v55
	v_mul_lo_u32 v14, v65, v9
	v_add_co_u32_e32 v14, vcc, v2, v14
	v_addc_co_u32_e32 v15, vcc, 0, v3, vcc
	v_cmp_gt_i16_sdwa s[60:61], v7, v18 src0_sel:BYTE_0 src1_sel:DWORD
	s_mov_b64 vcc, 0
                                        ; implicit-def: $sgpr92_sgpr93
                                        ; implicit-def: $sgpr90_sgpr91
                                        ; implicit-def: $vgpr66
	s_and_saveexec_b64 s[62:63], s[60:61]
	s_xor_b64 s[84:85], exec, s[62:63]
	s_cbranch_execnz .LBB14_3135
; %bb.3117:                             ;   in Loop: Header=BB14_17 Depth=1
	s_andn2_saveexec_b64 s[78:79], s[84:85]
	s_cbranch_execnz .LBB14_3194
.LBB14_3118:                            ;   in Loop: Header=BB14_17 Depth=1
	s_or_b64 exec, exec, s[78:79]
	s_mov_b64 s[66:67], 0
	s_and_saveexec_b64 s[84:85], vcc
	s_cbranch_execnz .LBB14_3235
	s_branch .LBB14_3340
.LBB14_3119:                            ;   in Loop: Header=BB14_17 Depth=1
	s_movk_i32 vcc_lo, 0x80
	v_cmp_eq_u16_e32 vcc, vcc_lo, v14
	s_mov_b64 s[86:87], -1
                                        ; implicit-def: $sgpr92
	s_and_saveexec_b64 s[90:91], vcc
; %bb.3120:                             ;   in Loop: Header=BB14_17 Depth=1
	s_mov_b32 s92, 0x7f800001
	s_xor_b64 s[86:87], exec, -1
; %bb.3121:                             ;   in Loop: Header=BB14_17 Depth=1
	s_or_b64 exec, exec, s[90:91]
	s_and_b64 s[86:87], s[86:87], exec
	s_or_saveexec_b64 s[88:89], s[88:89]
	v_mov_b32_e32 v64, s92
	s_xor_b64 exec, exec, s[88:89]
	s_cbranch_execz .LBB14_1938
.LBB14_3122:                            ;   in Loop: Header=BB14_17 Depth=1
	v_cmp_ne_u16_e32 vcc, 0, v14
	s_andn2_b64 s[86:87], s[86:87], exec
	s_and_b64 vcc, vcc, exec
	v_mov_b32_e32 v64, 0
	s_or_b64 s[86:87], s[86:87], vcc
	s_or_b64 exec, exec, s[88:89]
	s_and_saveexec_b64 s[88:89], s[86:87]
	s_cbranch_execnz .LBB14_1939
	s_branch .LBB14_1940
.LBB14_3123:                            ;   in Loop: Header=BB14_17 Depth=1
	s_movk_i32 vcc_lo, 0x80
	v_cmp_eq_u16_e32 vcc, vcc_lo, v14
	s_mov_b64 s[86:87], -1
                                        ; implicit-def: $sgpr90
	s_and_saveexec_b64 s[60:61], vcc
; %bb.3124:                             ;   in Loop: Header=BB14_17 Depth=1
	s_mov_b32 s90, 0x7f800001
	s_xor_b64 s[86:87], exec, -1
; %bb.3125:                             ;   in Loop: Header=BB14_17 Depth=1
	s_or_b64 exec, exec, s[60:61]
	s_and_b64 s[86:87], s[86:87], exec
	s_or_saveexec_b64 s[88:89], s[88:89]
	v_mov_b32_e32 v66, s90
	s_xor_b64 exec, exec, s[88:89]
	s_cbranch_execz .LBB14_2038
.LBB14_3126:                            ;   in Loop: Header=BB14_17 Depth=1
	v_cmp_ne_u16_e32 vcc, 0, v14
	s_andn2_b64 s[60:61], s[86:87], exec
	s_and_b64 vcc, vcc, exec
	v_mov_b32_e32 v66, 0
	s_or_b64 s[86:87], s[60:61], vcc
	s_or_b64 exec, exec, s[88:89]
	s_and_saveexec_b64 s[88:89], s[86:87]
	s_cbranch_execnz .LBB14_2039
	s_branch .LBB14_2040
.LBB14_3127:                            ;   in Loop: Header=BB14_17 Depth=1
	s_movk_i32 vcc_lo, 0x80
	v_cmp_eq_u16_e32 vcc, vcc_lo, v14
	s_mov_b64 s[90:91], -1
                                        ; implicit-def: $sgpr94
	s_and_saveexec_b64 s[60:61], vcc
; %bb.3128:                             ;   in Loop: Header=BB14_17 Depth=1
	s_mov_b32 s94, 0x7f800001
	s_xor_b64 s[90:91], exec, -1
; %bb.3129:                             ;   in Loop: Header=BB14_17 Depth=1
	s_or_b64 exec, exec, s[60:61]
	s_and_b64 s[90:91], s[90:91], exec
	s_or_saveexec_b64 s[92:93], s[92:93]
	v_mov_b32_e32 v64, s94
	s_xor_b64 exec, exec, s[92:93]
	s_cbranch_execz .LBB14_2154
.LBB14_3130:                            ;   in Loop: Header=BB14_17 Depth=1
	v_cmp_ne_u16_e32 vcc, 0, v14
	s_andn2_b64 s[60:61], s[90:91], exec
	s_and_b64 vcc, vcc, exec
	v_mov_b32_e32 v64, 0
	s_or_b64 s[90:91], s[60:61], vcc
	s_or_b64 exec, exec, s[92:93]
	s_and_saveexec_b64 s[92:93], s[90:91]
	s_cbranch_execnz .LBB14_2155
	s_branch .LBB14_2156
.LBB14_3131:                            ;   in Loop: Header=BB14_17 Depth=1
	s_movk_i32 vcc_lo, 0x80
	v_cmp_eq_u16_e32 vcc, vcc_lo, v14
	s_mov_b64 s[66:67], -1
                                        ; implicit-def: $sgpr70
	s_and_saveexec_b64 s[60:61], vcc
; %bb.3132:                             ;   in Loop: Header=BB14_17 Depth=1
	s_mov_b32 s70, 0x7f800001
	s_xor_b64 s[66:67], exec, -1
; %bb.3133:                             ;   in Loop: Header=BB14_17 Depth=1
	s_or_b64 exec, exec, s[60:61]
	s_and_b64 s[66:67], s[66:67], exec
	s_or_saveexec_b64 s[68:69], s[68:69]
	v_mov_b32_e32 v66, s70
	s_xor_b64 exec, exec, s[68:69]
	s_cbranch_execz .LBB14_2254
.LBB14_3134:                            ;   in Loop: Header=BB14_17 Depth=1
	v_cmp_ne_u16_e32 vcc, 0, v14
	s_andn2_b64 s[60:61], s[66:67], exec
	s_and_b64 vcc, vcc, exec
	v_mov_b32_e32 v66, 0
	s_or_b64 s[66:67], s[60:61], vcc
	s_or_b64 exec, exec, s[68:69]
	s_and_saveexec_b64 s[68:69], s[66:67]
	s_cbranch_execnz .LBB14_2255
	s_branch .LBB14_2256
.LBB14_3135:                            ;   in Loop: Header=BB14_17 Depth=1
	v_cmp_gt_i16_sdwa vcc, v7, v19 src0_sel:BYTE_0 src1_sel:DWORD
	s_mov_b64 s[78:79], 0
                                        ; implicit-def: $sgpr80_sgpr81
                                        ; implicit-def: $sgpr86_sgpr87
                                        ; implicit-def: $vgpr66
	s_and_saveexec_b64 s[60:61], vcc
	s_xor_b64 s[90:91], exec, s[60:61]
	s_cbranch_execz .LBB14_3167
; %bb.3136:                             ;   in Loop: Header=BB14_17 Depth=1
	v_cmp_gt_i16_sdwa vcc, v7, v20 src0_sel:BYTE_0 src1_sel:DWORD
                                        ; implicit-def: $sgpr72_sgpr73
                                        ; implicit-def: $sgpr86_sgpr87
                                        ; implicit-def: $vgpr66
	s_and_saveexec_b64 s[60:61], vcc
	s_xor_b64 s[80:81], exec, s[60:61]
	s_cbranch_execz .LBB14_3152
; %bb.3137:                             ;   in Loop: Header=BB14_17 Depth=1
	v_cmp_gt_i16_sdwa s[60:61], v7, v21 src0_sel:BYTE_0 src1_sel:DWORD
	s_mov_b64 s[74:75], 0
                                        ; implicit-def: $vcc
                                        ; implicit-def: $sgpr86_sgpr87
                                        ; implicit-def: $vgpr66
	s_and_saveexec_b64 s[62:63], s[60:61]
	s_xor_b64 s[72:73], exec, s[62:63]
	s_cbranch_execz .LBB14_3147
; %bb.3138:                             ;   in Loop: Header=BB14_17 Depth=1
	v_cmp_gt_i16_sdwa vcc, v7, v22 src0_sel:BYTE_0 src1_sel:DWORD
                                        ; implicit-def: $sgpr74_sgpr75
                                        ; implicit-def: $sgpr92_sgpr93
                                        ; implicit-def: $vgpr66
	s_and_saveexec_b64 s[60:61], vcc
	s_xor_b64 vcc, exec, s[60:61]
	s_cbranch_execz .LBB14_3142
; %bb.3139:                             ;   in Loop: Header=BB14_17 Depth=1
	v_cmp_eq_u16_sdwa s[62:63], v7, v23 src0_sel:BYTE_0 src1_sel:DWORD
	s_mov_b64 s[74:75], 0
	s_mov_b64 s[66:67], 0
                                        ; implicit-def: $vgpr66
	s_and_saveexec_b64 s[60:61], s[62:63]
	s_cbranch_execz .LBB14_3141
; %bb.3140:                             ;   in Loop: Header=BB14_17 Depth=1
	flat_load_dword v14, v[14:15]
	s_mov_b64 s[66:67], exec
	s_waitcnt vmcnt(0) lgkmcnt(0)
	v_lshlrev_b32_e32 v66, 16, v14
.LBB14_3141:                            ;   in Loop: Header=BB14_17 Depth=1
	s_or_b64 exec, exec, s[60:61]
	s_mov_b64 s[92:93], -1
	s_and_b64 s[78:79], s[66:67], exec
                                        ; implicit-def: $vgpr14_vgpr15
.LBB14_3142:                            ;   in Loop: Header=BB14_17 Depth=1
	s_andn2_saveexec_b64 s[66:67], vcc
	s_cbranch_execz .LBB14_3146
; %bb.3143:                             ;   in Loop: Header=BB14_17 Depth=1
	v_cmp_eq_u16_sdwa s[60:61], v7, v24 src0_sel:BYTE_0 src1_sel:DWORD
	s_mov_b64 vcc, s[78:79]
                                        ; implicit-def: $vgpr66
	s_and_saveexec_b64 s[68:69], s[60:61]
	s_cbranch_execz .LBB14_3145
; %bb.3144:                             ;   in Loop: Header=BB14_17 Depth=1
	flat_load_ubyte v14, v[14:15]
	s_movk_i32 vcc_lo, 0xff
	s_waitcnt vmcnt(0) lgkmcnt(0)
	v_lshlrev_b32_e32 v15, 23, v14
	v_cmp_ne_u32_e32 vcc, vcc_lo, v14
	v_cndmask_b32_e32 v15, v25, v15, vcc
	v_cmp_ne_u32_e32 vcc, 0, v14
	v_cndmask_b32_e32 v66, v26, v15, vcc
	s_or_b64 vcc, s[78:79], exec
.LBB14_3145:                            ;   in Loop: Header=BB14_17 Depth=1
	s_or_b64 exec, exec, s[68:69]
	s_andn2_b64 s[60:61], s[78:79], exec
	s_and_b64 vcc, vcc, exec
	s_andn2_b64 s[74:75], s[74:75], exec
	s_or_b64 s[92:93], s[92:93], exec
	s_or_b64 s[78:79], s[60:61], vcc
.LBB14_3146:                            ;   in Loop: Header=BB14_17 Depth=1
	s_or_b64 exec, exec, s[66:67]
	s_and_b64 s[86:87], s[74:75], exec
	s_and_b64 vcc, s[92:93], exec
	s_and_b64 s[74:75], s[78:79], exec
                                        ; implicit-def: $vgpr14_vgpr15
.LBB14_3147:                            ;   in Loop: Header=BB14_17 Depth=1
	s_andn2_saveexec_b64 s[66:67], s[72:73]
	s_cbranch_execz .LBB14_3151
; %bb.3148:                             ;   in Loop: Header=BB14_17 Depth=1
	v_cmp_eq_u16_sdwa s[60:61], v7, v27 src0_sel:BYTE_0 src1_sel:DWORD
	s_mov_b64 s[70:71], s[74:75]
                                        ; implicit-def: $vgpr66
	s_and_saveexec_b64 s[68:69], s[60:61]
	s_cbranch_execz .LBB14_3150
; %bb.3149:                             ;   in Loop: Header=BB14_17 Depth=1
	flat_load_dwordx2 v[14:15], v[14:15]
	s_or_b64 s[70:71], s[74:75], exec
	s_waitcnt vmcnt(0) lgkmcnt(0)
	v_ffbh_u32_e32 v64, v15
	v_min_u32_e32 v64, 32, v64
	v_lshlrev_b64 v[14:15], v64, v[14:15]
	v_min_u32_e32 v14, 1, v14
	v_or_b32_e32 v14, v15, v14
	v_cvt_f32_u32_e32 v14, v14
	v_sub_u32_e32 v15, 32, v64
	v_ldexp_f32 v66, v14, v15
.LBB14_3150:                            ;   in Loop: Header=BB14_17 Depth=1
	s_or_b64 exec, exec, s[68:69]
	s_andn2_b64 s[60:61], s[74:75], exec
	s_and_b64 s[62:63], s[70:71], exec
	s_andn2_b64 s[86:87], s[86:87], exec
	s_or_b64 vcc, vcc, exec
	s_or_b64 s[74:75], s[60:61], s[62:63]
.LBB14_3151:                            ;   in Loop: Header=BB14_17 Depth=1
	s_or_b64 exec, exec, s[66:67]
	s_and_b64 s[86:87], s[86:87], exec
	s_and_b64 s[72:73], vcc, exec
	s_and_b64 s[78:79], s[74:75], exec
                                        ; implicit-def: $vgpr14_vgpr15
.LBB14_3152:                            ;   in Loop: Header=BB14_17 Depth=1
	s_andn2_saveexec_b64 s[80:81], s[80:81]
	s_cbranch_execz .LBB14_3166
; %bb.3153:                             ;   in Loop: Header=BB14_17 Depth=1
	v_cmp_gt_i16_sdwa vcc, v7, v28 src0_sel:BYTE_0 src1_sel:DWORD
                                        ; implicit-def: $vgpr66
	s_and_saveexec_b64 s[60:61], vcc
	s_xor_b64 vcc, exec, s[60:61]
	s_cbranch_execz .LBB14_3159
; %bb.3154:                             ;   in Loop: Header=BB14_17 Depth=1
	v_cmp_gt_i16_sdwa s[60:61], v7, v29 src0_sel:BYTE_0 src1_sel:DWORD
                                        ; implicit-def: $vgpr66
	s_and_saveexec_b64 s[62:63], s[60:61]
	s_xor_b64 s[60:61], exec, s[62:63]
	s_cbranch_execz .LBB14_3156
; %bb.3155:                             ;   in Loop: Header=BB14_17 Depth=1
	flat_load_dword v14, v[14:15]
	s_waitcnt vmcnt(0) lgkmcnt(0)
	v_cvt_f32_u32_e32 v66, v14
                                        ; implicit-def: $vgpr14_vgpr15
.LBB14_3156:                            ;   in Loop: Header=BB14_17 Depth=1
	s_andn2_saveexec_b64 s[60:61], s[60:61]
	s_cbranch_execz .LBB14_3158
; %bb.3157:                             ;   in Loop: Header=BB14_17 Depth=1
	flat_load_ushort v14, v[14:15]
	s_waitcnt vmcnt(0) lgkmcnt(0)
	v_cvt_f32_u32_e32 v66, v14
.LBB14_3158:                            ;   in Loop: Header=BB14_17 Depth=1
	s_or_b64 exec, exec, s[60:61]
                                        ; implicit-def: $vgpr14_vgpr15
.LBB14_3159:                            ;   in Loop: Header=BB14_17 Depth=1
	s_andn2_saveexec_b64 s[74:75], vcc
	s_cbranch_execz .LBB14_3165
; %bb.3160:                             ;   in Loop: Header=BB14_17 Depth=1
	flat_load_ubyte v14, v[14:15]
	s_movk_i32 vcc_lo, 0x7f
	s_mov_b64 s[66:67], 0
                                        ; implicit-def: $sgpr70
	s_waitcnt vmcnt(0) lgkmcnt(0)
	v_cmp_lt_i16_e32 vcc, vcc_lo, v14
	s_and_saveexec_b64 s[60:61], vcc
	s_xor_b64 s[68:69], exec, s[60:61]
	s_cbranch_execnz .LBB14_3614
; %bb.3161:                             ;   in Loop: Header=BB14_17 Depth=1
	s_or_saveexec_b64 s[68:69], s[68:69]
	v_mov_b32_e32 v66, s70
	s_xor_b64 exec, exec, s[68:69]
	s_cbranch_execnz .LBB14_3617
.LBB14_3162:                            ;   in Loop: Header=BB14_17 Depth=1
	s_or_b64 exec, exec, s[68:69]
	s_and_saveexec_b64 s[68:69], s[66:67]
	s_cbranch_execz .LBB14_3164
.LBB14_3163:                            ;   in Loop: Header=BB14_17 Depth=1
	v_lshlrev_b32_e32 v15, 24, v14
	v_and_b32_e32 v14, 0xffff, v14
	v_and_b32_e32 v64, 7, v14
	v_ffbh_u32_e32 v67, v64
	v_min_u32_e32 v67, 32, v67
	v_subrev_u32_e32 v68, 28, v67
	v_bfe_u32 v66, v14, 3, 4
	v_lshlrev_b32_e32 v14, v68, v14
	v_sub_u32_e32 v67, 29, v67
	v_and_b32_e32 v14, 7, v14
	v_cmp_eq_u32_e32 vcc, 0, v66
	v_cndmask_b32_e32 v66, v66, v67, vcc
	v_cndmask_b32_e32 v14, v64, v14, vcc
	v_lshlrev_b32_e32 v14, 20, v14
	v_and_b32_e32 v15, 0x80000000, v15
	v_lshl_add_u32 v64, v66, 23, v30
	v_or3_b32 v66, v15, v64, v14
.LBB14_3164:                            ;   in Loop: Header=BB14_17 Depth=1
	s_or_b64 exec, exec, s[68:69]
.LBB14_3165:                            ;   in Loop: Header=BB14_17 Depth=1
	s_or_b64 exec, exec, s[74:75]
	s_andn2_b64 s[86:87], s[86:87], exec
	s_andn2_b64 s[72:73], s[72:73], exec
	s_or_b64 s[78:79], s[78:79], exec
.LBB14_3166:                            ;   in Loop: Header=BB14_17 Depth=1
	s_or_b64 exec, exec, s[80:81]
	s_and_b64 s[86:87], s[86:87], exec
	s_and_b64 s[80:81], s[72:73], exec
	;; [unrolled: 1-line block ×3, first 2 shown]
                                        ; implicit-def: $vgpr14_vgpr15
.LBB14_3167:                            ;   in Loop: Header=BB14_17 Depth=1
	s_andn2_saveexec_b64 s[90:91], s[90:91]
	s_cbranch_execz .LBB14_3193
; %bb.3168:                             ;   in Loop: Header=BB14_17 Depth=1
	v_cmp_gt_i16_sdwa vcc, v7, v31 src0_sel:BYTE_0 src1_sel:DWORD
	s_mov_b64 s[74:75], s[78:79]
                                        ; implicit-def: $vgpr66
	s_and_saveexec_b64 s[60:61], vcc
	s_xor_b64 s[72:73], exec, s[60:61]
	s_cbranch_execz .LBB14_3182
; %bb.3169:                             ;   in Loop: Header=BB14_17 Depth=1
	v_cmp_gt_i16_sdwa vcc, v7, v32 src0_sel:BYTE_0 src1_sel:DWORD
                                        ; implicit-def: $vgpr66
	s_and_saveexec_b64 s[60:61], vcc
	s_xor_b64 s[92:93], exec, s[60:61]
	s_cbranch_execz .LBB14_3179
; %bb.3170:                             ;   in Loop: Header=BB14_17 Depth=1
	v_cmp_gt_i16_sdwa vcc, v7, v33 src0_sel:BYTE_0 src1_sel:DWORD
                                        ; implicit-def: $vgpr66
	s_and_saveexec_b64 s[60:61], vcc
	s_xor_b64 s[74:75], exec, s[60:61]
	s_cbranch_execz .LBB14_3176
; %bb.3171:                             ;   in Loop: Header=BB14_17 Depth=1
	flat_load_ubyte v14, v[14:15]
	s_movk_i32 vcc_lo, 0x7f
	s_mov_b64 s[66:67], 0
                                        ; implicit-def: $sgpr70
	s_waitcnt vmcnt(0) lgkmcnt(0)
	v_cmp_lt_i16_e32 vcc, vcc_lo, v14
	s_and_saveexec_b64 s[60:61], vcc
	s_xor_b64 s[68:69], exec, s[60:61]
	s_cbranch_execnz .LBB14_3622
; %bb.3172:                             ;   in Loop: Header=BB14_17 Depth=1
	s_or_saveexec_b64 s[68:69], s[68:69]
	v_mov_b32_e32 v66, s70
	s_xor_b64 exec, exec, s[68:69]
	s_cbranch_execnz .LBB14_3625
.LBB14_3173:                            ;   in Loop: Header=BB14_17 Depth=1
	s_or_b64 exec, exec, s[68:69]
	s_and_saveexec_b64 s[68:69], s[66:67]
	s_cbranch_execz .LBB14_3175
.LBB14_3174:                            ;   in Loop: Header=BB14_17 Depth=1
	v_lshlrev_b32_e32 v15, 24, v14
	v_and_b32_e32 v14, 0xffff, v14
	v_and_b32_e32 v64, 3, v14
	v_ffbh_u32_e32 v67, v64
	v_min_u32_e32 v67, 32, v67
	v_subrev_u32_e32 v68, 29, v67
	v_bfe_u32 v66, v14, 2, 5
	v_lshlrev_b32_e32 v14, v68, v14
	v_sub_u32_e32 v67, 30, v67
	v_and_b32_e32 v14, 3, v14
	v_cmp_eq_u32_e32 vcc, 0, v66
	v_cndmask_b32_e32 v66, v66, v67, vcc
	v_cndmask_b32_e32 v14, v64, v14, vcc
	v_lshlrev_b32_e32 v14, 21, v14
	v_and_b32_e32 v15, 0x80000000, v15
	v_lshl_add_u32 v64, v66, 23, v34
	v_or3_b32 v66, v15, v64, v14
.LBB14_3175:                            ;   in Loop: Header=BB14_17 Depth=1
	s_or_b64 exec, exec, s[68:69]
                                        ; implicit-def: $vgpr14_vgpr15
.LBB14_3176:                            ;   in Loop: Header=BB14_17 Depth=1
	s_andn2_saveexec_b64 s[66:67], s[74:75]
	s_cbranch_execz .LBB14_3178
; %bb.3177:                             ;   in Loop: Header=BB14_17 Depth=1
	flat_load_ubyte v14, v[14:15]
	s_mov_b32 vcc_lo, 0x7f800000
	s_waitcnt vmcnt(0) lgkmcnt(0)
	v_lshlrev_b32_e32 v14, 24, v14
	v_and_b32_e32 v15, 0x7f000000, v14
	v_ffbh_u32_e32 v64, v15
	v_min_u32_e32 v64, 32, v64
	v_sub_u32_e64 v64, v64, 4 clamp
	v_lshlrev_b32_e32 v67, v64, v15
	v_lshlrev_b32_e32 v64, 23, v64
	v_lshrrev_b32_e32 v67, 4, v67
	v_add_u32_e32 v66, 0x1000000, v15
	v_sub_u32_e32 v64, v67, v64
	v_ashrrev_i32_e32 v66, 8, v66
	v_add_u32_e32 v64, 0x3c000000, v64
	v_and_or_b32 v64, v66, vcc_lo, v64
	v_cmp_ne_u32_e32 vcc, 0, v15
	v_cndmask_b32_e32 v15, 0, v64, vcc
	s_brev_b32 vcc_lo, 1
	v_and_or_b32 v66, v14, vcc_lo, v15
.LBB14_3178:                            ;   in Loop: Header=BB14_17 Depth=1
	s_or_b64 exec, exec, s[66:67]
                                        ; implicit-def: $vgpr14_vgpr15
.LBB14_3179:                            ;   in Loop: Header=BB14_17 Depth=1
	s_andn2_saveexec_b64 s[66:67], s[92:93]
	s_cbranch_execz .LBB14_3181
; %bb.3180:                             ;   in Loop: Header=BB14_17 Depth=1
	flat_load_ubyte v14, v[14:15]
	s_movk_i32 vcc_lo, 0x7f00
	s_waitcnt vmcnt(0) lgkmcnt(0)
	v_lshlrev_b16_e32 v15, 8, v14
	v_lshlrev_b32_e32 v14, 25, v14
	v_lshrrev_b32_e32 v64, 4, v14
	v_and_or_b32 v66, v15, vcc_lo, 0.5
	v_or_b32_e32 v64, 0x70000000, v64
	s_brev_b32 vcc_lo, 16
	v_add_f32_e32 v66, -0.5, v66
	v_mul_f32_e32 v64, 0x7800000, v64
	v_cmp_gt_u32_e32 vcc, vcc_lo, v14
	v_cndmask_b32_e32 v14, v64, v66, vcc
	v_bfe_i32 v15, v15, 0, 16
	s_brev_b32 vcc_lo, 1
	v_and_or_b32 v66, v15, vcc_lo, v14
.LBB14_3181:                            ;   in Loop: Header=BB14_17 Depth=1
	s_or_b64 exec, exec, s[66:67]
	s_or_b64 s[74:75], s[78:79], exec
                                        ; implicit-def: $vgpr14_vgpr15
.LBB14_3182:                            ;   in Loop: Header=BB14_17 Depth=1
	s_or_saveexec_b64 s[72:73], s[72:73]
                                        ; implicit-def: $vcc
                                        ; implicit-def: $sgpr68_sgpr69
	s_xor_b64 exec, exec, s[72:73]
	s_cbranch_execz .LBB14_3192
; %bb.3183:                             ;   in Loop: Header=BB14_17 Depth=1
	v_cmp_gt_i16_sdwa vcc, v7, v35 src0_sel:BYTE_0 src1_sel:DWORD
	s_mov_b64 s[66:67], s[74:75]
                                        ; implicit-def: $sgpr68_sgpr69
                                        ; implicit-def: $sgpr76_sgpr77
                                        ; implicit-def: $vgpr66
	s_and_saveexec_b64 s[60:61], vcc
	s_xor_b64 vcc, exec, s[60:61]
	s_cbranch_execz .LBB14_3187
; %bb.3184:                             ;   in Loop: Header=BB14_17 Depth=1
	v_cmp_eq_u16_sdwa s[62:63], v7, v36 src0_sel:BYTE_0 src1_sel:DWORD
	s_mov_b64 s[66:67], s[74:75]
                                        ; implicit-def: $vgpr66
	s_and_saveexec_b64 s[60:61], s[62:63]
	s_cbranch_execz .LBB14_3186
; %bb.3185:                             ;   in Loop: Header=BB14_17 Depth=1
	flat_load_ushort v14, v[14:15]
	s_or_b64 s[66:67], s[74:75], exec
	s_waitcnt vmcnt(0) lgkmcnt(0)
	v_lshlrev_b32_e32 v66, 16, v14
.LBB14_3186:                            ;   in Loop: Header=BB14_17 Depth=1
	s_or_b64 exec, exec, s[60:61]
	s_andn2_b64 s[60:61], s[74:75], exec
	s_and_b64 s[62:63], s[66:67], exec
	s_mov_b64 s[76:77], -1
	s_mov_b64 s[68:69], 0
	s_or_b64 s[66:67], s[60:61], s[62:63]
                                        ; implicit-def: $vgpr14_vgpr15
.LBB14_3187:                            ;   in Loop: Header=BB14_17 Depth=1
	s_andn2_saveexec_b64 s[70:71], vcc
	s_cbranch_execz .LBB14_3191
; %bb.3188:                             ;   in Loop: Header=BB14_17 Depth=1
	v_cmp_eq_u16_sdwa s[62:63], v7, v37 src0_sel:BYTE_0 src1_sel:DWORD
	s_mov_b64 vcc, s[66:67]
                                        ; implicit-def: $vgpr66
	s_and_saveexec_b64 s[60:61], s[62:63]
	s_cbranch_execz .LBB14_3190
; %bb.3189:                             ;   in Loop: Header=BB14_17 Depth=1
	flat_load_ubyte v14, v[14:15]
	s_waitcnt vmcnt(0) lgkmcnt(0)
	v_cmp_ne_u16_e32 vcc, 0, v14
	v_cndmask_b32_e64 v66, 0, 1.0, vcc
	s_or_b64 vcc, s[66:67], exec
.LBB14_3190:                            ;   in Loop: Header=BB14_17 Depth=1
	s_or_b64 exec, exec, s[60:61]
	s_andn2_b64 s[60:61], s[66:67], exec
	s_and_b64 vcc, vcc, exec
	s_andn2_b64 s[68:69], s[68:69], exec
	s_or_b64 s[76:77], s[76:77], exec
	s_or_b64 s[66:67], s[60:61], vcc
.LBB14_3191:                            ;   in Loop: Header=BB14_17 Depth=1
	s_or_b64 exec, exec, s[70:71]
	s_andn2_b64 s[60:61], s[74:75], exec
	s_and_b64 s[62:63], s[66:67], exec
	s_and_b64 s[68:69], s[68:69], exec
	s_and_b64 vcc, s[76:77], exec
	s_or_b64 s[74:75], s[60:61], s[62:63]
.LBB14_3192:                            ;   in Loop: Header=BB14_17 Depth=1
	s_or_b64 exec, exec, s[72:73]
	s_andn2_b64 s[60:61], s[86:87], exec
	s_and_b64 s[62:63], s[68:69], exec
	s_or_b64 s[86:87], s[60:61], s[62:63]
	s_andn2_b64 s[60:61], s[80:81], exec
	s_and_b64 vcc, vcc, exec
	s_or_b64 s[80:81], s[60:61], vcc
	s_andn2_b64 vcc, s[78:79], exec
	s_and_b64 s[60:61], s[74:75], exec
	s_or_b64 s[78:79], vcc, s[60:61]
.LBB14_3193:                            ;   in Loop: Header=BB14_17 Depth=1
	s_or_b64 exec, exec, s[90:91]
	s_and_b64 s[90:91], s[86:87], exec
	s_and_b64 s[92:93], s[80:81], exec
	s_and_b64 vcc, s[78:79], exec
                                        ; implicit-def: $vgpr14_vgpr15
	s_andn2_saveexec_b64 s[78:79], s[84:85]
	s_cbranch_execz .LBB14_3118
.LBB14_3194:                            ;   in Loop: Header=BB14_17 Depth=1
	v_cmp_gt_i16_sdwa s[60:61], v7, v38 src0_sel:BYTE_0 src1_sel:DWORD
                                        ; implicit-def: $vgpr66
	s_and_saveexec_b64 s[62:63], s[60:61]
	s_xor_b64 s[72:73], exec, s[62:63]
	s_cbranch_execz .LBB14_3216
; %bb.3195:                             ;   in Loop: Header=BB14_17 Depth=1
	v_cmp_gt_i16_sdwa s[60:61], v7, v39 src0_sel:BYTE_0 src1_sel:DWORD
                                        ; implicit-def: $vgpr66
	s_and_saveexec_b64 s[62:63], s[60:61]
	s_xor_b64 s[66:67], exec, s[62:63]
	s_cbranch_execz .LBB14_3205
; %bb.3196:                             ;   in Loop: Header=BB14_17 Depth=1
	;; [unrolled: 6-line block ×4, first 2 shown]
	flat_load_dwordx2 v[14:15], v[14:15]
	s_waitcnt vmcnt(0) lgkmcnt(0)
	v_cvt_f32_f64_e32 v66, v[14:15]
                                        ; implicit-def: $vgpr14_vgpr15
.LBB14_3199:                            ;   in Loop: Header=BB14_17 Depth=1
	s_andn2_saveexec_b64 s[60:61], s[60:61]
	s_cbranch_execz .LBB14_3201
; %bb.3200:                             ;   in Loop: Header=BB14_17 Depth=1
	flat_load_dword v66, v[14:15]
.LBB14_3201:                            ;   in Loop: Header=BB14_17 Depth=1
	s_or_b64 exec, exec, s[60:61]
                                        ; implicit-def: $vgpr14_vgpr15
.LBB14_3202:                            ;   in Loop: Header=BB14_17 Depth=1
	s_andn2_saveexec_b64 s[60:61], s[68:69]
	s_cbranch_execz .LBB14_3204
; %bb.3203:                             ;   in Loop: Header=BB14_17 Depth=1
	flat_load_dword v14, v[14:15]
	s_waitcnt vmcnt(0) lgkmcnt(0)
	v_cvt_f32_f16_e32 v66, v14
.LBB14_3204:                            ;   in Loop: Header=BB14_17 Depth=1
	s_or_b64 exec, exec, s[60:61]
                                        ; implicit-def: $vgpr14_vgpr15
.LBB14_3205:                            ;   in Loop: Header=BB14_17 Depth=1
	s_andn2_saveexec_b64 s[66:67], s[66:67]
	s_cbranch_execz .LBB14_3215
; %bb.3206:                             ;   in Loop: Header=BB14_17 Depth=1
	v_cmp_gt_i16_sdwa s[60:61], v7, v50 src0_sel:BYTE_0 src1_sel:DWORD
                                        ; implicit-def: $vgpr66
	s_and_saveexec_b64 s[62:63], s[60:61]
	s_xor_b64 s[68:69], exec, s[62:63]
	s_cbranch_execz .LBB14_3212
; %bb.3207:                             ;   in Loop: Header=BB14_17 Depth=1
	v_cmp_gt_i16_sdwa s[60:61], v7, v51 src0_sel:BYTE_0 src1_sel:DWORD
                                        ; implicit-def: $vgpr66
	s_and_saveexec_b64 s[62:63], s[60:61]
	s_xor_b64 s[60:61], exec, s[62:63]
	s_cbranch_execz .LBB14_3209
; %bb.3208:                             ;   in Loop: Header=BB14_17 Depth=1
	flat_load_dwordx2 v[14:15], v[14:15]
	s_waitcnt vmcnt(0) lgkmcnt(0)
	v_cvt_f32_f64_e32 v66, v[14:15]
                                        ; implicit-def: $vgpr14_vgpr15
.LBB14_3209:                            ;   in Loop: Header=BB14_17 Depth=1
	s_andn2_saveexec_b64 s[60:61], s[60:61]
	s_cbranch_execz .LBB14_3211
; %bb.3210:                             ;   in Loop: Header=BB14_17 Depth=1
	s_waitcnt vmcnt(0) lgkmcnt(0)
	flat_load_dword v66, v[14:15]
.LBB14_3211:                            ;   in Loop: Header=BB14_17 Depth=1
	s_or_b64 exec, exec, s[60:61]
                                        ; implicit-def: $vgpr14_vgpr15
.LBB14_3212:                            ;   in Loop: Header=BB14_17 Depth=1
	s_andn2_saveexec_b64 s[60:61], s[68:69]
	s_cbranch_execz .LBB14_3214
; %bb.3213:                             ;   in Loop: Header=BB14_17 Depth=1
	flat_load_ushort v14, v[14:15]
	s_waitcnt vmcnt(0) lgkmcnt(0)
	v_cvt_f32_f16_e32 v66, v14
.LBB14_3214:                            ;   in Loop: Header=BB14_17 Depth=1
	s_or_b64 exec, exec, s[60:61]
.LBB14_3215:                            ;   in Loop: Header=BB14_17 Depth=1
	s_or_b64 exec, exec, s[66:67]
                                        ; implicit-def: $vgpr14_vgpr15
.LBB14_3216:                            ;   in Loop: Header=BB14_17 Depth=1
	s_andn2_saveexec_b64 s[72:73], s[72:73]
	s_cbranch_execz .LBB14_3234
; %bb.3217:                             ;   in Loop: Header=BB14_17 Depth=1
	v_cmp_gt_i16_sdwa s[60:61], v7, v52 src0_sel:BYTE_0 src1_sel:DWORD
                                        ; implicit-def: $vgpr66
	s_and_saveexec_b64 s[62:63], s[60:61]
	s_xor_b64 s[74:75], exec, s[62:63]
	s_cbranch_execz .LBB14_3227
; %bb.3218:                             ;   in Loop: Header=BB14_17 Depth=1
	v_cmp_gt_i16_sdwa s[60:61], v7, v53 src0_sel:BYTE_0 src1_sel:DWORD
                                        ; implicit-def: $vgpr66
	s_and_saveexec_b64 s[62:63], s[60:61]
	s_xor_b64 s[66:67], exec, s[62:63]
	;; [unrolled: 6-line block ×3, first 2 shown]
	s_cbranch_execz .LBB14_3221
; %bb.3220:                             ;   in Loop: Header=BB14_17 Depth=1
	flat_load_dwordx2 v[14:15], v[14:15]
	s_waitcnt vmcnt(0) lgkmcnt(0)
	v_xor_b32_e32 v66, v14, v15
	v_ffbh_i32_e32 v64, v15
	v_ashrrev_i32_e32 v66, 31, v66
	v_add_u32_e32 v64, -1, v64
	v_add_u32_e32 v66, 32, v66
	v_min_u32_e32 v64, v64, v66
	v_lshlrev_b64 v[14:15], v64, v[14:15]
	v_min_u32_e32 v14, 1, v14
	v_or_b32_e32 v14, v15, v14
	v_cvt_f32_i32_e32 v14, v14
	v_sub_u32_e32 v15, 32, v64
	v_ldexp_f32 v66, v14, v15
                                        ; implicit-def: $vgpr14_vgpr15
.LBB14_3221:                            ;   in Loop: Header=BB14_17 Depth=1
	s_andn2_saveexec_b64 s[60:61], s[68:69]
	s_cbranch_execz .LBB14_3223
; %bb.3222:                             ;   in Loop: Header=BB14_17 Depth=1
	flat_load_dword v14, v[14:15]
	s_waitcnt vmcnt(0) lgkmcnt(0)
	v_cvt_f32_i32_e32 v66, v14
.LBB14_3223:                            ;   in Loop: Header=BB14_17 Depth=1
	s_or_b64 exec, exec, s[60:61]
                                        ; implicit-def: $vgpr14_vgpr15
.LBB14_3224:                            ;   in Loop: Header=BB14_17 Depth=1
	s_andn2_saveexec_b64 s[60:61], s[66:67]
	s_cbranch_execz .LBB14_3226
; %bb.3225:                             ;   in Loop: Header=BB14_17 Depth=1
	flat_load_sshort v14, v[14:15]
	s_waitcnt vmcnt(0) lgkmcnt(0)
	v_cvt_f32_i32_e32 v66, v14
.LBB14_3226:                            ;   in Loop: Header=BB14_17 Depth=1
	s_or_b64 exec, exec, s[60:61]
                                        ; implicit-def: $vgpr14_vgpr15
.LBB14_3227:                            ;   in Loop: Header=BB14_17 Depth=1
	s_andn2_saveexec_b64 s[66:67], s[74:75]
	s_cbranch_execz .LBB14_3233
; %bb.3228:                             ;   in Loop: Header=BB14_17 Depth=1
	v_cmp_gt_i16_sdwa s[60:61], v7, v16 src0_sel:BYTE_0 src1_sel:DWORD
                                        ; implicit-def: $vgpr66
	s_and_saveexec_b64 s[62:63], s[60:61]
	s_xor_b64 s[60:61], exec, s[62:63]
	s_cbranch_execz .LBB14_3230
; %bb.3229:                             ;   in Loop: Header=BB14_17 Depth=1
	flat_load_sbyte v14, v[14:15]
	s_waitcnt vmcnt(0) lgkmcnt(0)
	v_cvt_f32_i32_e32 v66, v14
                                        ; implicit-def: $vgpr14_vgpr15
.LBB14_3230:                            ;   in Loop: Header=BB14_17 Depth=1
	s_andn2_saveexec_b64 s[60:61], s[60:61]
	s_cbranch_execz .LBB14_3232
; %bb.3231:                             ;   in Loop: Header=BB14_17 Depth=1
	flat_load_ubyte v14, v[14:15]
	s_waitcnt vmcnt(0) lgkmcnt(0)
	v_cvt_f32_ubyte0_e32 v66, v14
.LBB14_3232:                            ;   in Loop: Header=BB14_17 Depth=1
	s_or_b64 exec, exec, s[60:61]
.LBB14_3233:                            ;   in Loop: Header=BB14_17 Depth=1
	s_or_b64 exec, exec, s[66:67]
.LBB14_3234:                            ;   in Loop: Header=BB14_17 Depth=1
	s_or_b64 exec, exec, s[72:73]
	s_andn2_b64 s[90:91], s[90:91], exec
	s_andn2_b64 s[92:93], s[92:93], exec
	s_or_b64 vcc, vcc, exec
	s_or_b64 exec, exec, s[78:79]
	s_mov_b64 s[66:67], 0
	s_and_saveexec_b64 s[84:85], vcc
	s_cbranch_execz .LBB14_3340
.LBB14_3235:                            ;   in Loop: Header=BB14_17 Depth=1
	v_mul_lo_u32 v14, v65, v10
	v_readlane_b32 s60, v44, 0
	v_add_co_u32_e32 v14, vcc, v4, v14
	v_add_u32_e32 v64, s60, v17
	v_addc_co_u32_e32 v15, vcc, 0, v5, vcc
	v_cmp_gt_i16_sdwa s[60:61], v8, v18 src0_sel:BYTE_0 src1_sel:DWORD
	s_mov_b64 s[78:79], 0
	s_waitcnt vmcnt(0) lgkmcnt(0)
	buffer_store_dword v66, v64, s[0:3], 0 offen offset:116
                                        ; implicit-def: $vcc
                                        ; implicit-def: $sgpr86_sgpr87
                                        ; implicit-def: $vgpr65
	s_and_saveexec_b64 s[62:63], s[60:61]
	s_xor_b64 s[62:63], exec, s[62:63]
	v_writelane_b32 v44, s62, 40
	v_writelane_b32 v44, s63, 41
	s_cbranch_execz .LBB14_3295
; %bb.3236:                             ;   in Loop: Header=BB14_17 Depth=1
	v_cmp_gt_i16_sdwa vcc, v8, v19 src0_sel:BYTE_0 src1_sel:DWORD
                                        ; implicit-def: $sgpr62_sgpr63
                                        ; implicit-def: $sgpr86_sgpr87
                                        ; implicit-def: $vgpr65
	s_and_saveexec_b64 s[60:61], vcc
	s_xor_b64 s[76:77], exec, s[60:61]
	s_cbranch_execz .LBB14_3268
; %bb.3237:                             ;   in Loop: Header=BB14_17 Depth=1
	v_cmp_gt_i16_sdwa vcc, v8, v20 src0_sel:BYTE_0 src1_sel:DWORD
                                        ; implicit-def: $sgpr72_sgpr73
                                        ; implicit-def: $sgpr86_sgpr87
                                        ; implicit-def: $vgpr65
	s_and_saveexec_b64 s[60:61], vcc
	s_xor_b64 s[80:81], exec, s[60:61]
	s_cbranch_execz .LBB14_3253
; %bb.3238:                             ;   in Loop: Header=BB14_17 Depth=1
	v_cmp_gt_i16_sdwa s[60:61], v8, v21 src0_sel:BYTE_0 src1_sel:DWORD
	s_mov_b64 s[74:75], 0
                                        ; implicit-def: $vcc
                                        ; implicit-def: $sgpr86_sgpr87
                                        ; implicit-def: $vgpr65
	s_and_saveexec_b64 s[62:63], s[60:61]
	s_xor_b64 s[72:73], exec, s[62:63]
	s_cbranch_execz .LBB14_3248
; %bb.3239:                             ;   in Loop: Header=BB14_17 Depth=1
	v_cmp_gt_i16_sdwa vcc, v8, v22 src0_sel:BYTE_0 src1_sel:DWORD
                                        ; implicit-def: $sgpr86_sgpr87
                                        ; implicit-def: $sgpr74_sgpr75
                                        ; implicit-def: $vgpr65
	s_and_saveexec_b64 s[60:61], vcc
	s_xor_b64 vcc, exec, s[60:61]
	s_cbranch_execz .LBB14_3243
; %bb.3240:                             ;   in Loop: Header=BB14_17 Depth=1
	v_cmp_eq_u16_sdwa s[62:63], v8, v23 src0_sel:BYTE_0 src1_sel:DWORD
	s_mov_b64 s[74:75], 0
                                        ; implicit-def: $vgpr65
	s_and_saveexec_b64 s[60:61], s[62:63]
	s_cbranch_execz .LBB14_3242
; %bb.3241:                             ;   in Loop: Header=BB14_17 Depth=1
	flat_load_dword v14, v[14:15]
	s_mov_b64 s[66:67], exec
	s_waitcnt vmcnt(0) lgkmcnt(0)
	v_lshlrev_b32_e32 v65, 16, v14
.LBB14_3242:                            ;   in Loop: Header=BB14_17 Depth=1
	s_or_b64 exec, exec, s[60:61]
	s_mov_b64 s[86:87], -1
	s_and_b64 s[78:79], s[66:67], exec
                                        ; implicit-def: $vgpr14_vgpr15
.LBB14_3243:                            ;   in Loop: Header=BB14_17 Depth=1
	s_andn2_saveexec_b64 s[66:67], vcc
	s_cbranch_execz .LBB14_3247
; %bb.3244:                             ;   in Loop: Header=BB14_17 Depth=1
	v_cmp_eq_u16_sdwa s[60:61], v8, v24 src0_sel:BYTE_0 src1_sel:DWORD
	s_mov_b64 vcc, s[78:79]
                                        ; implicit-def: $vgpr65
	s_and_saveexec_b64 s[68:69], s[60:61]
	s_cbranch_execz .LBB14_3246
; %bb.3245:                             ;   in Loop: Header=BB14_17 Depth=1
	flat_load_ubyte v14, v[14:15]
	s_movk_i32 vcc_lo, 0xff
	s_waitcnt vmcnt(0) lgkmcnt(0)
	v_lshlrev_b32_e32 v15, 23, v14
	v_cmp_ne_u32_e32 vcc, vcc_lo, v14
	v_cndmask_b32_e32 v15, v25, v15, vcc
	v_cmp_ne_u32_e32 vcc, 0, v14
	v_cndmask_b32_e32 v65, v26, v15, vcc
	s_or_b64 vcc, s[78:79], exec
.LBB14_3246:                            ;   in Loop: Header=BB14_17 Depth=1
	s_or_b64 exec, exec, s[68:69]
	s_andn2_b64 s[60:61], s[78:79], exec
	s_and_b64 vcc, vcc, exec
	s_or_b64 s[86:87], s[86:87], exec
	s_andn2_b64 s[74:75], s[74:75], exec
	s_or_b64 s[78:79], s[60:61], vcc
.LBB14_3247:                            ;   in Loop: Header=BB14_17 Depth=1
	s_or_b64 exec, exec, s[66:67]
	s_and_b64 s[86:87], s[86:87], exec
	s_and_b64 vcc, s[74:75], exec
	s_and_b64 s[74:75], s[78:79], exec
                                        ; implicit-def: $vgpr14_vgpr15
.LBB14_3248:                            ;   in Loop: Header=BB14_17 Depth=1
	s_andn2_saveexec_b64 s[66:67], s[72:73]
	s_cbranch_execz .LBB14_3252
; %bb.3249:                             ;   in Loop: Header=BB14_17 Depth=1
	v_cmp_eq_u16_sdwa s[60:61], v8, v27 src0_sel:BYTE_0 src1_sel:DWORD
	s_mov_b64 s[70:71], s[74:75]
                                        ; implicit-def: $vgpr65
	s_and_saveexec_b64 s[68:69], s[60:61]
	s_cbranch_execz .LBB14_3251
; %bb.3250:                             ;   in Loop: Header=BB14_17 Depth=1
	flat_load_dwordx2 v[14:15], v[14:15]
	s_or_b64 s[70:71], s[74:75], exec
	s_waitcnt vmcnt(0) lgkmcnt(0)
	v_ffbh_u32_e32 v65, v15
	v_min_u32_e32 v65, 32, v65
	v_lshlrev_b64 v[14:15], v65, v[14:15]
	v_min_u32_e32 v14, 1, v14
	v_or_b32_e32 v14, v15, v14
	v_cvt_f32_u32_e32 v14, v14
	v_sub_u32_e32 v15, 32, v65
	v_ldexp_f32 v65, v14, v15
.LBB14_3251:                            ;   in Loop: Header=BB14_17 Depth=1
	s_or_b64 exec, exec, s[68:69]
	s_andn2_b64 s[60:61], s[74:75], exec
	s_and_b64 s[62:63], s[70:71], exec
	s_or_b64 s[86:87], s[86:87], exec
	s_andn2_b64 vcc, vcc, exec
	s_or_b64 s[74:75], s[60:61], s[62:63]
.LBB14_3252:                            ;   in Loop: Header=BB14_17 Depth=1
	s_or_b64 exec, exec, s[66:67]
	s_and_b64 s[86:87], s[86:87], exec
	s_and_b64 s[72:73], vcc, exec
	s_and_b64 s[78:79], s[74:75], exec
                                        ; implicit-def: $vgpr14_vgpr15
.LBB14_3253:                            ;   in Loop: Header=BB14_17 Depth=1
	s_andn2_saveexec_b64 s[80:81], s[80:81]
	s_cbranch_execz .LBB14_3267
; %bb.3254:                             ;   in Loop: Header=BB14_17 Depth=1
	v_cmp_gt_i16_sdwa vcc, v8, v28 src0_sel:BYTE_0 src1_sel:DWORD
                                        ; implicit-def: $vgpr65
	s_and_saveexec_b64 s[60:61], vcc
	s_xor_b64 vcc, exec, s[60:61]
	s_cbranch_execz .LBB14_3260
; %bb.3255:                             ;   in Loop: Header=BB14_17 Depth=1
	v_cmp_gt_i16_sdwa s[60:61], v8, v29 src0_sel:BYTE_0 src1_sel:DWORD
                                        ; implicit-def: $vgpr65
	s_and_saveexec_b64 s[62:63], s[60:61]
	s_xor_b64 s[60:61], exec, s[62:63]
	s_cbranch_execz .LBB14_3257
; %bb.3256:                             ;   in Loop: Header=BB14_17 Depth=1
	flat_load_dword v14, v[14:15]
	s_waitcnt vmcnt(0) lgkmcnt(0)
	v_cvt_f32_u32_e32 v65, v14
                                        ; implicit-def: $vgpr14_vgpr15
.LBB14_3257:                            ;   in Loop: Header=BB14_17 Depth=1
	s_andn2_saveexec_b64 s[60:61], s[60:61]
	s_cbranch_execz .LBB14_3259
; %bb.3258:                             ;   in Loop: Header=BB14_17 Depth=1
	flat_load_ushort v14, v[14:15]
	s_waitcnt vmcnt(0) lgkmcnt(0)
	v_cvt_f32_u32_e32 v65, v14
.LBB14_3259:                            ;   in Loop: Header=BB14_17 Depth=1
	s_or_b64 exec, exec, s[60:61]
                                        ; implicit-def: $vgpr14_vgpr15
.LBB14_3260:                            ;   in Loop: Header=BB14_17 Depth=1
	s_andn2_saveexec_b64 s[74:75], vcc
	s_cbranch_execz .LBB14_3266
; %bb.3261:                             ;   in Loop: Header=BB14_17 Depth=1
	flat_load_ubyte v14, v[14:15]
	s_movk_i32 vcc_lo, 0x7f
	s_mov_b64 s[66:67], 0
                                        ; implicit-def: $sgpr70
	s_waitcnt vmcnt(0) lgkmcnt(0)
	v_cmp_lt_i16_e32 vcc, vcc_lo, v14
	s_and_saveexec_b64 s[60:61], vcc
	s_xor_b64 s[68:69], exec, s[60:61]
	s_cbranch_execnz .LBB14_3626
; %bb.3262:                             ;   in Loop: Header=BB14_17 Depth=1
	s_or_saveexec_b64 s[68:69], s[68:69]
	v_mov_b32_e32 v65, s70
	s_xor_b64 exec, exec, s[68:69]
	s_cbranch_execnz .LBB14_3629
.LBB14_3263:                            ;   in Loop: Header=BB14_17 Depth=1
	s_or_b64 exec, exec, s[68:69]
	s_and_saveexec_b64 s[68:69], s[66:67]
	s_cbranch_execz .LBB14_3265
.LBB14_3264:                            ;   in Loop: Header=BB14_17 Depth=1
	v_lshlrev_b32_e32 v15, 24, v14
	v_and_b32_e32 v14, 0xffff, v14
	v_and_b32_e32 v65, 7, v14
	v_ffbh_u32_e32 v67, v65
	v_min_u32_e32 v67, 32, v67
	v_subrev_u32_e32 v68, 28, v67
	v_bfe_u32 v66, v14, 3, 4
	v_lshlrev_b32_e32 v14, v68, v14
	v_sub_u32_e32 v67, 29, v67
	v_and_b32_e32 v14, 7, v14
	v_cmp_eq_u32_e32 vcc, 0, v66
	v_cndmask_b32_e32 v66, v66, v67, vcc
	v_cndmask_b32_e32 v14, v65, v14, vcc
	v_lshlrev_b32_e32 v14, 20, v14
	v_and_b32_e32 v15, 0x80000000, v15
	v_lshl_add_u32 v65, v66, 23, v30
	v_or3_b32 v65, v15, v65, v14
.LBB14_3265:                            ;   in Loop: Header=BB14_17 Depth=1
	s_or_b64 exec, exec, s[68:69]
.LBB14_3266:                            ;   in Loop: Header=BB14_17 Depth=1
	s_or_b64 exec, exec, s[74:75]
	s_andn2_b64 s[86:87], s[86:87], exec
	s_andn2_b64 s[72:73], s[72:73], exec
	s_or_b64 s[78:79], s[78:79], exec
.LBB14_3267:                            ;   in Loop: Header=BB14_17 Depth=1
	s_or_b64 exec, exec, s[80:81]
	s_and_b64 s[86:87], s[86:87], exec
	s_and_b64 s[62:63], s[72:73], exec
	;; [unrolled: 1-line block ×3, first 2 shown]
                                        ; implicit-def: $vgpr14_vgpr15
.LBB14_3268:                            ;   in Loop: Header=BB14_17 Depth=1
	s_andn2_saveexec_b64 s[80:81], s[76:77]
	s_cbranch_execz .LBB14_3294
; %bb.3269:                             ;   in Loop: Header=BB14_17 Depth=1
	v_writelane_b32 v44, s62, 42
	v_cmp_gt_i16_sdwa vcc, v8, v31 src0_sel:BYTE_0 src1_sel:DWORD
	s_mov_b64 s[74:75], s[78:79]
	v_writelane_b32 v44, s63, 43
                                        ; implicit-def: $vgpr65
	s_and_saveexec_b64 s[60:61], vcc
	s_xor_b64 s[72:73], exec, s[60:61]
	s_cbranch_execz .LBB14_3283
; %bb.3270:                             ;   in Loop: Header=BB14_17 Depth=1
	v_cmp_gt_i16_sdwa vcc, v8, v32 src0_sel:BYTE_0 src1_sel:DWORD
                                        ; implicit-def: $vgpr65
	s_and_saveexec_b64 s[60:61], vcc
	s_xor_b64 s[62:63], exec, s[60:61]
	s_cbranch_execz .LBB14_3280
; %bb.3271:                             ;   in Loop: Header=BB14_17 Depth=1
	v_cmp_gt_i16_sdwa vcc, v8, v33 src0_sel:BYTE_0 src1_sel:DWORD
                                        ; implicit-def: $vgpr65
	s_and_saveexec_b64 s[60:61], vcc
	s_xor_b64 s[74:75], exec, s[60:61]
	s_cbranch_execz .LBB14_3277
; %bb.3272:                             ;   in Loop: Header=BB14_17 Depth=1
	flat_load_ubyte v14, v[14:15]
	s_movk_i32 vcc_lo, 0x7f
	s_mov_b64 s[66:67], 0
                                        ; implicit-def: $sgpr70
	s_waitcnt vmcnt(0) lgkmcnt(0)
	v_cmp_lt_i16_e32 vcc, vcc_lo, v14
	s_and_saveexec_b64 s[60:61], vcc
	s_xor_b64 s[68:69], exec, s[60:61]
	s_cbranch_execnz .LBB14_3634
; %bb.3273:                             ;   in Loop: Header=BB14_17 Depth=1
	s_or_saveexec_b64 s[68:69], s[68:69]
	v_mov_b32_e32 v65, s70
	s_xor_b64 exec, exec, s[68:69]
	s_cbranch_execnz .LBB14_3637
.LBB14_3274:                            ;   in Loop: Header=BB14_17 Depth=1
	s_or_b64 exec, exec, s[68:69]
	s_and_saveexec_b64 s[68:69], s[66:67]
	s_cbranch_execz .LBB14_3276
.LBB14_3275:                            ;   in Loop: Header=BB14_17 Depth=1
	v_lshlrev_b32_e32 v15, 24, v14
	v_and_b32_e32 v14, 0xffff, v14
	v_and_b32_e32 v65, 3, v14
	v_ffbh_u32_e32 v67, v65
	v_min_u32_e32 v67, 32, v67
	v_subrev_u32_e32 v68, 29, v67
	v_bfe_u32 v66, v14, 2, 5
	v_lshlrev_b32_e32 v14, v68, v14
	v_sub_u32_e32 v67, 30, v67
	v_and_b32_e32 v14, 3, v14
	v_cmp_eq_u32_e32 vcc, 0, v66
	v_cndmask_b32_e32 v66, v66, v67, vcc
	v_cndmask_b32_e32 v14, v65, v14, vcc
	v_lshlrev_b32_e32 v14, 21, v14
	v_and_b32_e32 v15, 0x80000000, v15
	v_lshl_add_u32 v65, v66, 23, v34
	v_or3_b32 v65, v15, v65, v14
.LBB14_3276:                            ;   in Loop: Header=BB14_17 Depth=1
	s_or_b64 exec, exec, s[68:69]
                                        ; implicit-def: $vgpr14_vgpr15
.LBB14_3277:                            ;   in Loop: Header=BB14_17 Depth=1
	s_andn2_saveexec_b64 s[66:67], s[74:75]
	s_cbranch_execz .LBB14_3279
; %bb.3278:                             ;   in Loop: Header=BB14_17 Depth=1
	flat_load_ubyte v14, v[14:15]
	s_mov_b32 vcc_lo, 0x7f800000
	s_waitcnt vmcnt(0) lgkmcnt(0)
	v_lshlrev_b32_e32 v14, 24, v14
	v_and_b32_e32 v15, 0x7f000000, v14
	v_ffbh_u32_e32 v65, v15
	v_min_u32_e32 v65, 32, v65
	v_sub_u32_e64 v65, v65, 4 clamp
	v_lshlrev_b32_e32 v67, v65, v15
	v_lshlrev_b32_e32 v65, 23, v65
	v_lshrrev_b32_e32 v67, 4, v67
	v_add_u32_e32 v66, 0x1000000, v15
	v_sub_u32_e32 v65, v67, v65
	v_ashrrev_i32_e32 v66, 8, v66
	v_add_u32_e32 v65, 0x3c000000, v65
	v_and_or_b32 v65, v66, vcc_lo, v65
	v_cmp_ne_u32_e32 vcc, 0, v15
	v_cndmask_b32_e32 v15, 0, v65, vcc
	s_brev_b32 vcc_lo, 1
	v_and_or_b32 v65, v14, vcc_lo, v15
.LBB14_3279:                            ;   in Loop: Header=BB14_17 Depth=1
	s_or_b64 exec, exec, s[66:67]
                                        ; implicit-def: $vgpr14_vgpr15
.LBB14_3280:                            ;   in Loop: Header=BB14_17 Depth=1
	s_andn2_saveexec_b64 s[66:67], s[62:63]
	s_cbranch_execz .LBB14_3282
; %bb.3281:                             ;   in Loop: Header=BB14_17 Depth=1
	flat_load_ubyte v14, v[14:15]
	s_movk_i32 vcc_lo, 0x7f00
	s_waitcnt vmcnt(0) lgkmcnt(0)
	v_lshlrev_b16_e32 v15, 8, v14
	v_lshlrev_b32_e32 v14, 25, v14
	v_lshrrev_b32_e32 v65, 4, v14
	v_and_or_b32 v66, v15, vcc_lo, 0.5
	v_or_b32_e32 v65, 0x70000000, v65
	s_brev_b32 vcc_lo, 16
	v_add_f32_e32 v66, -0.5, v66
	v_mul_f32_e32 v65, 0x7800000, v65
	v_cmp_gt_u32_e32 vcc, vcc_lo, v14
	v_cndmask_b32_e32 v14, v65, v66, vcc
	v_bfe_i32 v15, v15, 0, 16
	s_brev_b32 vcc_lo, 1
	v_and_or_b32 v65, v15, vcc_lo, v14
.LBB14_3282:                            ;   in Loop: Header=BB14_17 Depth=1
	s_or_b64 exec, exec, s[66:67]
	s_or_b64 s[74:75], s[78:79], exec
                                        ; implicit-def: $vgpr14_vgpr15
.LBB14_3283:                            ;   in Loop: Header=BB14_17 Depth=1
	s_or_saveexec_b64 s[72:73], s[72:73]
                                        ; implicit-def: $vcc
                                        ; implicit-def: $sgpr68_sgpr69
	s_xor_b64 exec, exec, s[72:73]
	s_cbranch_execz .LBB14_3293
; %bb.3284:                             ;   in Loop: Header=BB14_17 Depth=1
	v_cmp_gt_i16_sdwa vcc, v8, v35 src0_sel:BYTE_0 src1_sel:DWORD
	s_mov_b64 s[66:67], s[74:75]
                                        ; implicit-def: $sgpr68_sgpr69
                                        ; implicit-def: $sgpr76_sgpr77
                                        ; implicit-def: $vgpr65
	s_and_saveexec_b64 s[60:61], vcc
	s_xor_b64 vcc, exec, s[60:61]
	s_cbranch_execz .LBB14_3288
; %bb.3285:                             ;   in Loop: Header=BB14_17 Depth=1
	v_cmp_eq_u16_sdwa s[62:63], v8, v36 src0_sel:BYTE_0 src1_sel:DWORD
	s_mov_b64 s[66:67], s[74:75]
                                        ; implicit-def: $vgpr65
	s_and_saveexec_b64 s[60:61], s[62:63]
	s_cbranch_execz .LBB14_3287
; %bb.3286:                             ;   in Loop: Header=BB14_17 Depth=1
	flat_load_ushort v14, v[14:15]
	s_or_b64 s[66:67], s[74:75], exec
	s_waitcnt vmcnt(0) lgkmcnt(0)
	v_lshlrev_b32_e32 v65, 16, v14
.LBB14_3287:                            ;   in Loop: Header=BB14_17 Depth=1
	s_or_b64 exec, exec, s[60:61]
	s_andn2_b64 s[60:61], s[74:75], exec
	s_and_b64 s[62:63], s[66:67], exec
	s_mov_b64 s[76:77], 0
	s_mov_b64 s[68:69], -1
	s_or_b64 s[66:67], s[60:61], s[62:63]
                                        ; implicit-def: $vgpr14_vgpr15
.LBB14_3288:                            ;   in Loop: Header=BB14_17 Depth=1
	s_andn2_saveexec_b64 s[70:71], vcc
	s_cbranch_execz .LBB14_3292
; %bb.3289:                             ;   in Loop: Header=BB14_17 Depth=1
	v_cmp_eq_u16_sdwa s[62:63], v8, v37 src0_sel:BYTE_0 src1_sel:DWORD
	s_mov_b64 vcc, s[66:67]
                                        ; implicit-def: $vgpr65
	s_and_saveexec_b64 s[60:61], s[62:63]
	s_cbranch_execz .LBB14_3291
; %bb.3290:                             ;   in Loop: Header=BB14_17 Depth=1
	flat_load_ubyte v14, v[14:15]
	s_waitcnt vmcnt(0) lgkmcnt(0)
	v_cmp_ne_u16_e32 vcc, 0, v14
	v_cndmask_b32_e64 v65, 0, 1.0, vcc
	s_or_b64 vcc, s[66:67], exec
.LBB14_3291:                            ;   in Loop: Header=BB14_17 Depth=1
	s_or_b64 exec, exec, s[60:61]
	s_andn2_b64 s[60:61], s[66:67], exec
	s_and_b64 vcc, vcc, exec
	s_or_b64 s[68:69], s[68:69], exec
	s_andn2_b64 s[76:77], s[76:77], exec
	s_or_b64 s[66:67], s[60:61], vcc
.LBB14_3292:                            ;   in Loop: Header=BB14_17 Depth=1
	s_or_b64 exec, exec, s[70:71]
	s_andn2_b64 s[60:61], s[74:75], exec
	s_and_b64 s[62:63], s[66:67], exec
	s_and_b64 s[68:69], s[68:69], exec
	s_and_b64 vcc, s[76:77], exec
	s_or_b64 s[74:75], s[60:61], s[62:63]
.LBB14_3293:                            ;   in Loop: Header=BB14_17 Depth=1
	s_or_b64 exec, exec, s[72:73]
	s_andn2_b64 s[60:61], s[86:87], exec
	s_and_b64 s[62:63], s[68:69], exec
	s_or_b64 s[86:87], s[60:61], s[62:63]
	v_readlane_b32 s60, v44, 42
	v_readlane_b32 s61, v44, 43
	s_andn2_b64 s[60:61], s[60:61], exec
	s_and_b64 vcc, vcc, exec
	s_or_b64 s[62:63], s[60:61], vcc
	s_andn2_b64 vcc, s[78:79], exec
	s_and_b64 s[60:61], s[74:75], exec
	s_or_b64 s[78:79], vcc, s[60:61]
.LBB14_3294:                            ;   in Loop: Header=BB14_17 Depth=1
	s_or_b64 exec, exec, s[80:81]
	s_and_b64 s[86:87], s[86:87], exec
	s_and_b64 vcc, s[62:63], exec
	s_and_b64 s[78:79], s[78:79], exec
                                        ; implicit-def: $vgpr14_vgpr15
.LBB14_3295:                            ;   in Loop: Header=BB14_17 Depth=1
	v_readlane_b32 s60, v44, 40
	v_readlane_b32 s61, v44, 41
	s_andn2_saveexec_b64 s[80:81], s[60:61]
	s_cbranch_execz .LBB14_3337
; %bb.3296:                             ;   in Loop: Header=BB14_17 Depth=1
	v_cmp_gt_i16_sdwa s[60:61], v8, v38 src0_sel:BYTE_0 src1_sel:DWORD
                                        ; implicit-def: $vgpr65
	s_and_saveexec_b64 s[62:63], s[60:61]
	s_xor_b64 s[72:73], exec, s[62:63]
	s_cbranch_execz .LBB14_3318
; %bb.3297:                             ;   in Loop: Header=BB14_17 Depth=1
	v_cmp_gt_i16_sdwa s[60:61], v8, v39 src0_sel:BYTE_0 src1_sel:DWORD
                                        ; implicit-def: $vgpr65
	s_and_saveexec_b64 s[62:63], s[60:61]
	s_xor_b64 s[66:67], exec, s[62:63]
	;; [unrolled: 6-line block ×4, first 2 shown]
	s_cbranch_execz .LBB14_3301
; %bb.3300:                             ;   in Loop: Header=BB14_17 Depth=1
	flat_load_dwordx2 v[14:15], v[14:15]
	s_waitcnt vmcnt(0) lgkmcnt(0)
	v_cvt_f32_f64_e32 v65, v[14:15]
                                        ; implicit-def: $vgpr14_vgpr15
.LBB14_3301:                            ;   in Loop: Header=BB14_17 Depth=1
	s_andn2_saveexec_b64 s[60:61], s[60:61]
	s_cbranch_execz .LBB14_3303
; %bb.3302:                             ;   in Loop: Header=BB14_17 Depth=1
	flat_load_dword v65, v[14:15]
.LBB14_3303:                            ;   in Loop: Header=BB14_17 Depth=1
	s_or_b64 exec, exec, s[60:61]
                                        ; implicit-def: $vgpr14_vgpr15
.LBB14_3304:                            ;   in Loop: Header=BB14_17 Depth=1
	s_andn2_saveexec_b64 s[60:61], s[68:69]
	s_cbranch_execz .LBB14_3306
; %bb.3305:                             ;   in Loop: Header=BB14_17 Depth=1
	flat_load_dword v14, v[14:15]
	s_waitcnt vmcnt(0) lgkmcnt(0)
	v_cvt_f32_f16_e32 v65, v14
.LBB14_3306:                            ;   in Loop: Header=BB14_17 Depth=1
	s_or_b64 exec, exec, s[60:61]
                                        ; implicit-def: $vgpr14_vgpr15
.LBB14_3307:                            ;   in Loop: Header=BB14_17 Depth=1
	s_andn2_saveexec_b64 s[66:67], s[66:67]
	s_cbranch_execz .LBB14_3317
; %bb.3308:                             ;   in Loop: Header=BB14_17 Depth=1
	v_cmp_gt_i16_sdwa s[60:61], v8, v50 src0_sel:BYTE_0 src1_sel:DWORD
                                        ; implicit-def: $vgpr65
	s_and_saveexec_b64 s[62:63], s[60:61]
	s_xor_b64 s[68:69], exec, s[62:63]
	s_cbranch_execz .LBB14_3314
; %bb.3309:                             ;   in Loop: Header=BB14_17 Depth=1
	v_cmp_gt_i16_sdwa s[60:61], v8, v51 src0_sel:BYTE_0 src1_sel:DWORD
                                        ; implicit-def: $vgpr65
	s_and_saveexec_b64 s[62:63], s[60:61]
	s_xor_b64 s[60:61], exec, s[62:63]
	s_cbranch_execz .LBB14_3311
; %bb.3310:                             ;   in Loop: Header=BB14_17 Depth=1
	flat_load_dwordx2 v[14:15], v[14:15]
	s_waitcnt vmcnt(0) lgkmcnt(0)
	v_cvt_f32_f64_e32 v65, v[14:15]
                                        ; implicit-def: $vgpr14_vgpr15
.LBB14_3311:                            ;   in Loop: Header=BB14_17 Depth=1
	s_andn2_saveexec_b64 s[60:61], s[60:61]
	s_cbranch_execz .LBB14_3313
; %bb.3312:                             ;   in Loop: Header=BB14_17 Depth=1
	s_waitcnt vmcnt(0) lgkmcnt(0)
	flat_load_dword v65, v[14:15]
.LBB14_3313:                            ;   in Loop: Header=BB14_17 Depth=1
	s_or_b64 exec, exec, s[60:61]
                                        ; implicit-def: $vgpr14_vgpr15
.LBB14_3314:                            ;   in Loop: Header=BB14_17 Depth=1
	s_andn2_saveexec_b64 s[60:61], s[68:69]
	s_cbranch_execz .LBB14_3316
; %bb.3315:                             ;   in Loop: Header=BB14_17 Depth=1
	flat_load_ushort v14, v[14:15]
	s_waitcnt vmcnt(0) lgkmcnt(0)
	v_cvt_f32_f16_e32 v65, v14
.LBB14_3316:                            ;   in Loop: Header=BB14_17 Depth=1
	s_or_b64 exec, exec, s[60:61]
.LBB14_3317:                            ;   in Loop: Header=BB14_17 Depth=1
	s_or_b64 exec, exec, s[66:67]
                                        ; implicit-def: $vgpr14_vgpr15
.LBB14_3318:                            ;   in Loop: Header=BB14_17 Depth=1
	s_andn2_saveexec_b64 s[72:73], s[72:73]
	s_cbranch_execz .LBB14_3336
; %bb.3319:                             ;   in Loop: Header=BB14_17 Depth=1
	v_cmp_gt_i16_sdwa s[60:61], v8, v52 src0_sel:BYTE_0 src1_sel:DWORD
                                        ; implicit-def: $vgpr65
	s_and_saveexec_b64 s[62:63], s[60:61]
	s_xor_b64 s[74:75], exec, s[62:63]
	s_cbranch_execz .LBB14_3329
; %bb.3320:                             ;   in Loop: Header=BB14_17 Depth=1
	v_cmp_gt_i16_sdwa s[60:61], v8, v53 src0_sel:BYTE_0 src1_sel:DWORD
                                        ; implicit-def: $vgpr65
	s_and_saveexec_b64 s[62:63], s[60:61]
	s_xor_b64 s[66:67], exec, s[62:63]
	;; [unrolled: 6-line block ×3, first 2 shown]
	s_cbranch_execz .LBB14_3323
; %bb.3322:                             ;   in Loop: Header=BB14_17 Depth=1
	flat_load_dwordx2 v[14:15], v[14:15]
	s_waitcnt vmcnt(0) lgkmcnt(0)
	v_xor_b32_e32 v66, v14, v15
	v_ffbh_i32_e32 v65, v15
	v_ashrrev_i32_e32 v66, 31, v66
	v_add_u32_e32 v65, -1, v65
	v_add_u32_e32 v66, 32, v66
	v_min_u32_e32 v65, v65, v66
	v_lshlrev_b64 v[14:15], v65, v[14:15]
	v_min_u32_e32 v14, 1, v14
	v_or_b32_e32 v14, v15, v14
	v_cvt_f32_i32_e32 v14, v14
	v_sub_u32_e32 v15, 32, v65
	v_ldexp_f32 v65, v14, v15
                                        ; implicit-def: $vgpr14_vgpr15
.LBB14_3323:                            ;   in Loop: Header=BB14_17 Depth=1
	s_andn2_saveexec_b64 s[60:61], s[68:69]
	s_cbranch_execz .LBB14_3325
; %bb.3324:                             ;   in Loop: Header=BB14_17 Depth=1
	flat_load_dword v14, v[14:15]
	s_waitcnt vmcnt(0) lgkmcnt(0)
	v_cvt_f32_i32_e32 v65, v14
.LBB14_3325:                            ;   in Loop: Header=BB14_17 Depth=1
	s_or_b64 exec, exec, s[60:61]
                                        ; implicit-def: $vgpr14_vgpr15
.LBB14_3326:                            ;   in Loop: Header=BB14_17 Depth=1
	s_andn2_saveexec_b64 s[60:61], s[66:67]
	s_cbranch_execz .LBB14_3328
; %bb.3327:                             ;   in Loop: Header=BB14_17 Depth=1
	flat_load_sshort v14, v[14:15]
	s_waitcnt vmcnt(0) lgkmcnt(0)
	v_cvt_f32_i32_e32 v65, v14
.LBB14_3328:                            ;   in Loop: Header=BB14_17 Depth=1
	s_or_b64 exec, exec, s[60:61]
                                        ; implicit-def: $vgpr14_vgpr15
.LBB14_3329:                            ;   in Loop: Header=BB14_17 Depth=1
	s_andn2_saveexec_b64 s[66:67], s[74:75]
	s_cbranch_execz .LBB14_3335
; %bb.3330:                             ;   in Loop: Header=BB14_17 Depth=1
	v_cmp_gt_i16_sdwa s[60:61], v8, v16 src0_sel:BYTE_0 src1_sel:DWORD
                                        ; implicit-def: $vgpr65
	s_and_saveexec_b64 s[62:63], s[60:61]
	s_xor_b64 s[60:61], exec, s[62:63]
	s_cbranch_execz .LBB14_3332
; %bb.3331:                             ;   in Loop: Header=BB14_17 Depth=1
	flat_load_sbyte v14, v[14:15]
	s_waitcnt vmcnt(0) lgkmcnt(0)
	v_cvt_f32_i32_e32 v65, v14
                                        ; implicit-def: $vgpr14_vgpr15
.LBB14_3332:                            ;   in Loop: Header=BB14_17 Depth=1
	s_andn2_saveexec_b64 s[60:61], s[60:61]
	s_cbranch_execz .LBB14_3334
; %bb.3333:                             ;   in Loop: Header=BB14_17 Depth=1
	flat_load_ubyte v14, v[14:15]
	s_waitcnt vmcnt(0) lgkmcnt(0)
	v_cvt_f32_ubyte0_e32 v65, v14
.LBB14_3334:                            ;   in Loop: Header=BB14_17 Depth=1
	s_or_b64 exec, exec, s[60:61]
.LBB14_3335:                            ;   in Loop: Header=BB14_17 Depth=1
	s_or_b64 exec, exec, s[66:67]
.LBB14_3336:                            ;   in Loop: Header=BB14_17 Depth=1
	s_or_b64 exec, exec, s[72:73]
	s_andn2_b64 s[86:87], s[86:87], exec
	s_andn2_b64 vcc, vcc, exec
	s_or_b64 s[78:79], s[78:79], exec
.LBB14_3337:                            ;   in Loop: Header=BB14_17 Depth=1
	s_or_b64 exec, exec, s[80:81]
	s_mov_b64 s[66:67], 0
	s_and_saveexec_b64 s[68:69], s[78:79]
	s_cbranch_execz .LBB14_3339
; %bb.3338:                             ;   in Loop: Header=BB14_17 Depth=1
	s_mov_b64 s[66:67], exec
	v_add_u32_e32 v55, 0x200, v55
	s_andn2_b64 s[86:87], s[86:87], exec
	s_andn2_b64 vcc, vcc, exec
	s_waitcnt vmcnt(0) lgkmcnt(0)
	buffer_store_dword v65, v64, s[0:3], 0 offen offset:112
.LBB14_3339:                            ;   in Loop: Header=BB14_17 Depth=1
	s_or_b64 exec, exec, s[68:69]
	s_andn2_b64 s[60:61], s[90:91], exec
	s_and_b64 s[62:63], s[86:87], exec
	s_or_b64 s[90:91], s[60:61], s[62:63]
	s_andn2_b64 s[60:61], s[92:93], exec
	s_and_b64 vcc, vcc, exec
	s_or_b64 s[92:93], s[60:61], vcc
	s_and_b64 s[66:67], s[66:67], exec
.LBB14_3340:                            ;   in Loop: Header=BB14_17 Depth=1
	s_or_b64 exec, exec, s[84:85]
	s_and_b64 vcc, s[90:91], exec
	v_writelane_b32 v44, vcc_lo, 38
	v_writelane_b32 v44, vcc_hi, 39
	s_and_b64 s[62:63], s[92:93], exec
	s_orn2_b64 s[66:67], s[66:67], exec
.LBB14_3341:                            ;   in Loop: Header=BB14_17 Depth=1
	s_or_b64 exec, exec, s[96:97]
	s_and_saveexec_b64 s[96:97], s[66:67]
	s_cbranch_execz .LBB14_2
; %bb.3342:                             ;   in Loop: Header=BB14_17 Depth=1
	v_writelane_b32 v44, s62, 44
	v_writelane_b32 v44, s63, 45
	s_mov_b64 s[60:61], -1
	v_cmp_lt_i32_e32 vcc, v55, v6
	v_writelane_b32 v44, s60, 46
	s_mov_b64 s[70:71], -1
	v_writelane_b32 v44, s61, 47
                                        ; implicit-def: $sgpr66_sgpr67
                                        ; implicit-def: $sgpr68_sgpr69
	s_and_saveexec_b64 s[90:91], vcc
	s_cbranch_execz .LBB14_3468
; %bb.3343:                             ;   in Loop: Header=BB14_17 Depth=1
	v_readlane_b32 vcc_lo, v44, 1
	s_waitcnt vmcnt(0) lgkmcnt(0)
	v_add_u32_e32 v65, vcc_lo, v55
	v_mul_lo_u32 v14, v65, v9
	v_add_co_u32_e32 v14, vcc, v2, v14
	v_addc_co_u32_e32 v15, vcc, 0, v3, vcc
	v_cmp_gt_i16_sdwa s[60:61], v7, v18 src0_sel:BYTE_0 src1_sel:DWORD
	s_mov_b64 vcc, 0
                                        ; implicit-def: $sgpr76_sgpr77
                                        ; implicit-def: $sgpr92_sgpr93
                                        ; implicit-def: $vgpr66
	s_and_saveexec_b64 s[62:63], s[60:61]
	s_xor_b64 s[84:85], exec, s[62:63]
	s_cbranch_execnz .LBB14_3362
; %bb.3344:                             ;   in Loop: Header=BB14_17 Depth=1
	s_andn2_saveexec_b64 s[78:79], s[84:85]
	s_cbranch_execnz .LBB14_3421
.LBB14_3345:                            ;   in Loop: Header=BB14_17 Depth=1
	s_or_b64 exec, exec, s[78:79]
	s_mov_b64 s[70:71], 0
	s_and_saveexec_b64 s[84:85], vcc
	s_cbranch_execnz .LBB14_3462
	s_branch .LBB14_3467
.LBB14_3346:                            ;   in Loop: Header=BB14_17 Depth=1
	s_movk_i32 vcc_lo, 0x80
	v_cmp_eq_u16_e32 vcc, vcc_lo, v14
	s_mov_b64 s[92:93], -1
                                        ; implicit-def: $sgpr96
	s_and_saveexec_b64 s[60:61], vcc
; %bb.3347:                             ;   in Loop: Header=BB14_17 Depth=1
	s_mov_b32 s96, 0x7f800001
	s_xor_b64 s[92:93], exec, -1
; %bb.3348:                             ;   in Loop: Header=BB14_17 Depth=1
	s_or_b64 exec, exec, s[60:61]
	s_and_b64 s[92:93], s[92:93], exec
	s_or_saveexec_b64 s[94:95], s[94:95]
	v_mov_b32_e32 v64, s96
	s_xor_b64 exec, exec, s[94:95]
	s_cbranch_execz .LBB14_2165
.LBB14_3349:                            ;   in Loop: Header=BB14_17 Depth=1
	v_cmp_ne_u16_e32 vcc, 0, v14
	s_andn2_b64 s[60:61], s[92:93], exec
	s_and_b64 vcc, vcc, exec
	v_mov_b32_e32 v64, 0
	s_or_b64 s[92:93], s[60:61], vcc
	s_or_b64 exec, exec, s[94:95]
	s_and_saveexec_b64 s[94:95], s[92:93]
	s_cbranch_execnz .LBB14_2166
	s_branch .LBB14_2167
.LBB14_3350:                            ;   in Loop: Header=BB14_17 Depth=1
	s_movk_i32 vcc_lo, 0x80
	v_cmp_eq_u16_e32 vcc, vcc_lo, v14
	s_mov_b64 s[66:67], -1
                                        ; implicit-def: $sgpr70
	s_and_saveexec_b64 s[60:61], vcc
; %bb.3351:                             ;   in Loop: Header=BB14_17 Depth=1
	s_mov_b32 s70, 0x7f800001
	s_xor_b64 s[66:67], exec, -1
; %bb.3352:                             ;   in Loop: Header=BB14_17 Depth=1
	s_or_b64 exec, exec, s[60:61]
	s_and_b64 s[66:67], s[66:67], exec
	s_or_saveexec_b64 s[68:69], s[68:69]
	v_mov_b32_e32 v66, s70
	s_xor_b64 exec, exec, s[68:69]
	s_cbranch_execz .LBB14_2265
.LBB14_3353:                            ;   in Loop: Header=BB14_17 Depth=1
	v_cmp_ne_u16_e32 vcc, 0, v14
	s_andn2_b64 s[60:61], s[66:67], exec
	s_and_b64 vcc, vcc, exec
	v_mov_b32_e32 v66, 0
	s_or_b64 s[66:67], s[60:61], vcc
	s_or_b64 exec, exec, s[68:69]
	s_and_saveexec_b64 s[68:69], s[66:67]
	s_cbranch_execnz .LBB14_2266
	s_branch .LBB14_2267
.LBB14_3354:                            ;   in Loop: Header=BB14_17 Depth=1
	s_movk_i32 vcc_lo, 0x80
	v_cmp_eq_u16_e32 vcc, vcc_lo, v14
	s_mov_b64 s[66:67], -1
                                        ; implicit-def: $sgpr70
	s_and_saveexec_b64 s[60:61], vcc
; %bb.3355:                             ;   in Loop: Header=BB14_17 Depth=1
	s_mov_b32 s70, 0x7f800001
	s_xor_b64 s[66:67], exec, -1
; %bb.3356:                             ;   in Loop: Header=BB14_17 Depth=1
	s_or_b64 exec, exec, s[60:61]
	s_and_b64 s[66:67], s[66:67], exec
	s_or_saveexec_b64 s[68:69], s[68:69]
	v_mov_b32_e32 v65, s70
	s_xor_b64 exec, exec, s[68:69]
	s_cbranch_execz .LBB14_2381
.LBB14_3357:                            ;   in Loop: Header=BB14_17 Depth=1
	v_cmp_ne_u16_e32 vcc, 0, v14
	s_andn2_b64 s[60:61], s[66:67], exec
	s_and_b64 vcc, vcc, exec
	v_mov_b32_e32 v65, 0
	s_or_b64 s[66:67], s[60:61], vcc
	s_or_b64 exec, exec, s[68:69]
	s_and_saveexec_b64 s[68:69], s[66:67]
	s_cbranch_execnz .LBB14_2382
	s_branch .LBB14_2383
.LBB14_3358:                            ;   in Loop: Header=BB14_17 Depth=1
	s_movk_i32 vcc_lo, 0x80
	v_cmp_eq_u16_e32 vcc, vcc_lo, v14
	s_mov_b64 s[66:67], -1
                                        ; implicit-def: $sgpr70
	s_and_saveexec_b64 s[60:61], vcc
; %bb.3359:                             ;   in Loop: Header=BB14_17 Depth=1
	s_mov_b32 s70, 0x7f800001
	s_xor_b64 s[66:67], exec, -1
; %bb.3360:                             ;   in Loop: Header=BB14_17 Depth=1
	s_or_b64 exec, exec, s[60:61]
	s_and_b64 s[66:67], s[66:67], exec
	s_or_saveexec_b64 s[68:69], s[68:69]
	v_mov_b32_e32 v66, s70
	s_xor_b64 exec, exec, s[68:69]
	s_cbranch_execz .LBB14_2481
.LBB14_3361:                            ;   in Loop: Header=BB14_17 Depth=1
	v_cmp_ne_u16_e32 vcc, 0, v14
	s_andn2_b64 s[60:61], s[66:67], exec
	s_and_b64 vcc, vcc, exec
	v_mov_b32_e32 v66, 0
	s_or_b64 s[66:67], s[60:61], vcc
	s_or_b64 exec, exec, s[68:69]
	s_and_saveexec_b64 s[68:69], s[66:67]
	s_cbranch_execnz .LBB14_2482
	s_branch .LBB14_2483
.LBB14_3362:                            ;   in Loop: Header=BB14_17 Depth=1
	v_cmp_gt_i16_sdwa vcc, v7, v19 src0_sel:BYTE_0 src1_sel:DWORD
	s_mov_b64 s[78:79], 0
                                        ; implicit-def: $sgpr80_sgpr81
                                        ; implicit-def: $sgpr86_sgpr87
                                        ; implicit-def: $vgpr66
	s_and_saveexec_b64 s[60:61], vcc
	s_xor_b64 s[92:93], exec, s[60:61]
	s_cbranch_execz .LBB14_3394
; %bb.3363:                             ;   in Loop: Header=BB14_17 Depth=1
	v_cmp_gt_i16_sdwa vcc, v7, v20 src0_sel:BYTE_0 src1_sel:DWORD
                                        ; implicit-def: $sgpr72_sgpr73
                                        ; implicit-def: $sgpr86_sgpr87
                                        ; implicit-def: $vgpr66
	s_and_saveexec_b64 s[60:61], vcc
	s_xor_b64 s[80:81], exec, s[60:61]
	s_cbranch_execz .LBB14_3379
; %bb.3364:                             ;   in Loop: Header=BB14_17 Depth=1
	v_cmp_gt_i16_sdwa s[60:61], v7, v21 src0_sel:BYTE_0 src1_sel:DWORD
	s_mov_b64 s[74:75], 0
                                        ; implicit-def: $vcc
                                        ; implicit-def: $sgpr86_sgpr87
                                        ; implicit-def: $vgpr66
	s_and_saveexec_b64 s[62:63], s[60:61]
	s_xor_b64 s[72:73], exec, s[62:63]
	s_cbranch_execz .LBB14_3374
; %bb.3365:                             ;   in Loop: Header=BB14_17 Depth=1
	v_cmp_gt_i16_sdwa vcc, v7, v22 src0_sel:BYTE_0 src1_sel:DWORD
                                        ; implicit-def: $sgpr86_sgpr87
                                        ; implicit-def: $sgpr74_sgpr75
                                        ; implicit-def: $vgpr66
	s_and_saveexec_b64 s[60:61], vcc
	s_xor_b64 vcc, exec, s[60:61]
	s_cbranch_execz .LBB14_3369
; %bb.3366:                             ;   in Loop: Header=BB14_17 Depth=1
	v_cmp_eq_u16_sdwa s[62:63], v7, v23 src0_sel:BYTE_0 src1_sel:DWORD
	s_mov_b64 s[86:87], 0
	s_mov_b64 s[66:67], 0
                                        ; implicit-def: $vgpr66
	s_and_saveexec_b64 s[60:61], s[62:63]
	s_cbranch_execz .LBB14_3368
; %bb.3367:                             ;   in Loop: Header=BB14_17 Depth=1
	flat_load_dword v14, v[14:15]
	s_mov_b64 s[66:67], exec
	s_waitcnt vmcnt(0) lgkmcnt(0)
	v_lshlrev_b32_e32 v66, 16, v14
.LBB14_3368:                            ;   in Loop: Header=BB14_17 Depth=1
	s_or_b64 exec, exec, s[60:61]
	s_mov_b64 s[74:75], -1
	s_and_b64 s[78:79], s[66:67], exec
                                        ; implicit-def: $vgpr14_vgpr15
.LBB14_3369:                            ;   in Loop: Header=BB14_17 Depth=1
	s_andn2_saveexec_b64 s[66:67], vcc
	s_cbranch_execz .LBB14_3373
; %bb.3370:                             ;   in Loop: Header=BB14_17 Depth=1
	v_cmp_eq_u16_sdwa s[60:61], v7, v24 src0_sel:BYTE_0 src1_sel:DWORD
	s_mov_b64 vcc, s[78:79]
                                        ; implicit-def: $vgpr66
	s_and_saveexec_b64 s[68:69], s[60:61]
	s_cbranch_execz .LBB14_3372
; %bb.3371:                             ;   in Loop: Header=BB14_17 Depth=1
	flat_load_ubyte v14, v[14:15]
	s_movk_i32 vcc_lo, 0xff
	s_waitcnt vmcnt(0) lgkmcnt(0)
	v_lshlrev_b32_e32 v15, 23, v14
	v_cmp_ne_u32_e32 vcc, vcc_lo, v14
	v_cndmask_b32_e32 v15, v25, v15, vcc
	v_cmp_ne_u32_e32 vcc, 0, v14
	v_cndmask_b32_e32 v66, v26, v15, vcc
	s_or_b64 vcc, s[78:79], exec
.LBB14_3372:                            ;   in Loop: Header=BB14_17 Depth=1
	s_or_b64 exec, exec, s[68:69]
	s_andn2_b64 s[60:61], s[78:79], exec
	s_and_b64 vcc, vcc, exec
	s_andn2_b64 s[86:87], s[86:87], exec
	s_or_b64 s[74:75], s[74:75], exec
	s_or_b64 s[78:79], s[60:61], vcc
.LBB14_3373:                            ;   in Loop: Header=BB14_17 Depth=1
	s_or_b64 exec, exec, s[66:67]
	s_and_b64 s[86:87], s[86:87], exec
	s_and_b64 vcc, s[74:75], exec
	s_and_b64 s[74:75], s[78:79], exec
                                        ; implicit-def: $vgpr14_vgpr15
.LBB14_3374:                            ;   in Loop: Header=BB14_17 Depth=1
	s_andn2_saveexec_b64 s[66:67], s[72:73]
	s_cbranch_execz .LBB14_3378
; %bb.3375:                             ;   in Loop: Header=BB14_17 Depth=1
	v_cmp_eq_u16_sdwa s[60:61], v7, v27 src0_sel:BYTE_0 src1_sel:DWORD
	s_mov_b64 s[70:71], s[74:75]
                                        ; implicit-def: $vgpr66
	s_and_saveexec_b64 s[68:69], s[60:61]
	s_cbranch_execz .LBB14_3377
; %bb.3376:                             ;   in Loop: Header=BB14_17 Depth=1
	flat_load_dwordx2 v[14:15], v[14:15]
	s_or_b64 s[70:71], s[74:75], exec
	s_waitcnt vmcnt(0) lgkmcnt(0)
	v_ffbh_u32_e32 v64, v15
	v_min_u32_e32 v64, 32, v64
	v_lshlrev_b64 v[14:15], v64, v[14:15]
	v_min_u32_e32 v14, 1, v14
	v_or_b32_e32 v14, v15, v14
	v_cvt_f32_u32_e32 v14, v14
	v_sub_u32_e32 v15, 32, v64
	v_ldexp_f32 v66, v14, v15
.LBB14_3377:                            ;   in Loop: Header=BB14_17 Depth=1
	s_or_b64 exec, exec, s[68:69]
	s_andn2_b64 s[60:61], s[74:75], exec
	s_and_b64 s[62:63], s[70:71], exec
	s_andn2_b64 s[86:87], s[86:87], exec
	s_or_b64 vcc, vcc, exec
	s_or_b64 s[74:75], s[60:61], s[62:63]
.LBB14_3378:                            ;   in Loop: Header=BB14_17 Depth=1
	s_or_b64 exec, exec, s[66:67]
	s_and_b64 s[86:87], s[86:87], exec
	s_and_b64 s[72:73], vcc, exec
	s_and_b64 s[78:79], s[74:75], exec
                                        ; implicit-def: $vgpr14_vgpr15
.LBB14_3379:                            ;   in Loop: Header=BB14_17 Depth=1
	s_andn2_saveexec_b64 s[80:81], s[80:81]
	s_cbranch_execz .LBB14_3393
; %bb.3380:                             ;   in Loop: Header=BB14_17 Depth=1
	v_cmp_gt_i16_sdwa vcc, v7, v28 src0_sel:BYTE_0 src1_sel:DWORD
                                        ; implicit-def: $vgpr66
	s_and_saveexec_b64 s[60:61], vcc
	s_xor_b64 vcc, exec, s[60:61]
	s_cbranch_execz .LBB14_3386
; %bb.3381:                             ;   in Loop: Header=BB14_17 Depth=1
	v_cmp_gt_i16_sdwa s[60:61], v7, v29 src0_sel:BYTE_0 src1_sel:DWORD
                                        ; implicit-def: $vgpr66
	s_and_saveexec_b64 s[62:63], s[60:61]
	s_xor_b64 s[60:61], exec, s[62:63]
	s_cbranch_execz .LBB14_3383
; %bb.3382:                             ;   in Loop: Header=BB14_17 Depth=1
	flat_load_dword v14, v[14:15]
	s_waitcnt vmcnt(0) lgkmcnt(0)
	v_cvt_f32_u32_e32 v66, v14
                                        ; implicit-def: $vgpr14_vgpr15
.LBB14_3383:                            ;   in Loop: Header=BB14_17 Depth=1
	s_andn2_saveexec_b64 s[60:61], s[60:61]
	s_cbranch_execz .LBB14_3385
; %bb.3384:                             ;   in Loop: Header=BB14_17 Depth=1
	flat_load_ushort v14, v[14:15]
	s_waitcnt vmcnt(0) lgkmcnt(0)
	v_cvt_f32_u32_e32 v66, v14
.LBB14_3385:                            ;   in Loop: Header=BB14_17 Depth=1
	s_or_b64 exec, exec, s[60:61]
                                        ; implicit-def: $vgpr14_vgpr15
.LBB14_3386:                            ;   in Loop: Header=BB14_17 Depth=1
	s_andn2_saveexec_b64 s[74:75], vcc
	s_cbranch_execz .LBB14_3392
; %bb.3387:                             ;   in Loop: Header=BB14_17 Depth=1
	flat_load_ubyte v14, v[14:15]
	s_movk_i32 vcc_lo, 0x7f
	s_mov_b64 s[66:67], 0
                                        ; implicit-def: $sgpr70
	s_waitcnt vmcnt(0) lgkmcnt(0)
	v_cmp_lt_i16_e32 vcc, vcc_lo, v14
	s_and_saveexec_b64 s[60:61], vcc
	s_xor_b64 s[68:69], exec, s[60:61]
	s_cbranch_execnz .LBB14_3630
; %bb.3388:                             ;   in Loop: Header=BB14_17 Depth=1
	s_or_saveexec_b64 s[68:69], s[68:69]
	v_mov_b32_e32 v66, s70
	s_xor_b64 exec, exec, s[68:69]
	s_cbranch_execnz .LBB14_3633
.LBB14_3389:                            ;   in Loop: Header=BB14_17 Depth=1
	s_or_b64 exec, exec, s[68:69]
	s_and_saveexec_b64 s[68:69], s[66:67]
	s_cbranch_execz .LBB14_3391
.LBB14_3390:                            ;   in Loop: Header=BB14_17 Depth=1
	v_lshlrev_b32_e32 v15, 24, v14
	v_and_b32_e32 v14, 0xffff, v14
	v_and_b32_e32 v64, 7, v14
	v_ffbh_u32_e32 v67, v64
	v_min_u32_e32 v67, 32, v67
	v_subrev_u32_e32 v68, 28, v67
	v_bfe_u32 v66, v14, 3, 4
	v_lshlrev_b32_e32 v14, v68, v14
	v_sub_u32_e32 v67, 29, v67
	v_and_b32_e32 v14, 7, v14
	v_cmp_eq_u32_e32 vcc, 0, v66
	v_cndmask_b32_e32 v66, v66, v67, vcc
	v_cndmask_b32_e32 v14, v64, v14, vcc
	v_lshlrev_b32_e32 v14, 20, v14
	v_and_b32_e32 v15, 0x80000000, v15
	v_lshl_add_u32 v64, v66, 23, v30
	v_or3_b32 v66, v15, v64, v14
.LBB14_3391:                            ;   in Loop: Header=BB14_17 Depth=1
	s_or_b64 exec, exec, s[68:69]
.LBB14_3392:                            ;   in Loop: Header=BB14_17 Depth=1
	s_or_b64 exec, exec, s[74:75]
	s_andn2_b64 s[86:87], s[86:87], exec
	s_andn2_b64 s[72:73], s[72:73], exec
	s_or_b64 s[78:79], s[78:79], exec
.LBB14_3393:                            ;   in Loop: Header=BB14_17 Depth=1
	s_or_b64 exec, exec, s[80:81]
	s_and_b64 s[86:87], s[86:87], exec
	s_and_b64 s[80:81], s[72:73], exec
	;; [unrolled: 1-line block ×3, first 2 shown]
                                        ; implicit-def: $vgpr14_vgpr15
.LBB14_3394:                            ;   in Loop: Header=BB14_17 Depth=1
	s_andn2_saveexec_b64 s[92:93], s[92:93]
	s_cbranch_execz .LBB14_3420
; %bb.3395:                             ;   in Loop: Header=BB14_17 Depth=1
	v_cmp_gt_i16_sdwa vcc, v7, v31 src0_sel:BYTE_0 src1_sel:DWORD
	s_mov_b64 s[74:75], s[78:79]
                                        ; implicit-def: $vgpr66
	s_and_saveexec_b64 s[60:61], vcc
	s_xor_b64 s[72:73], exec, s[60:61]
	s_cbranch_execz .LBB14_3409
; %bb.3396:                             ;   in Loop: Header=BB14_17 Depth=1
	v_cmp_gt_i16_sdwa vcc, v7, v32 src0_sel:BYTE_0 src1_sel:DWORD
                                        ; implicit-def: $vgpr66
	s_and_saveexec_b64 s[60:61], vcc
	s_xor_b64 s[62:63], exec, s[60:61]
	s_cbranch_execz .LBB14_3406
; %bb.3397:                             ;   in Loop: Header=BB14_17 Depth=1
	v_cmp_gt_i16_sdwa vcc, v7, v33 src0_sel:BYTE_0 src1_sel:DWORD
                                        ; implicit-def: $vgpr66
	s_and_saveexec_b64 s[60:61], vcc
	s_xor_b64 s[74:75], exec, s[60:61]
	s_cbranch_execz .LBB14_3403
; %bb.3398:                             ;   in Loop: Header=BB14_17 Depth=1
	flat_load_ubyte v14, v[14:15]
	s_movk_i32 vcc_lo, 0x7f
	s_mov_b64 s[66:67], 0
                                        ; implicit-def: $sgpr70
	s_waitcnt vmcnt(0) lgkmcnt(0)
	v_cmp_lt_i16_e32 vcc, vcc_lo, v14
	s_and_saveexec_b64 s[60:61], vcc
	s_xor_b64 s[68:69], exec, s[60:61]
	s_cbranch_execnz .LBB14_3638
; %bb.3399:                             ;   in Loop: Header=BB14_17 Depth=1
	s_or_saveexec_b64 s[68:69], s[68:69]
	v_mov_b32_e32 v66, s70
	s_xor_b64 exec, exec, s[68:69]
	s_cbranch_execnz .LBB14_3641
.LBB14_3400:                            ;   in Loop: Header=BB14_17 Depth=1
	s_or_b64 exec, exec, s[68:69]
	s_and_saveexec_b64 s[68:69], s[66:67]
	s_cbranch_execz .LBB14_3402
.LBB14_3401:                            ;   in Loop: Header=BB14_17 Depth=1
	v_lshlrev_b32_e32 v15, 24, v14
	v_and_b32_e32 v14, 0xffff, v14
	v_and_b32_e32 v64, 3, v14
	v_ffbh_u32_e32 v67, v64
	v_min_u32_e32 v67, 32, v67
	v_subrev_u32_e32 v68, 29, v67
	v_bfe_u32 v66, v14, 2, 5
	v_lshlrev_b32_e32 v14, v68, v14
	v_sub_u32_e32 v67, 30, v67
	v_and_b32_e32 v14, 3, v14
	v_cmp_eq_u32_e32 vcc, 0, v66
	v_cndmask_b32_e32 v66, v66, v67, vcc
	v_cndmask_b32_e32 v14, v64, v14, vcc
	v_lshlrev_b32_e32 v14, 21, v14
	v_and_b32_e32 v15, 0x80000000, v15
	v_lshl_add_u32 v64, v66, 23, v34
	v_or3_b32 v66, v15, v64, v14
.LBB14_3402:                            ;   in Loop: Header=BB14_17 Depth=1
	s_or_b64 exec, exec, s[68:69]
                                        ; implicit-def: $vgpr14_vgpr15
.LBB14_3403:                            ;   in Loop: Header=BB14_17 Depth=1
	s_andn2_saveexec_b64 s[66:67], s[74:75]
	s_cbranch_execz .LBB14_3405
; %bb.3404:                             ;   in Loop: Header=BB14_17 Depth=1
	flat_load_ubyte v14, v[14:15]
	s_mov_b32 vcc_lo, 0x7f800000
	s_waitcnt vmcnt(0) lgkmcnt(0)
	v_lshlrev_b32_e32 v14, 24, v14
	v_and_b32_e32 v15, 0x7f000000, v14
	v_ffbh_u32_e32 v64, v15
	v_min_u32_e32 v64, 32, v64
	v_sub_u32_e64 v64, v64, 4 clamp
	v_lshlrev_b32_e32 v67, v64, v15
	v_lshlrev_b32_e32 v64, 23, v64
	v_lshrrev_b32_e32 v67, 4, v67
	v_add_u32_e32 v66, 0x1000000, v15
	v_sub_u32_e32 v64, v67, v64
	v_ashrrev_i32_e32 v66, 8, v66
	v_add_u32_e32 v64, 0x3c000000, v64
	v_and_or_b32 v64, v66, vcc_lo, v64
	v_cmp_ne_u32_e32 vcc, 0, v15
	v_cndmask_b32_e32 v15, 0, v64, vcc
	s_brev_b32 vcc_lo, 1
	v_and_or_b32 v66, v14, vcc_lo, v15
.LBB14_3405:                            ;   in Loop: Header=BB14_17 Depth=1
	s_or_b64 exec, exec, s[66:67]
                                        ; implicit-def: $vgpr14_vgpr15
.LBB14_3406:                            ;   in Loop: Header=BB14_17 Depth=1
	s_andn2_saveexec_b64 s[66:67], s[62:63]
	s_cbranch_execz .LBB14_3408
; %bb.3407:                             ;   in Loop: Header=BB14_17 Depth=1
	flat_load_ubyte v14, v[14:15]
	s_movk_i32 vcc_lo, 0x7f00
	s_waitcnt vmcnt(0) lgkmcnt(0)
	v_lshlrev_b16_e32 v15, 8, v14
	v_lshlrev_b32_e32 v14, 25, v14
	v_lshrrev_b32_e32 v64, 4, v14
	v_and_or_b32 v66, v15, vcc_lo, 0.5
	v_or_b32_e32 v64, 0x70000000, v64
	s_brev_b32 vcc_lo, 16
	v_add_f32_e32 v66, -0.5, v66
	v_mul_f32_e32 v64, 0x7800000, v64
	v_cmp_gt_u32_e32 vcc, vcc_lo, v14
	v_cndmask_b32_e32 v14, v64, v66, vcc
	v_bfe_i32 v15, v15, 0, 16
	s_brev_b32 vcc_lo, 1
	v_and_or_b32 v66, v15, vcc_lo, v14
.LBB14_3408:                            ;   in Loop: Header=BB14_17 Depth=1
	s_or_b64 exec, exec, s[66:67]
	s_or_b64 s[74:75], s[78:79], exec
                                        ; implicit-def: $vgpr14_vgpr15
.LBB14_3409:                            ;   in Loop: Header=BB14_17 Depth=1
	s_or_saveexec_b64 s[72:73], s[72:73]
                                        ; implicit-def: $vcc
                                        ; implicit-def: $sgpr68_sgpr69
	s_xor_b64 exec, exec, s[72:73]
	s_cbranch_execz .LBB14_3419
; %bb.3410:                             ;   in Loop: Header=BB14_17 Depth=1
	v_cmp_gt_i16_sdwa vcc, v7, v35 src0_sel:BYTE_0 src1_sel:DWORD
	s_mov_b64 s[66:67], s[74:75]
                                        ; implicit-def: $sgpr68_sgpr69
                                        ; implicit-def: $sgpr76_sgpr77
                                        ; implicit-def: $vgpr66
	s_and_saveexec_b64 s[60:61], vcc
	s_xor_b64 vcc, exec, s[60:61]
	s_cbranch_execz .LBB14_3414
; %bb.3411:                             ;   in Loop: Header=BB14_17 Depth=1
	v_cmp_eq_u16_sdwa s[62:63], v7, v36 src0_sel:BYTE_0 src1_sel:DWORD
	s_mov_b64 s[66:67], s[74:75]
                                        ; implicit-def: $vgpr66
	s_and_saveexec_b64 s[60:61], s[62:63]
	s_cbranch_execz .LBB14_3413
; %bb.3412:                             ;   in Loop: Header=BB14_17 Depth=1
	flat_load_ushort v14, v[14:15]
	s_or_b64 s[66:67], s[74:75], exec
	s_waitcnt vmcnt(0) lgkmcnt(0)
	v_lshlrev_b32_e32 v66, 16, v14
.LBB14_3413:                            ;   in Loop: Header=BB14_17 Depth=1
	s_or_b64 exec, exec, s[60:61]
	s_andn2_b64 s[60:61], s[74:75], exec
	s_and_b64 s[62:63], s[66:67], exec
	s_mov_b64 s[76:77], -1
	s_mov_b64 s[68:69], 0
	s_or_b64 s[66:67], s[60:61], s[62:63]
                                        ; implicit-def: $vgpr14_vgpr15
.LBB14_3414:                            ;   in Loop: Header=BB14_17 Depth=1
	s_andn2_saveexec_b64 s[70:71], vcc
	s_cbranch_execz .LBB14_3418
; %bb.3415:                             ;   in Loop: Header=BB14_17 Depth=1
	v_cmp_eq_u16_sdwa s[62:63], v7, v37 src0_sel:BYTE_0 src1_sel:DWORD
	s_mov_b64 vcc, s[66:67]
                                        ; implicit-def: $vgpr66
	s_and_saveexec_b64 s[60:61], s[62:63]
	s_cbranch_execz .LBB14_3417
; %bb.3416:                             ;   in Loop: Header=BB14_17 Depth=1
	flat_load_ubyte v14, v[14:15]
	s_waitcnt vmcnt(0) lgkmcnt(0)
	v_cmp_ne_u16_e32 vcc, 0, v14
	v_cndmask_b32_e64 v66, 0, 1.0, vcc
	s_or_b64 vcc, s[66:67], exec
.LBB14_3417:                            ;   in Loop: Header=BB14_17 Depth=1
	s_or_b64 exec, exec, s[60:61]
	s_andn2_b64 s[60:61], s[66:67], exec
	s_and_b64 vcc, vcc, exec
	s_andn2_b64 s[68:69], s[68:69], exec
	s_or_b64 s[76:77], s[76:77], exec
	s_or_b64 s[66:67], s[60:61], vcc
.LBB14_3418:                            ;   in Loop: Header=BB14_17 Depth=1
	s_or_b64 exec, exec, s[70:71]
	s_andn2_b64 s[60:61], s[74:75], exec
	s_and_b64 s[62:63], s[66:67], exec
	s_and_b64 s[68:69], s[68:69], exec
	s_and_b64 vcc, s[76:77], exec
	s_or_b64 s[74:75], s[60:61], s[62:63]
.LBB14_3419:                            ;   in Loop: Header=BB14_17 Depth=1
	s_or_b64 exec, exec, s[72:73]
	s_andn2_b64 s[60:61], s[86:87], exec
	s_and_b64 s[62:63], s[68:69], exec
	s_or_b64 s[86:87], s[60:61], s[62:63]
	s_andn2_b64 s[60:61], s[80:81], exec
	s_and_b64 vcc, vcc, exec
	s_or_b64 s[80:81], s[60:61], vcc
	s_andn2_b64 vcc, s[78:79], exec
	s_and_b64 s[60:61], s[74:75], exec
	s_or_b64 s[78:79], vcc, s[60:61]
.LBB14_3420:                            ;   in Loop: Header=BB14_17 Depth=1
	s_or_b64 exec, exec, s[92:93]
	s_and_b64 s[92:93], s[86:87], exec
	s_and_b64 s[76:77], s[80:81], exec
	s_and_b64 vcc, s[78:79], exec
                                        ; implicit-def: $vgpr14_vgpr15
	s_andn2_saveexec_b64 s[78:79], s[84:85]
	s_cbranch_execz .LBB14_3345
.LBB14_3421:                            ;   in Loop: Header=BB14_17 Depth=1
	v_cmp_gt_i16_sdwa s[60:61], v7, v38 src0_sel:BYTE_0 src1_sel:DWORD
                                        ; implicit-def: $vgpr66
	s_and_saveexec_b64 s[62:63], s[60:61]
	s_xor_b64 s[72:73], exec, s[62:63]
	s_cbranch_execz .LBB14_3443
; %bb.3422:                             ;   in Loop: Header=BB14_17 Depth=1
	v_cmp_gt_i16_sdwa s[60:61], v7, v39 src0_sel:BYTE_0 src1_sel:DWORD
                                        ; implicit-def: $vgpr66
	s_and_saveexec_b64 s[62:63], s[60:61]
	s_xor_b64 s[66:67], exec, s[62:63]
	s_cbranch_execz .LBB14_3432
; %bb.3423:                             ;   in Loop: Header=BB14_17 Depth=1
	;; [unrolled: 6-line block ×4, first 2 shown]
	flat_load_dwordx2 v[14:15], v[14:15]
	s_waitcnt vmcnt(0) lgkmcnt(0)
	v_cvt_f32_f64_e32 v66, v[14:15]
                                        ; implicit-def: $vgpr14_vgpr15
.LBB14_3426:                            ;   in Loop: Header=BB14_17 Depth=1
	s_andn2_saveexec_b64 s[60:61], s[60:61]
	s_cbranch_execz .LBB14_3428
; %bb.3427:                             ;   in Loop: Header=BB14_17 Depth=1
	flat_load_dword v66, v[14:15]
.LBB14_3428:                            ;   in Loop: Header=BB14_17 Depth=1
	s_or_b64 exec, exec, s[60:61]
                                        ; implicit-def: $vgpr14_vgpr15
.LBB14_3429:                            ;   in Loop: Header=BB14_17 Depth=1
	s_andn2_saveexec_b64 s[60:61], s[68:69]
	s_cbranch_execz .LBB14_3431
; %bb.3430:                             ;   in Loop: Header=BB14_17 Depth=1
	flat_load_dword v14, v[14:15]
	s_waitcnt vmcnt(0) lgkmcnt(0)
	v_cvt_f32_f16_e32 v66, v14
.LBB14_3431:                            ;   in Loop: Header=BB14_17 Depth=1
	s_or_b64 exec, exec, s[60:61]
                                        ; implicit-def: $vgpr14_vgpr15
.LBB14_3432:                            ;   in Loop: Header=BB14_17 Depth=1
	s_andn2_saveexec_b64 s[66:67], s[66:67]
	s_cbranch_execz .LBB14_3442
; %bb.3433:                             ;   in Loop: Header=BB14_17 Depth=1
	v_cmp_gt_i16_sdwa s[60:61], v7, v50 src0_sel:BYTE_0 src1_sel:DWORD
                                        ; implicit-def: $vgpr66
	s_and_saveexec_b64 s[62:63], s[60:61]
	s_xor_b64 s[68:69], exec, s[62:63]
	s_cbranch_execz .LBB14_3439
; %bb.3434:                             ;   in Loop: Header=BB14_17 Depth=1
	v_cmp_gt_i16_sdwa s[60:61], v7, v51 src0_sel:BYTE_0 src1_sel:DWORD
                                        ; implicit-def: $vgpr66
	s_and_saveexec_b64 s[62:63], s[60:61]
	s_xor_b64 s[60:61], exec, s[62:63]
	s_cbranch_execz .LBB14_3436
; %bb.3435:                             ;   in Loop: Header=BB14_17 Depth=1
	flat_load_dwordx2 v[14:15], v[14:15]
	s_waitcnt vmcnt(0) lgkmcnt(0)
	v_cvt_f32_f64_e32 v66, v[14:15]
                                        ; implicit-def: $vgpr14_vgpr15
.LBB14_3436:                            ;   in Loop: Header=BB14_17 Depth=1
	s_andn2_saveexec_b64 s[60:61], s[60:61]
	s_cbranch_execz .LBB14_3438
; %bb.3437:                             ;   in Loop: Header=BB14_17 Depth=1
	s_waitcnt vmcnt(0) lgkmcnt(0)
	flat_load_dword v66, v[14:15]
.LBB14_3438:                            ;   in Loop: Header=BB14_17 Depth=1
	s_or_b64 exec, exec, s[60:61]
                                        ; implicit-def: $vgpr14_vgpr15
.LBB14_3439:                            ;   in Loop: Header=BB14_17 Depth=1
	s_andn2_saveexec_b64 s[60:61], s[68:69]
	s_cbranch_execz .LBB14_3441
; %bb.3440:                             ;   in Loop: Header=BB14_17 Depth=1
	flat_load_ushort v14, v[14:15]
	s_waitcnt vmcnt(0) lgkmcnt(0)
	v_cvt_f32_f16_e32 v66, v14
.LBB14_3441:                            ;   in Loop: Header=BB14_17 Depth=1
	s_or_b64 exec, exec, s[60:61]
.LBB14_3442:                            ;   in Loop: Header=BB14_17 Depth=1
	s_or_b64 exec, exec, s[66:67]
                                        ; implicit-def: $vgpr14_vgpr15
.LBB14_3443:                            ;   in Loop: Header=BB14_17 Depth=1
	s_andn2_saveexec_b64 s[72:73], s[72:73]
	s_cbranch_execz .LBB14_3461
; %bb.3444:                             ;   in Loop: Header=BB14_17 Depth=1
	v_cmp_gt_i16_sdwa s[60:61], v7, v52 src0_sel:BYTE_0 src1_sel:DWORD
                                        ; implicit-def: $vgpr66
	s_and_saveexec_b64 s[62:63], s[60:61]
	s_xor_b64 s[74:75], exec, s[62:63]
	s_cbranch_execz .LBB14_3454
; %bb.3445:                             ;   in Loop: Header=BB14_17 Depth=1
	v_cmp_gt_i16_sdwa s[60:61], v7, v53 src0_sel:BYTE_0 src1_sel:DWORD
                                        ; implicit-def: $vgpr66
	s_and_saveexec_b64 s[62:63], s[60:61]
	s_xor_b64 s[66:67], exec, s[62:63]
	s_cbranch_execz .LBB14_3451
; %bb.3446:                             ;   in Loop: Header=BB14_17 Depth=1
	v_cmp_gt_i16_sdwa s[60:61], v7, v54 src0_sel:BYTE_0 src1_sel:DWORD
                                        ; implicit-def: $vgpr66
	s_and_saveexec_b64 s[62:63], s[60:61]
	s_xor_b64 s[68:69], exec, s[62:63]
	s_cbranch_execz .LBB14_3448
; %bb.3447:                             ;   in Loop: Header=BB14_17 Depth=1
	flat_load_dwordx2 v[14:15], v[14:15]
	s_waitcnt vmcnt(0) lgkmcnt(0)
	v_xor_b32_e32 v66, v14, v15
	v_ffbh_i32_e32 v64, v15
	v_ashrrev_i32_e32 v66, 31, v66
	v_add_u32_e32 v64, -1, v64
	v_add_u32_e32 v66, 32, v66
	v_min_u32_e32 v64, v64, v66
	v_lshlrev_b64 v[14:15], v64, v[14:15]
	v_min_u32_e32 v14, 1, v14
	v_or_b32_e32 v14, v15, v14
	v_cvt_f32_i32_e32 v14, v14
	v_sub_u32_e32 v15, 32, v64
	v_ldexp_f32 v66, v14, v15
                                        ; implicit-def: $vgpr14_vgpr15
.LBB14_3448:                            ;   in Loop: Header=BB14_17 Depth=1
	s_andn2_saveexec_b64 s[60:61], s[68:69]
	s_cbranch_execz .LBB14_3450
; %bb.3449:                             ;   in Loop: Header=BB14_17 Depth=1
	flat_load_dword v14, v[14:15]
	s_waitcnt vmcnt(0) lgkmcnt(0)
	v_cvt_f32_i32_e32 v66, v14
.LBB14_3450:                            ;   in Loop: Header=BB14_17 Depth=1
	s_or_b64 exec, exec, s[60:61]
                                        ; implicit-def: $vgpr14_vgpr15
.LBB14_3451:                            ;   in Loop: Header=BB14_17 Depth=1
	s_andn2_saveexec_b64 s[60:61], s[66:67]
	s_cbranch_execz .LBB14_3453
; %bb.3452:                             ;   in Loop: Header=BB14_17 Depth=1
	flat_load_sshort v14, v[14:15]
	s_waitcnt vmcnt(0) lgkmcnt(0)
	v_cvt_f32_i32_e32 v66, v14
.LBB14_3453:                            ;   in Loop: Header=BB14_17 Depth=1
	s_or_b64 exec, exec, s[60:61]
                                        ; implicit-def: $vgpr14_vgpr15
.LBB14_3454:                            ;   in Loop: Header=BB14_17 Depth=1
	s_andn2_saveexec_b64 s[66:67], s[74:75]
	s_cbranch_execz .LBB14_3460
; %bb.3455:                             ;   in Loop: Header=BB14_17 Depth=1
	v_cmp_gt_i16_sdwa s[60:61], v7, v16 src0_sel:BYTE_0 src1_sel:DWORD
                                        ; implicit-def: $vgpr66
	s_and_saveexec_b64 s[62:63], s[60:61]
	s_xor_b64 s[60:61], exec, s[62:63]
	s_cbranch_execz .LBB14_3457
; %bb.3456:                             ;   in Loop: Header=BB14_17 Depth=1
	flat_load_sbyte v14, v[14:15]
	s_waitcnt vmcnt(0) lgkmcnt(0)
	v_cvt_f32_i32_e32 v66, v14
                                        ; implicit-def: $vgpr14_vgpr15
.LBB14_3457:                            ;   in Loop: Header=BB14_17 Depth=1
	s_andn2_saveexec_b64 s[60:61], s[60:61]
	s_cbranch_execz .LBB14_3459
; %bb.3458:                             ;   in Loop: Header=BB14_17 Depth=1
	flat_load_ubyte v14, v[14:15]
	s_waitcnt vmcnt(0) lgkmcnt(0)
	v_cvt_f32_ubyte0_e32 v66, v14
.LBB14_3459:                            ;   in Loop: Header=BB14_17 Depth=1
	s_or_b64 exec, exec, s[60:61]
.LBB14_3460:                            ;   in Loop: Header=BB14_17 Depth=1
	s_or_b64 exec, exec, s[66:67]
.LBB14_3461:                            ;   in Loop: Header=BB14_17 Depth=1
	s_or_b64 exec, exec, s[72:73]
	s_andn2_b64 s[92:93], s[92:93], exec
	s_andn2_b64 s[76:77], s[76:77], exec
	s_or_b64 vcc, vcc, exec
	s_or_b64 exec, exec, s[78:79]
	s_mov_b64 s[70:71], 0
	s_and_saveexec_b64 s[84:85], vcc
	s_cbranch_execz .LBB14_3467
.LBB14_3462:                            ;   in Loop: Header=BB14_17 Depth=1
	v_mul_lo_u32 v14, v65, v10
	v_readlane_b32 s60, v44, 0
	v_add_co_u32_e32 v14, vcc, v4, v14
	v_add_u32_e32 v64, s60, v17
	v_addc_co_u32_e32 v15, vcc, 0, v5, vcc
	v_cmp_gt_i16_sdwa s[60:61], v8, v18 src0_sel:BYTE_0 src1_sel:DWORD
	s_mov_b64 s[78:79], 0
	s_waitcnt vmcnt(0) lgkmcnt(0)
	buffer_store_dword v66, v64, s[0:3], 0 offen offset:124
                                        ; implicit-def: $vcc
                                        ; implicit-def: $sgpr86_sgpr87
                                        ; implicit-def: $vgpr65
	s_and_saveexec_b64 s[62:63], s[60:61]
	s_xor_b64 s[62:63], exec, s[62:63]
	s_cbranch_execnz .LBB14_3486
; %bb.3463:                             ;   in Loop: Header=BB14_17 Depth=1
	s_andn2_saveexec_b64 s[80:81], s[62:63]
	s_cbranch_execnz .LBB14_3545
.LBB14_3464:                            ;   in Loop: Header=BB14_17 Depth=1
	s_or_b64 exec, exec, s[80:81]
	s_mov_b64 s[66:67], 0
	s_and_saveexec_b64 s[68:69], s[78:79]
	s_cbranch_execz .LBB14_3466
.LBB14_3465:                            ;   in Loop: Header=BB14_17 Depth=1
	s_mov_b64 s[66:67], exec
	v_add_u32_e32 v55, 0x200, v55
	s_andn2_b64 s[86:87], s[86:87], exec
	s_andn2_b64 vcc, vcc, exec
	s_waitcnt vmcnt(0) lgkmcnt(0)
	buffer_store_dword v65, v64, s[0:3], 0 offen offset:120
.LBB14_3466:                            ;   in Loop: Header=BB14_17 Depth=1
	s_or_b64 exec, exec, s[68:69]
	s_andn2_b64 s[60:61], s[92:93], exec
	s_and_b64 s[62:63], s[86:87], exec
	s_or_b64 s[92:93], s[60:61], s[62:63]
	s_andn2_b64 s[60:61], s[76:77], exec
	s_and_b64 vcc, vcc, exec
	s_or_b64 s[76:77], s[60:61], vcc
	s_and_b64 s[70:71], s[66:67], exec
.LBB14_3467:                            ;   in Loop: Header=BB14_17 Depth=1
	s_or_b64 exec, exec, s[84:85]
	s_and_b64 s[68:69], s[92:93], exec
	s_and_b64 s[66:67], s[76:77], exec
	s_orn2_b64 s[70:71], s[70:71], exec
.LBB14_3468:                            ;   in Loop: Header=BB14_17 Depth=1
	s_or_b64 exec, exec, s[90:91]
	s_and_saveexec_b64 vcc, s[70:71]
	s_cbranch_execz .LBB14_1
; %bb.3469:                             ;   in Loop: Header=BB14_17 Depth=1
	v_readlane_b32 s60, v44, 0
	s_addk_i32 s60, 0x80
	s_cmpk_eq_i32 s60, 0x100
	v_writelane_b32 v44, s60, 0
	s_cselect_b64 s[60:61], -1, 0
	s_orn2_b64 s[60:61], s[60:61], exec
	s_andn2_b64 s[68:69], s[68:69], exec
	s_andn2_b64 s[66:67], s[66:67], exec
	v_writelane_b32 v44, s60, 46
	v_writelane_b32 v44, s61, 47
	s_branch .LBB14_1
.LBB14_3470:                            ;   in Loop: Header=BB14_17 Depth=1
	s_movk_i32 vcc_lo, 0x80
	v_cmp_eq_u16_e32 vcc, vcc_lo, v14
	s_mov_b64 s[66:67], -1
                                        ; implicit-def: $sgpr70
	s_and_saveexec_b64 s[60:61], vcc
; %bb.3471:                             ;   in Loop: Header=BB14_17 Depth=1
	s_mov_b32 s70, 0x7f800001
	s_xor_b64 s[66:67], exec, -1
; %bb.3472:                             ;   in Loop: Header=BB14_17 Depth=1
	s_or_b64 exec, exec, s[60:61]
	s_and_b64 s[66:67], s[66:67], exec
	s_or_saveexec_b64 s[68:69], s[68:69]
	v_mov_b32_e32 v65, s70
	s_xor_b64 exec, exec, s[68:69]
	s_cbranch_execz .LBB14_2392
.LBB14_3473:                            ;   in Loop: Header=BB14_17 Depth=1
	v_cmp_ne_u16_e32 vcc, 0, v14
	s_andn2_b64 s[60:61], s[66:67], exec
	s_and_b64 vcc, vcc, exec
	v_mov_b32_e32 v65, 0
	s_or_b64 s[66:67], s[60:61], vcc
	s_or_b64 exec, exec, s[68:69]
	s_and_saveexec_b64 s[68:69], s[66:67]
	s_cbranch_execnz .LBB14_2393
	s_branch .LBB14_2394
.LBB14_3474:                            ;   in Loop: Header=BB14_17 Depth=1
	s_movk_i32 vcc_lo, 0x80
	v_cmp_eq_u16_e32 vcc, vcc_lo, v14
	s_mov_b64 s[66:67], -1
                                        ; implicit-def: $sgpr70
	s_and_saveexec_b64 s[60:61], vcc
; %bb.3475:                             ;   in Loop: Header=BB14_17 Depth=1
	s_mov_b32 s70, 0x7f800001
	s_xor_b64 s[66:67], exec, -1
; %bb.3476:                             ;   in Loop: Header=BB14_17 Depth=1
	s_or_b64 exec, exec, s[60:61]
	s_and_b64 s[66:67], s[66:67], exec
	s_or_saveexec_b64 s[68:69], s[68:69]
	v_mov_b32_e32 v66, s70
	s_xor_b64 exec, exec, s[68:69]
	s_cbranch_execz .LBB14_2492
.LBB14_3477:                            ;   in Loop: Header=BB14_17 Depth=1
	v_cmp_ne_u16_e32 vcc, 0, v14
	s_andn2_b64 s[60:61], s[66:67], exec
	s_and_b64 vcc, vcc, exec
	v_mov_b32_e32 v66, 0
	s_or_b64 s[66:67], s[60:61], vcc
	s_or_b64 exec, exec, s[68:69]
	s_and_saveexec_b64 s[68:69], s[66:67]
	s_cbranch_execnz .LBB14_2493
	s_branch .LBB14_2494
.LBB14_3478:                            ;   in Loop: Header=BB14_17 Depth=1
	s_movk_i32 vcc_lo, 0x80
	v_cmp_eq_u16_e32 vcc, vcc_lo, v14
	s_mov_b64 s[66:67], -1
                                        ; implicit-def: $sgpr70
	s_and_saveexec_b64 s[60:61], vcc
; %bb.3479:                             ;   in Loop: Header=BB14_17 Depth=1
	s_mov_b32 s70, 0x7f800001
	s_xor_b64 s[66:67], exec, -1
; %bb.3480:                             ;   in Loop: Header=BB14_17 Depth=1
	s_or_b64 exec, exec, s[60:61]
	s_and_b64 s[66:67], s[66:67], exec
	s_or_saveexec_b64 s[68:69], s[68:69]
	v_mov_b32_e32 v65, s70
	s_xor_b64 exec, exec, s[68:69]
	s_cbranch_execz .LBB14_2608
.LBB14_3481:                            ;   in Loop: Header=BB14_17 Depth=1
	v_cmp_ne_u16_e32 vcc, 0, v14
	s_andn2_b64 s[60:61], s[66:67], exec
	s_and_b64 vcc, vcc, exec
	v_mov_b32_e32 v65, 0
	s_or_b64 s[66:67], s[60:61], vcc
	s_or_b64 exec, exec, s[68:69]
	s_and_saveexec_b64 s[68:69], s[66:67]
	s_cbranch_execnz .LBB14_2609
	s_branch .LBB14_2610
.LBB14_3482:                            ;   in Loop: Header=BB14_17 Depth=1
	s_movk_i32 vcc_lo, 0x80
	v_cmp_eq_u16_e32 vcc, vcc_lo, v14
	s_mov_b64 s[66:67], -1
                                        ; implicit-def: $sgpr70
	s_and_saveexec_b64 s[60:61], vcc
; %bb.3483:                             ;   in Loop: Header=BB14_17 Depth=1
	s_mov_b32 s70, 0x7f800001
	s_xor_b64 s[66:67], exec, -1
; %bb.3484:                             ;   in Loop: Header=BB14_17 Depth=1
	s_or_b64 exec, exec, s[60:61]
	s_and_b64 s[66:67], s[66:67], exec
	s_or_saveexec_b64 s[68:69], s[68:69]
	v_mov_b32_e32 v66, s70
	s_xor_b64 exec, exec, s[68:69]
	s_cbranch_execz .LBB14_2708
.LBB14_3485:                            ;   in Loop: Header=BB14_17 Depth=1
	v_cmp_ne_u16_e32 vcc, 0, v14
	s_andn2_b64 s[60:61], s[66:67], exec
	s_and_b64 vcc, vcc, exec
	v_mov_b32_e32 v66, 0
	s_or_b64 s[66:67], s[60:61], vcc
	s_or_b64 exec, exec, s[68:69]
	s_and_saveexec_b64 s[68:69], s[66:67]
	s_cbranch_execnz .LBB14_2709
	s_branch .LBB14_2710
.LBB14_3486:                            ;   in Loop: Header=BB14_17 Depth=1
	v_cmp_gt_i16_sdwa vcc, v8, v19 src0_sel:BYTE_0 src1_sel:DWORD
                                        ; implicit-def: $sgpr66_sgpr67
                                        ; implicit-def: $sgpr86_sgpr87
                                        ; implicit-def: $vgpr65
	s_and_saveexec_b64 s[60:61], vcc
	s_xor_b64 s[60:61], exec, s[60:61]
	v_writelane_b32 v44, s62, 48
	v_writelane_b32 v44, s63, 49
	s_cbranch_execz .LBB14_3518
; %bb.3487:                             ;   in Loop: Header=BB14_17 Depth=1
	v_writelane_b32 v44, s60, 50
	v_cmp_gt_i16_sdwa vcc, v8, v20 src0_sel:BYTE_0 src1_sel:DWORD
	v_writelane_b32 v44, s61, 51
                                        ; implicit-def: $sgpr72_sgpr73
                                        ; implicit-def: $sgpr86_sgpr87
                                        ; implicit-def: $vgpr65
	s_and_saveexec_b64 s[60:61], vcc
	s_xor_b64 s[80:81], exec, s[60:61]
	s_cbranch_execz .LBB14_3503
; %bb.3488:                             ;   in Loop: Header=BB14_17 Depth=1
	v_cmp_gt_i16_sdwa s[60:61], v8, v21 src0_sel:BYTE_0 src1_sel:DWORD
	s_mov_b64 s[74:75], 0
                                        ; implicit-def: $vcc
                                        ; implicit-def: $sgpr86_sgpr87
                                        ; implicit-def: $vgpr65
	s_and_saveexec_b64 s[62:63], s[60:61]
	s_xor_b64 s[72:73], exec, s[62:63]
	s_cbranch_execz .LBB14_3498
; %bb.3489:                             ;   in Loop: Header=BB14_17 Depth=1
	v_cmp_gt_i16_sdwa vcc, v8, v22 src0_sel:BYTE_0 src1_sel:DWORD
                                        ; implicit-def: $sgpr86_sgpr87
                                        ; implicit-def: $sgpr74_sgpr75
                                        ; implicit-def: $vgpr65
	s_and_saveexec_b64 s[60:61], vcc
	s_xor_b64 vcc, exec, s[60:61]
	s_cbranch_execz .LBB14_3493
; %bb.3490:                             ;   in Loop: Header=BB14_17 Depth=1
	v_cmp_eq_u16_sdwa s[62:63], v8, v23 src0_sel:BYTE_0 src1_sel:DWORD
	s_mov_b64 s[74:75], 0
	s_mov_b64 s[66:67], 0
                                        ; implicit-def: $vgpr65
	s_and_saveexec_b64 s[60:61], s[62:63]
	s_cbranch_execz .LBB14_3492
; %bb.3491:                             ;   in Loop: Header=BB14_17 Depth=1
	flat_load_dword v14, v[14:15]
	s_mov_b64 s[66:67], exec
	s_waitcnt vmcnt(0) lgkmcnt(0)
	v_lshlrev_b32_e32 v65, 16, v14
.LBB14_3492:                            ;   in Loop: Header=BB14_17 Depth=1
	s_or_b64 exec, exec, s[60:61]
	s_mov_b64 s[86:87], -1
	s_and_b64 s[78:79], s[66:67], exec
                                        ; implicit-def: $vgpr14_vgpr15
.LBB14_3493:                            ;   in Loop: Header=BB14_17 Depth=1
	s_andn2_saveexec_b64 s[66:67], vcc
	s_cbranch_execz .LBB14_3497
; %bb.3494:                             ;   in Loop: Header=BB14_17 Depth=1
	v_cmp_eq_u16_sdwa s[60:61], v8, v24 src0_sel:BYTE_0 src1_sel:DWORD
	s_mov_b64 vcc, s[78:79]
                                        ; implicit-def: $vgpr65
	s_and_saveexec_b64 s[68:69], s[60:61]
	s_cbranch_execz .LBB14_3496
; %bb.3495:                             ;   in Loop: Header=BB14_17 Depth=1
	flat_load_ubyte v14, v[14:15]
	s_movk_i32 vcc_lo, 0xff
	s_waitcnt vmcnt(0) lgkmcnt(0)
	v_lshlrev_b32_e32 v15, 23, v14
	v_cmp_ne_u32_e32 vcc, vcc_lo, v14
	v_cndmask_b32_e32 v15, v25, v15, vcc
	v_cmp_ne_u32_e32 vcc, 0, v14
	v_cndmask_b32_e32 v65, v26, v15, vcc
	s_or_b64 vcc, s[78:79], exec
.LBB14_3496:                            ;   in Loop: Header=BB14_17 Depth=1
	s_or_b64 exec, exec, s[68:69]
	s_andn2_b64 s[60:61], s[78:79], exec
	s_and_b64 vcc, vcc, exec
	s_or_b64 s[86:87], s[86:87], exec
	s_andn2_b64 s[74:75], s[74:75], exec
	s_or_b64 s[78:79], s[60:61], vcc
.LBB14_3497:                            ;   in Loop: Header=BB14_17 Depth=1
	s_or_b64 exec, exec, s[66:67]
	s_and_b64 s[86:87], s[86:87], exec
	s_and_b64 vcc, s[74:75], exec
	s_and_b64 s[74:75], s[78:79], exec
                                        ; implicit-def: $vgpr14_vgpr15
.LBB14_3498:                            ;   in Loop: Header=BB14_17 Depth=1
	s_andn2_saveexec_b64 s[66:67], s[72:73]
	s_cbranch_execz .LBB14_3502
; %bb.3499:                             ;   in Loop: Header=BB14_17 Depth=1
	v_cmp_eq_u16_sdwa s[60:61], v8, v27 src0_sel:BYTE_0 src1_sel:DWORD
	s_mov_b64 s[70:71], s[74:75]
                                        ; implicit-def: $vgpr65
	s_and_saveexec_b64 s[68:69], s[60:61]
	s_cbranch_execz .LBB14_3501
; %bb.3500:                             ;   in Loop: Header=BB14_17 Depth=1
	flat_load_dwordx2 v[14:15], v[14:15]
	s_or_b64 s[70:71], s[74:75], exec
	s_waitcnt vmcnt(0) lgkmcnt(0)
	v_ffbh_u32_e32 v65, v15
	v_min_u32_e32 v65, 32, v65
	v_lshlrev_b64 v[14:15], v65, v[14:15]
	v_min_u32_e32 v14, 1, v14
	v_or_b32_e32 v14, v15, v14
	v_cvt_f32_u32_e32 v14, v14
	v_sub_u32_e32 v15, 32, v65
	v_ldexp_f32 v65, v14, v15
.LBB14_3501:                            ;   in Loop: Header=BB14_17 Depth=1
	s_or_b64 exec, exec, s[68:69]
	s_andn2_b64 s[60:61], s[74:75], exec
	s_and_b64 s[62:63], s[70:71], exec
	s_or_b64 s[86:87], s[86:87], exec
	s_andn2_b64 vcc, vcc, exec
	s_or_b64 s[74:75], s[60:61], s[62:63]
.LBB14_3502:                            ;   in Loop: Header=BB14_17 Depth=1
	s_or_b64 exec, exec, s[66:67]
	s_and_b64 s[86:87], s[86:87], exec
	s_and_b64 s[72:73], vcc, exec
	s_and_b64 s[78:79], s[74:75], exec
                                        ; implicit-def: $vgpr14_vgpr15
.LBB14_3503:                            ;   in Loop: Header=BB14_17 Depth=1
	s_andn2_saveexec_b64 s[80:81], s[80:81]
	s_cbranch_execz .LBB14_3517
; %bb.3504:                             ;   in Loop: Header=BB14_17 Depth=1
	v_cmp_gt_i16_sdwa vcc, v8, v28 src0_sel:BYTE_0 src1_sel:DWORD
                                        ; implicit-def: $vgpr65
	s_and_saveexec_b64 s[60:61], vcc
	s_xor_b64 vcc, exec, s[60:61]
	s_cbranch_execz .LBB14_3510
; %bb.3505:                             ;   in Loop: Header=BB14_17 Depth=1
	v_cmp_gt_i16_sdwa s[60:61], v8, v29 src0_sel:BYTE_0 src1_sel:DWORD
                                        ; implicit-def: $vgpr65
	s_and_saveexec_b64 s[62:63], s[60:61]
	s_xor_b64 s[60:61], exec, s[62:63]
	s_cbranch_execz .LBB14_3507
; %bb.3506:                             ;   in Loop: Header=BB14_17 Depth=1
	flat_load_dword v14, v[14:15]
	s_waitcnt vmcnt(0) lgkmcnt(0)
	v_cvt_f32_u32_e32 v65, v14
                                        ; implicit-def: $vgpr14_vgpr15
.LBB14_3507:                            ;   in Loop: Header=BB14_17 Depth=1
	s_andn2_saveexec_b64 s[60:61], s[60:61]
	s_cbranch_execz .LBB14_3509
; %bb.3508:                             ;   in Loop: Header=BB14_17 Depth=1
	flat_load_ushort v14, v[14:15]
	s_waitcnt vmcnt(0) lgkmcnt(0)
	v_cvt_f32_u32_e32 v65, v14
.LBB14_3509:                            ;   in Loop: Header=BB14_17 Depth=1
	s_or_b64 exec, exec, s[60:61]
                                        ; implicit-def: $vgpr14_vgpr15
.LBB14_3510:                            ;   in Loop: Header=BB14_17 Depth=1
	s_andn2_saveexec_b64 s[74:75], vcc
	s_cbranch_execz .LBB14_3516
; %bb.3511:                             ;   in Loop: Header=BB14_17 Depth=1
	flat_load_ubyte v14, v[14:15]
	s_movk_i32 vcc_lo, 0x7f
	s_mov_b64 s[66:67], 0
                                        ; implicit-def: $sgpr70
	s_waitcnt vmcnt(0) lgkmcnt(0)
	v_cmp_lt_i16_e32 vcc, vcc_lo, v14
	s_and_saveexec_b64 s[60:61], vcc
	s_xor_b64 s[68:69], exec, s[60:61]
	s_cbranch_execnz .LBB14_3642
; %bb.3512:                             ;   in Loop: Header=BB14_17 Depth=1
	s_or_saveexec_b64 s[68:69], s[68:69]
	v_mov_b32_e32 v65, s70
	s_xor_b64 exec, exec, s[68:69]
	s_cbranch_execnz .LBB14_3645
.LBB14_3513:                            ;   in Loop: Header=BB14_17 Depth=1
	s_or_b64 exec, exec, s[68:69]
	s_and_saveexec_b64 s[68:69], s[66:67]
	s_cbranch_execz .LBB14_3515
.LBB14_3514:                            ;   in Loop: Header=BB14_17 Depth=1
	v_lshlrev_b32_e32 v15, 24, v14
	v_and_b32_e32 v14, 0xffff, v14
	v_and_b32_e32 v65, 7, v14
	v_ffbh_u32_e32 v67, v65
	v_min_u32_e32 v67, 32, v67
	v_subrev_u32_e32 v68, 28, v67
	v_bfe_u32 v66, v14, 3, 4
	v_lshlrev_b32_e32 v14, v68, v14
	v_sub_u32_e32 v67, 29, v67
	v_and_b32_e32 v14, 7, v14
	v_cmp_eq_u32_e32 vcc, 0, v66
	v_cndmask_b32_e32 v66, v66, v67, vcc
	v_cndmask_b32_e32 v14, v65, v14, vcc
	v_lshlrev_b32_e32 v14, 20, v14
	v_and_b32_e32 v15, 0x80000000, v15
	v_lshl_add_u32 v65, v66, 23, v30
	v_or3_b32 v65, v15, v65, v14
.LBB14_3515:                            ;   in Loop: Header=BB14_17 Depth=1
	s_or_b64 exec, exec, s[68:69]
.LBB14_3516:                            ;   in Loop: Header=BB14_17 Depth=1
	s_or_b64 exec, exec, s[74:75]
	s_andn2_b64 s[86:87], s[86:87], exec
	s_andn2_b64 s[72:73], s[72:73], exec
	s_or_b64 s[78:79], s[78:79], exec
.LBB14_3517:                            ;   in Loop: Header=BB14_17 Depth=1
	s_or_b64 exec, exec, s[80:81]
	v_readlane_b32 s62, v44, 48
	v_readlane_b32 s60, v44, 50
	s_and_b64 s[86:87], s[86:87], exec
	s_and_b64 s[66:67], s[72:73], exec
	;; [unrolled: 1-line block ×3, first 2 shown]
	v_readlane_b32 s63, v44, 49
	v_readlane_b32 s61, v44, 51
                                        ; implicit-def: $vgpr14_vgpr15
.LBB14_3518:                            ;   in Loop: Header=BB14_17 Depth=1
	s_andn2_saveexec_b64 s[80:81], s[60:61]
	s_cbranch_execz .LBB14_3544
; %bb.3519:                             ;   in Loop: Header=BB14_17 Depth=1
	v_writelane_b32 v44, s66, 52
	v_writelane_b32 v44, s67, 53
	;; [unrolled: 1-line block ×3, first 2 shown]
	v_cmp_gt_i16_sdwa vcc, v8, v31 src0_sel:BYTE_0 src1_sel:DWORD
	s_mov_b64 s[74:75], s[78:79]
	v_writelane_b32 v44, s77, 55
                                        ; implicit-def: $vgpr65
	s_and_saveexec_b64 s[60:61], vcc
	s_xor_b64 s[72:73], exec, s[60:61]
	s_cbranch_execz .LBB14_3533
; %bb.3520:                             ;   in Loop: Header=BB14_17 Depth=1
	v_cmp_gt_i16_sdwa vcc, v8, v32 src0_sel:BYTE_0 src1_sel:DWORD
                                        ; implicit-def: $vgpr65
	s_and_saveexec_b64 s[60:61], vcc
	s_xor_b64 s[62:63], exec, s[60:61]
	s_cbranch_execz .LBB14_3530
; %bb.3521:                             ;   in Loop: Header=BB14_17 Depth=1
	v_cmp_gt_i16_sdwa vcc, v8, v33 src0_sel:BYTE_0 src1_sel:DWORD
                                        ; implicit-def: $vgpr65
	s_and_saveexec_b64 s[60:61], vcc
	s_xor_b64 s[74:75], exec, s[60:61]
	s_cbranch_execz .LBB14_3527
; %bb.3522:                             ;   in Loop: Header=BB14_17 Depth=1
	flat_load_ubyte v14, v[14:15]
	s_movk_i32 vcc_lo, 0x7f
	s_mov_b64 s[66:67], 0
                                        ; implicit-def: $sgpr70
	s_waitcnt vmcnt(0) lgkmcnt(0)
	v_cmp_lt_i16_e32 vcc, vcc_lo, v14
	s_and_saveexec_b64 s[60:61], vcc
	s_xor_b64 s[68:69], exec, s[60:61]
	s_cbranch_execnz .LBB14_3646
; %bb.3523:                             ;   in Loop: Header=BB14_17 Depth=1
	s_or_saveexec_b64 s[68:69], s[68:69]
	v_mov_b32_e32 v65, s70
	s_xor_b64 exec, exec, s[68:69]
	s_cbranch_execnz .LBB14_3649
.LBB14_3524:                            ;   in Loop: Header=BB14_17 Depth=1
	s_or_b64 exec, exec, s[68:69]
	s_and_saveexec_b64 s[68:69], s[66:67]
	s_cbranch_execz .LBB14_3526
.LBB14_3525:                            ;   in Loop: Header=BB14_17 Depth=1
	v_lshlrev_b32_e32 v15, 24, v14
	v_and_b32_e32 v14, 0xffff, v14
	v_and_b32_e32 v65, 3, v14
	v_ffbh_u32_e32 v67, v65
	v_min_u32_e32 v67, 32, v67
	v_subrev_u32_e32 v68, 29, v67
	v_bfe_u32 v66, v14, 2, 5
	v_lshlrev_b32_e32 v14, v68, v14
	v_sub_u32_e32 v67, 30, v67
	v_and_b32_e32 v14, 3, v14
	v_cmp_eq_u32_e32 vcc, 0, v66
	v_cndmask_b32_e32 v66, v66, v67, vcc
	v_cndmask_b32_e32 v14, v65, v14, vcc
	v_lshlrev_b32_e32 v14, 21, v14
	v_and_b32_e32 v15, 0x80000000, v15
	v_lshl_add_u32 v65, v66, 23, v34
	v_or3_b32 v65, v15, v65, v14
.LBB14_3526:                            ;   in Loop: Header=BB14_17 Depth=1
	s_or_b64 exec, exec, s[68:69]
                                        ; implicit-def: $vgpr14_vgpr15
.LBB14_3527:                            ;   in Loop: Header=BB14_17 Depth=1
	s_andn2_saveexec_b64 s[66:67], s[74:75]
	s_cbranch_execz .LBB14_3529
; %bb.3528:                             ;   in Loop: Header=BB14_17 Depth=1
	flat_load_ubyte v14, v[14:15]
	s_mov_b32 vcc_lo, 0x7f800000
	s_waitcnt vmcnt(0) lgkmcnt(0)
	v_lshlrev_b32_e32 v14, 24, v14
	v_and_b32_e32 v15, 0x7f000000, v14
	v_ffbh_u32_e32 v65, v15
	v_min_u32_e32 v65, 32, v65
	v_sub_u32_e64 v65, v65, 4 clamp
	v_lshlrev_b32_e32 v67, v65, v15
	v_lshlrev_b32_e32 v65, 23, v65
	v_lshrrev_b32_e32 v67, 4, v67
	v_add_u32_e32 v66, 0x1000000, v15
	v_sub_u32_e32 v65, v67, v65
	v_ashrrev_i32_e32 v66, 8, v66
	v_add_u32_e32 v65, 0x3c000000, v65
	v_and_or_b32 v65, v66, vcc_lo, v65
	v_cmp_ne_u32_e32 vcc, 0, v15
	v_cndmask_b32_e32 v15, 0, v65, vcc
	s_brev_b32 vcc_lo, 1
	v_and_or_b32 v65, v14, vcc_lo, v15
.LBB14_3529:                            ;   in Loop: Header=BB14_17 Depth=1
	s_or_b64 exec, exec, s[66:67]
                                        ; implicit-def: $vgpr14_vgpr15
.LBB14_3530:                            ;   in Loop: Header=BB14_17 Depth=1
	s_andn2_saveexec_b64 s[66:67], s[62:63]
	s_cbranch_execz .LBB14_3532
; %bb.3531:                             ;   in Loop: Header=BB14_17 Depth=1
	flat_load_ubyte v14, v[14:15]
	s_movk_i32 vcc_lo, 0x7f00
	s_waitcnt vmcnt(0) lgkmcnt(0)
	v_lshlrev_b16_e32 v15, 8, v14
	v_lshlrev_b32_e32 v14, 25, v14
	v_lshrrev_b32_e32 v65, 4, v14
	v_and_or_b32 v66, v15, vcc_lo, 0.5
	v_or_b32_e32 v65, 0x70000000, v65
	s_brev_b32 vcc_lo, 16
	v_add_f32_e32 v66, -0.5, v66
	v_mul_f32_e32 v65, 0x7800000, v65
	v_cmp_gt_u32_e32 vcc, vcc_lo, v14
	v_cndmask_b32_e32 v14, v65, v66, vcc
	v_bfe_i32 v15, v15, 0, 16
	s_brev_b32 vcc_lo, 1
	v_and_or_b32 v65, v15, vcc_lo, v14
.LBB14_3532:                            ;   in Loop: Header=BB14_17 Depth=1
	s_or_b64 exec, exec, s[66:67]
	s_or_b64 s[74:75], s[78:79], exec
                                        ; implicit-def: $vgpr14_vgpr15
.LBB14_3533:                            ;   in Loop: Header=BB14_17 Depth=1
	s_or_saveexec_b64 s[72:73], s[72:73]
                                        ; implicit-def: $vcc
                                        ; implicit-def: $sgpr68_sgpr69
	s_xor_b64 exec, exec, s[72:73]
	s_cbranch_execz .LBB14_3543
; %bb.3534:                             ;   in Loop: Header=BB14_17 Depth=1
	v_cmp_gt_i16_sdwa vcc, v8, v35 src0_sel:BYTE_0 src1_sel:DWORD
	s_mov_b64 s[66:67], s[74:75]
                                        ; implicit-def: $sgpr68_sgpr69
                                        ; implicit-def: $sgpr76_sgpr77
                                        ; implicit-def: $vgpr65
	s_and_saveexec_b64 s[60:61], vcc
	s_xor_b64 vcc, exec, s[60:61]
	s_cbranch_execz .LBB14_3538
; %bb.3535:                             ;   in Loop: Header=BB14_17 Depth=1
	v_cmp_eq_u16_sdwa s[62:63], v8, v36 src0_sel:BYTE_0 src1_sel:DWORD
	s_mov_b64 s[66:67], s[74:75]
                                        ; implicit-def: $vgpr65
	s_and_saveexec_b64 s[60:61], s[62:63]
	s_cbranch_execz .LBB14_3537
; %bb.3536:                             ;   in Loop: Header=BB14_17 Depth=1
	flat_load_ushort v14, v[14:15]
	s_or_b64 s[66:67], s[74:75], exec
	s_waitcnt vmcnt(0) lgkmcnt(0)
	v_lshlrev_b32_e32 v65, 16, v14
.LBB14_3537:                            ;   in Loop: Header=BB14_17 Depth=1
	s_or_b64 exec, exec, s[60:61]
	s_andn2_b64 s[60:61], s[74:75], exec
	s_and_b64 s[62:63], s[66:67], exec
	s_mov_b64 s[76:77], 0
	s_mov_b64 s[68:69], -1
	s_or_b64 s[66:67], s[60:61], s[62:63]
                                        ; implicit-def: $vgpr14_vgpr15
.LBB14_3538:                            ;   in Loop: Header=BB14_17 Depth=1
	s_andn2_saveexec_b64 s[70:71], vcc
	s_cbranch_execz .LBB14_3542
; %bb.3539:                             ;   in Loop: Header=BB14_17 Depth=1
	v_cmp_eq_u16_sdwa s[62:63], v8, v37 src0_sel:BYTE_0 src1_sel:DWORD
	s_mov_b64 vcc, s[66:67]
                                        ; implicit-def: $vgpr65
	s_and_saveexec_b64 s[60:61], s[62:63]
	s_cbranch_execz .LBB14_3541
; %bb.3540:                             ;   in Loop: Header=BB14_17 Depth=1
	flat_load_ubyte v14, v[14:15]
	s_waitcnt vmcnt(0) lgkmcnt(0)
	v_cmp_ne_u16_e32 vcc, 0, v14
	v_cndmask_b32_e64 v65, 0, 1.0, vcc
	s_or_b64 vcc, s[66:67], exec
.LBB14_3541:                            ;   in Loop: Header=BB14_17 Depth=1
	s_or_b64 exec, exec, s[60:61]
	s_andn2_b64 s[60:61], s[66:67], exec
	s_and_b64 vcc, vcc, exec
	s_or_b64 s[68:69], s[68:69], exec
	s_andn2_b64 s[76:77], s[76:77], exec
	s_or_b64 s[66:67], s[60:61], vcc
.LBB14_3542:                            ;   in Loop: Header=BB14_17 Depth=1
	s_or_b64 exec, exec, s[70:71]
	s_andn2_b64 s[60:61], s[74:75], exec
	s_and_b64 s[62:63], s[66:67], exec
	s_and_b64 s[68:69], s[68:69], exec
	s_and_b64 vcc, s[76:77], exec
	s_or_b64 s[74:75], s[60:61], s[62:63]
.LBB14_3543:                            ;   in Loop: Header=BB14_17 Depth=1
	s_or_b64 exec, exec, s[72:73]
	s_andn2_b64 s[60:61], s[86:87], exec
	s_and_b64 s[62:63], s[68:69], exec
	s_or_b64 s[86:87], s[60:61], s[62:63]
	v_readlane_b32 s60, v44, 52
	v_readlane_b32 s61, v44, 53
	s_andn2_b64 s[60:61], s[60:61], exec
	s_and_b64 vcc, vcc, exec
	s_or_b64 s[66:67], s[60:61], vcc
	s_andn2_b64 vcc, s[78:79], exec
	s_and_b64 s[60:61], s[74:75], exec
	v_readlane_b32 s76, v44, 54
	v_readlane_b32 s62, v44, 48
	s_or_b64 s[78:79], vcc, s[60:61]
	v_readlane_b32 s77, v44, 55
	v_readlane_b32 s63, v44, 49
.LBB14_3544:                            ;   in Loop: Header=BB14_17 Depth=1
	s_or_b64 exec, exec, s[80:81]
	s_and_b64 s[86:87], s[86:87], exec
	s_and_b64 vcc, s[66:67], exec
	s_and_b64 s[78:79], s[78:79], exec
                                        ; implicit-def: $vgpr14_vgpr15
	s_andn2_saveexec_b64 s[80:81], s[62:63]
	s_cbranch_execz .LBB14_3464
.LBB14_3545:                            ;   in Loop: Header=BB14_17 Depth=1
	v_cmp_gt_i16_sdwa s[60:61], v8, v38 src0_sel:BYTE_0 src1_sel:DWORD
                                        ; implicit-def: $vgpr65
	s_and_saveexec_b64 s[62:63], s[60:61]
	s_xor_b64 s[72:73], exec, s[62:63]
	s_cbranch_execz .LBB14_3567
; %bb.3546:                             ;   in Loop: Header=BB14_17 Depth=1
	v_cmp_gt_i16_sdwa s[60:61], v8, v39 src0_sel:BYTE_0 src1_sel:DWORD
                                        ; implicit-def: $vgpr65
	s_and_saveexec_b64 s[62:63], s[60:61]
	s_xor_b64 s[66:67], exec, s[62:63]
	s_cbranch_execz .LBB14_3556
; %bb.3547:                             ;   in Loop: Header=BB14_17 Depth=1
	;; [unrolled: 6-line block ×4, first 2 shown]
	flat_load_dwordx2 v[14:15], v[14:15]
	s_waitcnt vmcnt(0) lgkmcnt(0)
	v_cvt_f32_f64_e32 v65, v[14:15]
                                        ; implicit-def: $vgpr14_vgpr15
.LBB14_3550:                            ;   in Loop: Header=BB14_17 Depth=1
	s_andn2_saveexec_b64 s[60:61], s[60:61]
	s_cbranch_execz .LBB14_3552
; %bb.3551:                             ;   in Loop: Header=BB14_17 Depth=1
	flat_load_dword v65, v[14:15]
.LBB14_3552:                            ;   in Loop: Header=BB14_17 Depth=1
	s_or_b64 exec, exec, s[60:61]
                                        ; implicit-def: $vgpr14_vgpr15
.LBB14_3553:                            ;   in Loop: Header=BB14_17 Depth=1
	s_andn2_saveexec_b64 s[60:61], s[68:69]
	s_cbranch_execz .LBB14_3555
; %bb.3554:                             ;   in Loop: Header=BB14_17 Depth=1
	flat_load_dword v14, v[14:15]
	s_waitcnt vmcnt(0) lgkmcnt(0)
	v_cvt_f32_f16_e32 v65, v14
.LBB14_3555:                            ;   in Loop: Header=BB14_17 Depth=1
	s_or_b64 exec, exec, s[60:61]
                                        ; implicit-def: $vgpr14_vgpr15
.LBB14_3556:                            ;   in Loop: Header=BB14_17 Depth=1
	s_andn2_saveexec_b64 s[66:67], s[66:67]
	s_cbranch_execz .LBB14_3566
; %bb.3557:                             ;   in Loop: Header=BB14_17 Depth=1
	v_cmp_gt_i16_sdwa s[60:61], v8, v50 src0_sel:BYTE_0 src1_sel:DWORD
                                        ; implicit-def: $vgpr65
	s_and_saveexec_b64 s[62:63], s[60:61]
	s_xor_b64 s[68:69], exec, s[62:63]
	s_cbranch_execz .LBB14_3563
; %bb.3558:                             ;   in Loop: Header=BB14_17 Depth=1
	v_cmp_gt_i16_sdwa s[60:61], v8, v51 src0_sel:BYTE_0 src1_sel:DWORD
                                        ; implicit-def: $vgpr65
	s_and_saveexec_b64 s[62:63], s[60:61]
	s_xor_b64 s[60:61], exec, s[62:63]
	s_cbranch_execz .LBB14_3560
; %bb.3559:                             ;   in Loop: Header=BB14_17 Depth=1
	flat_load_dwordx2 v[14:15], v[14:15]
	s_waitcnt vmcnt(0) lgkmcnt(0)
	v_cvt_f32_f64_e32 v65, v[14:15]
                                        ; implicit-def: $vgpr14_vgpr15
.LBB14_3560:                            ;   in Loop: Header=BB14_17 Depth=1
	s_andn2_saveexec_b64 s[60:61], s[60:61]
	s_cbranch_execz .LBB14_3562
; %bb.3561:                             ;   in Loop: Header=BB14_17 Depth=1
	s_waitcnt vmcnt(0) lgkmcnt(0)
	flat_load_dword v65, v[14:15]
.LBB14_3562:                            ;   in Loop: Header=BB14_17 Depth=1
	s_or_b64 exec, exec, s[60:61]
                                        ; implicit-def: $vgpr14_vgpr15
.LBB14_3563:                            ;   in Loop: Header=BB14_17 Depth=1
	s_andn2_saveexec_b64 s[60:61], s[68:69]
	s_cbranch_execz .LBB14_3565
; %bb.3564:                             ;   in Loop: Header=BB14_17 Depth=1
	flat_load_ushort v14, v[14:15]
	s_waitcnt vmcnt(0) lgkmcnt(0)
	v_cvt_f32_f16_e32 v65, v14
.LBB14_3565:                            ;   in Loop: Header=BB14_17 Depth=1
	s_or_b64 exec, exec, s[60:61]
.LBB14_3566:                            ;   in Loop: Header=BB14_17 Depth=1
	s_or_b64 exec, exec, s[66:67]
                                        ; implicit-def: $vgpr14_vgpr15
.LBB14_3567:                            ;   in Loop: Header=BB14_17 Depth=1
	s_andn2_saveexec_b64 s[72:73], s[72:73]
	s_cbranch_execz .LBB14_3585
; %bb.3568:                             ;   in Loop: Header=BB14_17 Depth=1
	v_cmp_gt_i16_sdwa s[60:61], v8, v52 src0_sel:BYTE_0 src1_sel:DWORD
                                        ; implicit-def: $vgpr65
	s_and_saveexec_b64 s[62:63], s[60:61]
	s_xor_b64 s[74:75], exec, s[62:63]
	s_cbranch_execz .LBB14_3578
; %bb.3569:                             ;   in Loop: Header=BB14_17 Depth=1
	v_cmp_gt_i16_sdwa s[60:61], v8, v53 src0_sel:BYTE_0 src1_sel:DWORD
                                        ; implicit-def: $vgpr65
	s_and_saveexec_b64 s[62:63], s[60:61]
	s_xor_b64 s[66:67], exec, s[62:63]
	;; [unrolled: 6-line block ×3, first 2 shown]
	s_cbranch_execz .LBB14_3572
; %bb.3571:                             ;   in Loop: Header=BB14_17 Depth=1
	flat_load_dwordx2 v[14:15], v[14:15]
	s_waitcnt vmcnt(0) lgkmcnt(0)
	v_xor_b32_e32 v66, v14, v15
	v_ffbh_i32_e32 v65, v15
	v_ashrrev_i32_e32 v66, 31, v66
	v_add_u32_e32 v65, -1, v65
	v_add_u32_e32 v66, 32, v66
	v_min_u32_e32 v65, v65, v66
	v_lshlrev_b64 v[14:15], v65, v[14:15]
	v_min_u32_e32 v14, 1, v14
	v_or_b32_e32 v14, v15, v14
	v_cvt_f32_i32_e32 v14, v14
	v_sub_u32_e32 v15, 32, v65
	v_ldexp_f32 v65, v14, v15
                                        ; implicit-def: $vgpr14_vgpr15
.LBB14_3572:                            ;   in Loop: Header=BB14_17 Depth=1
	s_andn2_saveexec_b64 s[60:61], s[68:69]
	s_cbranch_execz .LBB14_3574
; %bb.3573:                             ;   in Loop: Header=BB14_17 Depth=1
	flat_load_dword v14, v[14:15]
	s_waitcnt vmcnt(0) lgkmcnt(0)
	v_cvt_f32_i32_e32 v65, v14
.LBB14_3574:                            ;   in Loop: Header=BB14_17 Depth=1
	s_or_b64 exec, exec, s[60:61]
                                        ; implicit-def: $vgpr14_vgpr15
.LBB14_3575:                            ;   in Loop: Header=BB14_17 Depth=1
	s_andn2_saveexec_b64 s[60:61], s[66:67]
	s_cbranch_execz .LBB14_3577
; %bb.3576:                             ;   in Loop: Header=BB14_17 Depth=1
	flat_load_sshort v14, v[14:15]
	s_waitcnt vmcnt(0) lgkmcnt(0)
	v_cvt_f32_i32_e32 v65, v14
.LBB14_3577:                            ;   in Loop: Header=BB14_17 Depth=1
	s_or_b64 exec, exec, s[60:61]
                                        ; implicit-def: $vgpr14_vgpr15
.LBB14_3578:                            ;   in Loop: Header=BB14_17 Depth=1
	s_andn2_saveexec_b64 s[66:67], s[74:75]
	s_cbranch_execz .LBB14_3584
; %bb.3579:                             ;   in Loop: Header=BB14_17 Depth=1
	v_cmp_gt_i16_sdwa s[60:61], v8, v16 src0_sel:BYTE_0 src1_sel:DWORD
                                        ; implicit-def: $vgpr65
	s_and_saveexec_b64 s[62:63], s[60:61]
	s_xor_b64 s[60:61], exec, s[62:63]
	s_cbranch_execz .LBB14_3581
; %bb.3580:                             ;   in Loop: Header=BB14_17 Depth=1
	flat_load_sbyte v14, v[14:15]
	s_waitcnt vmcnt(0) lgkmcnt(0)
	v_cvt_f32_i32_e32 v65, v14
                                        ; implicit-def: $vgpr14_vgpr15
.LBB14_3581:                            ;   in Loop: Header=BB14_17 Depth=1
	s_andn2_saveexec_b64 s[60:61], s[60:61]
	s_cbranch_execz .LBB14_3583
; %bb.3582:                             ;   in Loop: Header=BB14_17 Depth=1
	flat_load_ubyte v14, v[14:15]
	s_waitcnt vmcnt(0) lgkmcnt(0)
	v_cvt_f32_ubyte0_e32 v65, v14
.LBB14_3583:                            ;   in Loop: Header=BB14_17 Depth=1
	s_or_b64 exec, exec, s[60:61]
.LBB14_3584:                            ;   in Loop: Header=BB14_17 Depth=1
	s_or_b64 exec, exec, s[66:67]
.LBB14_3585:                            ;   in Loop: Header=BB14_17 Depth=1
	s_or_b64 exec, exec, s[72:73]
	s_andn2_b64 s[86:87], s[86:87], exec
	s_andn2_b64 vcc, vcc, exec
	s_or_b64 s[78:79], s[78:79], exec
	s_or_b64 exec, exec, s[80:81]
	s_mov_b64 s[66:67], 0
	s_and_saveexec_b64 s[68:69], s[78:79]
	s_cbranch_execnz .LBB14_3465
	s_branch .LBB14_3466
.LBB14_3586:                            ;   in Loop: Header=BB14_17 Depth=1
	s_movk_i32 vcc_lo, 0x80
	v_cmp_eq_u16_e32 vcc, vcc_lo, v14
	s_mov_b64 s[66:67], -1
                                        ; implicit-def: $sgpr70
	s_and_saveexec_b64 s[60:61], vcc
; %bb.3587:                             ;   in Loop: Header=BB14_17 Depth=1
	s_mov_b32 s70, 0x7f800001
	s_xor_b64 s[66:67], exec, -1
; %bb.3588:                             ;   in Loop: Header=BB14_17 Depth=1
	s_or_b64 exec, exec, s[60:61]
	s_and_b64 s[66:67], s[66:67], exec
	s_or_saveexec_b64 s[68:69], s[68:69]
	v_mov_b32_e32 v65, s70
	s_xor_b64 exec, exec, s[68:69]
	s_cbranch_execz .LBB14_2619
.LBB14_3589:                            ;   in Loop: Header=BB14_17 Depth=1
	v_cmp_ne_u16_e32 vcc, 0, v14
	s_andn2_b64 s[60:61], s[66:67], exec
	s_and_b64 vcc, vcc, exec
	v_mov_b32_e32 v65, 0
	s_or_b64 s[66:67], s[60:61], vcc
	s_or_b64 exec, exec, s[68:69]
	s_and_saveexec_b64 s[68:69], s[66:67]
	s_cbranch_execnz .LBB14_2620
	s_branch .LBB14_2621
.LBB14_3590:                            ;   in Loop: Header=BB14_17 Depth=1
	s_movk_i32 vcc_lo, 0x80
	v_cmp_eq_u16_e32 vcc, vcc_lo, v14
	s_mov_b64 s[66:67], -1
                                        ; implicit-def: $sgpr70
	s_and_saveexec_b64 s[60:61], vcc
; %bb.3591:                             ;   in Loop: Header=BB14_17 Depth=1
	s_mov_b32 s70, 0x7f800001
	s_xor_b64 s[66:67], exec, -1
; %bb.3592:                             ;   in Loop: Header=BB14_17 Depth=1
	s_or_b64 exec, exec, s[60:61]
	s_and_b64 s[66:67], s[66:67], exec
	s_or_saveexec_b64 s[68:69], s[68:69]
	v_mov_b32_e32 v66, s70
	s_xor_b64 exec, exec, s[68:69]
	s_cbranch_execz .LBB14_2719
.LBB14_3593:                            ;   in Loop: Header=BB14_17 Depth=1
	v_cmp_ne_u16_e32 vcc, 0, v14
	s_andn2_b64 s[60:61], s[66:67], exec
	s_and_b64 vcc, vcc, exec
	v_mov_b32_e32 v66, 0
	s_or_b64 s[66:67], s[60:61], vcc
	s_or_b64 exec, exec, s[68:69]
	s_and_saveexec_b64 s[68:69], s[66:67]
	s_cbranch_execnz .LBB14_2720
	s_branch .LBB14_2721
.LBB14_3594:                            ;   in Loop: Header=BB14_17 Depth=1
	s_movk_i32 vcc_lo, 0x80
	v_cmp_eq_u16_e32 vcc, vcc_lo, v14
	s_mov_b64 s[66:67], -1
                                        ; implicit-def: $sgpr70
	s_and_saveexec_b64 s[60:61], vcc
; %bb.3595:                             ;   in Loop: Header=BB14_17 Depth=1
	s_mov_b32 s70, 0x7f800001
	s_xor_b64 s[66:67], exec, -1
; %bb.3596:                             ;   in Loop: Header=BB14_17 Depth=1
	s_or_b64 exec, exec, s[60:61]
	s_and_b64 s[66:67], s[66:67], exec
	s_or_saveexec_b64 s[68:69], s[68:69]
	v_mov_b32_e32 v65, s70
	s_xor_b64 exec, exec, s[68:69]
	s_cbranch_execz .LBB14_2809
.LBB14_3597:                            ;   in Loop: Header=BB14_17 Depth=1
	v_cmp_ne_u16_e32 vcc, 0, v14
	s_andn2_b64 s[60:61], s[66:67], exec
	s_and_b64 vcc, vcc, exec
	v_mov_b32_e32 v65, 0
	s_or_b64 s[66:67], s[60:61], vcc
	s_or_b64 exec, exec, s[68:69]
	s_and_saveexec_b64 s[68:69], s[66:67]
	s_cbranch_execnz .LBB14_2810
	s_branch .LBB14_2811
.LBB14_3598:                            ;   in Loop: Header=BB14_17 Depth=1
	s_movk_i32 vcc_lo, 0x80
	v_cmp_eq_u16_e32 vcc, vcc_lo, v14
	s_mov_b64 s[66:67], -1
                                        ; implicit-def: $sgpr70
	s_and_saveexec_b64 s[60:61], vcc
; %bb.3599:                             ;   in Loop: Header=BB14_17 Depth=1
	s_mov_b32 s70, 0x7f800001
	s_xor_b64 s[66:67], exec, -1
; %bb.3600:                             ;   in Loop: Header=BB14_17 Depth=1
	s_or_b64 exec, exec, s[60:61]
	s_and_b64 s[66:67], s[66:67], exec
	s_or_saveexec_b64 s[68:69], s[68:69]
	v_mov_b32_e32 v66, s70
	s_xor_b64 exec, exec, s[68:69]
	s_cbranch_execz .LBB14_2935
.LBB14_3601:                            ;   in Loop: Header=BB14_17 Depth=1
	v_cmp_ne_u16_e32 vcc, 0, v14
	s_andn2_b64 s[60:61], s[66:67], exec
	s_and_b64 vcc, vcc, exec
	v_mov_b32_e32 v66, 0
	s_or_b64 s[66:67], s[60:61], vcc
	s_or_b64 exec, exec, s[68:69]
	s_and_saveexec_b64 s[68:69], s[66:67]
	s_cbranch_execnz .LBB14_2936
	s_branch .LBB14_2937
.LBB14_3602:                            ;   in Loop: Header=BB14_17 Depth=1
	s_movk_i32 vcc_lo, 0x80
	v_cmp_eq_u16_e32 vcc, vcc_lo, v14
	s_mov_b64 s[66:67], -1
                                        ; implicit-def: $sgpr70
	s_and_saveexec_b64 s[60:61], vcc
; %bb.3603:                             ;   in Loop: Header=BB14_17 Depth=1
	s_mov_b32 s70, 0x7f800001
	s_xor_b64 s[66:67], exec, -1
; %bb.3604:                             ;   in Loop: Header=BB14_17 Depth=1
	s_or_b64 exec, exec, s[60:61]
	s_and_b64 s[66:67], s[66:67], exec
	s_or_saveexec_b64 s[68:69], s[68:69]
	v_mov_b32_e32 v65, s70
	s_xor_b64 exec, exec, s[68:69]
	s_cbranch_execz .LBB14_2820
.LBB14_3605:                            ;   in Loop: Header=BB14_17 Depth=1
	v_cmp_ne_u16_e32 vcc, 0, v14
	s_andn2_b64 s[60:61], s[66:67], exec
	s_and_b64 vcc, vcc, exec
	v_mov_b32_e32 v65, 0
	s_or_b64 s[66:67], s[60:61], vcc
	s_or_b64 exec, exec, s[68:69]
	s_and_saveexec_b64 s[68:69], s[66:67]
	s_cbranch_execnz .LBB14_2821
	s_branch .LBB14_2822
.LBB14_3606:                            ;   in Loop: Header=BB14_17 Depth=1
	s_movk_i32 vcc_lo, 0x80
	v_cmp_eq_u16_e32 vcc, vcc_lo, v14
	s_mov_b64 s[66:67], -1
                                        ; implicit-def: $sgpr70
	s_and_saveexec_b64 s[60:61], vcc
; %bb.3607:                             ;   in Loop: Header=BB14_17 Depth=1
	s_mov_b32 s70, 0x7f800001
	s_xor_b64 s[66:67], exec, -1
; %bb.3608:                             ;   in Loop: Header=BB14_17 Depth=1
	s_or_b64 exec, exec, s[60:61]
	s_and_b64 s[66:67], s[66:67], exec
	s_or_saveexec_b64 s[68:69], s[68:69]
	v_mov_b32_e32 v66, s70
	s_xor_b64 exec, exec, s[68:69]
	s_cbranch_execz .LBB14_2946
.LBB14_3609:                            ;   in Loop: Header=BB14_17 Depth=1
	v_cmp_ne_u16_e32 vcc, 0, v14
	s_andn2_b64 s[60:61], s[66:67], exec
	s_and_b64 vcc, vcc, exec
	v_mov_b32_e32 v66, 0
	s_or_b64 s[66:67], s[60:61], vcc
	s_or_b64 exec, exec, s[68:69]
	s_and_saveexec_b64 s[68:69], s[66:67]
	s_cbranch_execnz .LBB14_2947
	s_branch .LBB14_2948
.LBB14_3610:                            ;   in Loop: Header=BB14_17 Depth=1
	s_movk_i32 vcc_lo, 0x80
	v_cmp_eq_u16_e32 vcc, vcc_lo, v14
	s_mov_b64 s[66:67], -1
                                        ; implicit-def: $sgpr70
	s_and_saveexec_b64 s[60:61], vcc
; %bb.3611:                             ;   in Loop: Header=BB14_17 Depth=1
	s_mov_b32 s70, 0x7f800001
	s_xor_b64 s[66:67], exec, -1
; %bb.3612:                             ;   in Loop: Header=BB14_17 Depth=1
	s_or_b64 exec, exec, s[60:61]
	s_and_b64 s[66:67], s[66:67], exec
	s_or_saveexec_b64 s[68:69], s[68:69]
	v_mov_b32_e32 v65, s70
	s_xor_b64 exec, exec, s[68:69]
	s_cbranch_execz .LBB14_3036
.LBB14_3613:                            ;   in Loop: Header=BB14_17 Depth=1
	v_cmp_ne_u16_e32 vcc, 0, v14
	s_andn2_b64 s[60:61], s[66:67], exec
	s_and_b64 vcc, vcc, exec
	v_mov_b32_e32 v65, 0
	s_or_b64 s[66:67], s[60:61], vcc
	s_or_b64 exec, exec, s[68:69]
	s_and_saveexec_b64 s[68:69], s[66:67]
	s_cbranch_execnz .LBB14_3037
	s_branch .LBB14_3038
.LBB14_3614:                            ;   in Loop: Header=BB14_17 Depth=1
	s_movk_i32 vcc_lo, 0x80
	v_cmp_eq_u16_e32 vcc, vcc_lo, v14
	s_mov_b64 s[66:67], -1
                                        ; implicit-def: $sgpr70
	s_and_saveexec_b64 s[60:61], vcc
; %bb.3615:                             ;   in Loop: Header=BB14_17 Depth=1
	s_mov_b32 s70, 0x7f800001
	s_xor_b64 s[66:67], exec, -1
; %bb.3616:                             ;   in Loop: Header=BB14_17 Depth=1
	s_or_b64 exec, exec, s[60:61]
	s_and_b64 s[66:67], s[66:67], exec
	s_or_saveexec_b64 s[68:69], s[68:69]
	v_mov_b32_e32 v66, s70
	s_xor_b64 exec, exec, s[68:69]
	s_cbranch_execz .LBB14_3162
.LBB14_3617:                            ;   in Loop: Header=BB14_17 Depth=1
	v_cmp_ne_u16_e32 vcc, 0, v14
	s_andn2_b64 s[60:61], s[66:67], exec
	s_and_b64 vcc, vcc, exec
	v_mov_b32_e32 v66, 0
	s_or_b64 s[66:67], s[60:61], vcc
	s_or_b64 exec, exec, s[68:69]
	s_and_saveexec_b64 s[68:69], s[66:67]
	s_cbranch_execnz .LBB14_3163
	s_branch .LBB14_3164
.LBB14_3618:                            ;   in Loop: Header=BB14_17 Depth=1
	s_movk_i32 vcc_lo, 0x80
	v_cmp_eq_u16_e32 vcc, vcc_lo, v14
	s_mov_b64 s[66:67], -1
                                        ; implicit-def: $sgpr70
	s_and_saveexec_b64 s[60:61], vcc
; %bb.3619:                             ;   in Loop: Header=BB14_17 Depth=1
	s_mov_b32 s70, 0x7f800001
	s_xor_b64 s[66:67], exec, -1
; %bb.3620:                             ;   in Loop: Header=BB14_17 Depth=1
	s_or_b64 exec, exec, s[60:61]
	s_and_b64 s[66:67], s[66:67], exec
	s_or_saveexec_b64 s[68:69], s[68:69]
	v_mov_b32_e32 v65, s70
	s_xor_b64 exec, exec, s[68:69]
	s_cbranch_execz .LBB14_3047
.LBB14_3621:                            ;   in Loop: Header=BB14_17 Depth=1
	v_cmp_ne_u16_e32 vcc, 0, v14
	s_andn2_b64 s[60:61], s[66:67], exec
	s_and_b64 vcc, vcc, exec
	v_mov_b32_e32 v65, 0
	s_or_b64 s[66:67], s[60:61], vcc
	s_or_b64 exec, exec, s[68:69]
	s_and_saveexec_b64 s[68:69], s[66:67]
	s_cbranch_execnz .LBB14_3048
	s_branch .LBB14_3049
.LBB14_3622:                            ;   in Loop: Header=BB14_17 Depth=1
	s_movk_i32 vcc_lo, 0x80
	v_cmp_eq_u16_e32 vcc, vcc_lo, v14
	s_mov_b64 s[66:67], -1
                                        ; implicit-def: $sgpr70
	s_and_saveexec_b64 s[60:61], vcc
; %bb.3623:                             ;   in Loop: Header=BB14_17 Depth=1
	s_mov_b32 s70, 0x7f800001
	s_xor_b64 s[66:67], exec, -1
; %bb.3624:                             ;   in Loop: Header=BB14_17 Depth=1
	s_or_b64 exec, exec, s[60:61]
	s_and_b64 s[66:67], s[66:67], exec
	s_or_saveexec_b64 s[68:69], s[68:69]
	v_mov_b32_e32 v66, s70
	s_xor_b64 exec, exec, s[68:69]
	s_cbranch_execz .LBB14_3173
.LBB14_3625:                            ;   in Loop: Header=BB14_17 Depth=1
	v_cmp_ne_u16_e32 vcc, 0, v14
	s_andn2_b64 s[60:61], s[66:67], exec
	s_and_b64 vcc, vcc, exec
	v_mov_b32_e32 v66, 0
	s_or_b64 s[66:67], s[60:61], vcc
	s_or_b64 exec, exec, s[68:69]
	s_and_saveexec_b64 s[68:69], s[66:67]
	s_cbranch_execnz .LBB14_3174
	s_branch .LBB14_3175
.LBB14_3626:                            ;   in Loop: Header=BB14_17 Depth=1
	s_movk_i32 vcc_lo, 0x80
	v_cmp_eq_u16_e32 vcc, vcc_lo, v14
	s_mov_b64 s[66:67], -1
                                        ; implicit-def: $sgpr70
	s_and_saveexec_b64 s[60:61], vcc
; %bb.3627:                             ;   in Loop: Header=BB14_17 Depth=1
	s_mov_b32 s70, 0x7f800001
	s_xor_b64 s[66:67], exec, -1
; %bb.3628:                             ;   in Loop: Header=BB14_17 Depth=1
	s_or_b64 exec, exec, s[60:61]
	s_and_b64 s[66:67], s[66:67], exec
	s_or_saveexec_b64 s[68:69], s[68:69]
	v_mov_b32_e32 v65, s70
	s_xor_b64 exec, exec, s[68:69]
	s_cbranch_execz .LBB14_3263
.LBB14_3629:                            ;   in Loop: Header=BB14_17 Depth=1
	v_cmp_ne_u16_e32 vcc, 0, v14
	s_andn2_b64 s[60:61], s[66:67], exec
	s_and_b64 vcc, vcc, exec
	v_mov_b32_e32 v65, 0
	s_or_b64 s[66:67], s[60:61], vcc
	s_or_b64 exec, exec, s[68:69]
	s_and_saveexec_b64 s[68:69], s[66:67]
	s_cbranch_execnz .LBB14_3264
	s_branch .LBB14_3265
.LBB14_3630:                            ;   in Loop: Header=BB14_17 Depth=1
	s_movk_i32 vcc_lo, 0x80
	v_cmp_eq_u16_e32 vcc, vcc_lo, v14
	s_mov_b64 s[66:67], -1
                                        ; implicit-def: $sgpr70
	s_and_saveexec_b64 s[60:61], vcc
; %bb.3631:                             ;   in Loop: Header=BB14_17 Depth=1
	s_mov_b32 s70, 0x7f800001
	s_xor_b64 s[66:67], exec, -1
; %bb.3632:                             ;   in Loop: Header=BB14_17 Depth=1
	s_or_b64 exec, exec, s[60:61]
	s_and_b64 s[66:67], s[66:67], exec
	s_or_saveexec_b64 s[68:69], s[68:69]
	v_mov_b32_e32 v66, s70
	s_xor_b64 exec, exec, s[68:69]
	s_cbranch_execz .LBB14_3389
.LBB14_3633:                            ;   in Loop: Header=BB14_17 Depth=1
	v_cmp_ne_u16_e32 vcc, 0, v14
	s_andn2_b64 s[60:61], s[66:67], exec
	s_and_b64 vcc, vcc, exec
	v_mov_b32_e32 v66, 0
	s_or_b64 s[66:67], s[60:61], vcc
	s_or_b64 exec, exec, s[68:69]
	s_and_saveexec_b64 s[68:69], s[66:67]
	s_cbranch_execnz .LBB14_3390
	s_branch .LBB14_3391
.LBB14_3634:                            ;   in Loop: Header=BB14_17 Depth=1
	s_movk_i32 vcc_lo, 0x80
	v_cmp_eq_u16_e32 vcc, vcc_lo, v14
	s_mov_b64 s[66:67], -1
                                        ; implicit-def: $sgpr70
	s_and_saveexec_b64 s[60:61], vcc
; %bb.3635:                             ;   in Loop: Header=BB14_17 Depth=1
	s_mov_b32 s70, 0x7f800001
	s_xor_b64 s[66:67], exec, -1
; %bb.3636:                             ;   in Loop: Header=BB14_17 Depth=1
	s_or_b64 exec, exec, s[60:61]
	s_and_b64 s[66:67], s[66:67], exec
	s_or_saveexec_b64 s[68:69], s[68:69]
	v_mov_b32_e32 v65, s70
	s_xor_b64 exec, exec, s[68:69]
	s_cbranch_execz .LBB14_3274
.LBB14_3637:                            ;   in Loop: Header=BB14_17 Depth=1
	v_cmp_ne_u16_e32 vcc, 0, v14
	s_andn2_b64 s[60:61], s[66:67], exec
	s_and_b64 vcc, vcc, exec
	v_mov_b32_e32 v65, 0
	s_or_b64 s[66:67], s[60:61], vcc
	s_or_b64 exec, exec, s[68:69]
	s_and_saveexec_b64 s[68:69], s[66:67]
	s_cbranch_execnz .LBB14_3275
	s_branch .LBB14_3276
.LBB14_3638:                            ;   in Loop: Header=BB14_17 Depth=1
	s_movk_i32 vcc_lo, 0x80
	v_cmp_eq_u16_e32 vcc, vcc_lo, v14
	s_mov_b64 s[66:67], -1
                                        ; implicit-def: $sgpr70
	s_and_saveexec_b64 s[60:61], vcc
; %bb.3639:                             ;   in Loop: Header=BB14_17 Depth=1
	s_mov_b32 s70, 0x7f800001
	s_xor_b64 s[66:67], exec, -1
; %bb.3640:                             ;   in Loop: Header=BB14_17 Depth=1
	s_or_b64 exec, exec, s[60:61]
	s_and_b64 s[66:67], s[66:67], exec
	s_or_saveexec_b64 s[68:69], s[68:69]
	v_mov_b32_e32 v66, s70
	s_xor_b64 exec, exec, s[68:69]
	s_cbranch_execz .LBB14_3400
.LBB14_3641:                            ;   in Loop: Header=BB14_17 Depth=1
	v_cmp_ne_u16_e32 vcc, 0, v14
	s_andn2_b64 s[60:61], s[66:67], exec
	s_and_b64 vcc, vcc, exec
	v_mov_b32_e32 v66, 0
	s_or_b64 s[66:67], s[60:61], vcc
	s_or_b64 exec, exec, s[68:69]
	s_and_saveexec_b64 s[68:69], s[66:67]
	s_cbranch_execnz .LBB14_3401
	s_branch .LBB14_3402
.LBB14_3642:                            ;   in Loop: Header=BB14_17 Depth=1
	s_movk_i32 vcc_lo, 0x80
	v_cmp_eq_u16_e32 vcc, vcc_lo, v14
	s_mov_b64 s[66:67], -1
                                        ; implicit-def: $sgpr70
	s_and_saveexec_b64 s[60:61], vcc
; %bb.3643:                             ;   in Loop: Header=BB14_17 Depth=1
	s_mov_b32 s70, 0x7f800001
	s_xor_b64 s[66:67], exec, -1
; %bb.3644:                             ;   in Loop: Header=BB14_17 Depth=1
	s_or_b64 exec, exec, s[60:61]
	s_and_b64 s[66:67], s[66:67], exec
	s_or_saveexec_b64 s[68:69], s[68:69]
	v_mov_b32_e32 v65, s70
	s_xor_b64 exec, exec, s[68:69]
	s_cbranch_execz .LBB14_3513
.LBB14_3645:                            ;   in Loop: Header=BB14_17 Depth=1
	v_cmp_ne_u16_e32 vcc, 0, v14
	s_andn2_b64 s[60:61], s[66:67], exec
	s_and_b64 vcc, vcc, exec
	v_mov_b32_e32 v65, 0
	s_or_b64 s[66:67], s[60:61], vcc
	s_or_b64 exec, exec, s[68:69]
	s_and_saveexec_b64 s[68:69], s[66:67]
	s_cbranch_execnz .LBB14_3514
	s_branch .LBB14_3515
.LBB14_3646:                            ;   in Loop: Header=BB14_17 Depth=1
	s_movk_i32 vcc_lo, 0x80
	v_cmp_eq_u16_e32 vcc, vcc_lo, v14
	s_mov_b64 s[66:67], -1
                                        ; implicit-def: $sgpr70
	s_and_saveexec_b64 s[60:61], vcc
; %bb.3647:                             ;   in Loop: Header=BB14_17 Depth=1
	s_mov_b32 s70, 0x7f800001
	s_xor_b64 s[66:67], exec, -1
; %bb.3648:                             ;   in Loop: Header=BB14_17 Depth=1
	s_or_b64 exec, exec, s[60:61]
	s_and_b64 s[66:67], s[66:67], exec
	s_or_saveexec_b64 s[68:69], s[68:69]
	v_mov_b32_e32 v65, s70
	s_xor_b64 exec, exec, s[68:69]
	s_cbranch_execz .LBB14_3524
.LBB14_3649:                            ;   in Loop: Header=BB14_17 Depth=1
	v_cmp_ne_u16_e32 vcc, 0, v14
	s_andn2_b64 s[60:61], s[66:67], exec
	s_and_b64 vcc, vcc, exec
	v_mov_b32_e32 v65, 0
	s_or_b64 s[66:67], s[60:61], vcc
	s_or_b64 exec, exec, s[68:69]
	s_and_saveexec_b64 s[68:69], s[66:67]
	s_cbranch_execnz .LBB14_3525
	s_branch .LBB14_3526
.LBB14_3650:
	s_or_b64 exec, exec, s[4:5]
	s_xor_b64 s[8:9], s[8:9], -1
	s_xor_b64 s[6:7], s[6:7], -1
	s_mov_b64 s[4:5], 0
	s_and_saveexec_b64 s[10:11], s[6:7]
	s_xor_b64 s[6:7], exec, s[10:11]
	s_cbranch_execnz .LBB14_3655
; %bb.3651:
	s_andn2_saveexec_b64 s[6:7], s[6:7]
	s_cbranch_execnz .LBB14_4765
.LBB14_3652:
	s_or_b64 exec, exec, s[6:7]
	s_and_saveexec_b64 s[6:7], s[4:5]
.LBB14_3653:
	; divergent unreachable
.LBB14_3654:
	s_or_b64 exec, exec, s[6:7]
	v_readlane_b32 s30, v41, 0
	v_readlane_b32 s31, v41, 1
	;; [unrolled: 1-line block ×66, first 2 shown]
	s_or_saveexec_b64 s[4:5], -1
	buffer_load_dword v40, off, s[0:3], s32 offset:256 ; 4-byte Folded Reload
	buffer_load_dword v41, off, s[0:3], s32 offset:260 ; 4-byte Folded Reload
	;; [unrolled: 1-line block ×5, first 2 shown]
	s_mov_b64 exec, s[4:5]
	s_waitcnt vmcnt(0) lgkmcnt(0)
	s_setpc_b64 s[30:31]
.LBB14_3655:
	s_and_saveexec_b64 s[10:11], s[8:9]
	s_xor_b64 s[8:9], exec, s[10:11]
	s_cbranch_execz .LBB14_4763
; %bb.3656:
	buffer_load_dword v112, off, s[0:3], s32 offset:8
	buffer_load_dword v103, off, s[0:3], s32 offset:12
	;; [unrolled: 1-line block ×16, first 2 shown]
	s_waitcnt lgkmcnt(0)
	buffer_load_dword v64, off, s[0:3], s32 offset:100
	buffer_load_dword v65, off, s[0:3], s32 offset:96
	;; [unrolled: 1-line block ×46, first 2 shown]
	v_cmp_lt_i32_e32 vcc, v13, v6
	s_mov_b64 s[14:15], -1
	s_mov_b64 s[16:17], 0
	s_mov_b64 s[10:11], 0
	s_and_saveexec_b64 s[12:13], vcc
	s_cbranch_execz .LBB14_3782
; %bb.3657:
	buffer_load_dword v4, off, s[0:3], s32
	buffer_load_dword v5, off, s[0:3], s32 offset:4
	v_readlane_b32 s4, v44, 1
	v_or_b32_e32 v2, s4, v13
	v_mul_lo_u32 v2, v2, v12
	v_mov_b32_e32 v3, 10
	v_add_co_u32_e32 v2, vcc, v0, v2
	v_cmp_gt_i16_sdwa s[10:11], v11, v3 src0_sel:BYTE_0 src1_sel:DWORD
	v_addc_co_u32_e32 v3, vcc, 0, v1, vcc
	v_add_u32_e32 v102, 0x200, v13
	s_mov_b64 s[4:5], 0
	s_mov_b64 s[14:15], 0
	s_waitcnt vmcnt(0)
	v_mul_f32_e32 v4, v4, v5
	v_cmp_lt_f32_e32 vcc, 0, v5
	v_cndmask_b32_e32 v4, v4, v5, vcc
	s_and_saveexec_b64 s[18:19], s[10:11]
	s_xor_b64 s[10:11], exec, s[18:19]
	s_cbranch_execz .LBB14_3739
; %bb.3658:
	v_mov_b32_e32 v5, 25
	v_cmp_gt_i16_sdwa s[18:19], v11, v5 src0_sel:BYTE_0 src1_sel:DWORD
	s_and_saveexec_b64 s[20:21], s[18:19]
	s_xor_b64 s[18:19], exec, s[20:21]
	s_cbranch_execz .LBB14_3694
; %bb.3659:
	v_mov_b32_e32 v5, 28
	v_cmp_gt_i16_sdwa s[14:15], v11, v5 src0_sel:BYTE_0 src1_sel:DWORD
	s_mov_b64 s[20:21], 0
	s_and_saveexec_b64 s[22:23], s[14:15]
	s_xor_b64 s[14:15], exec, s[22:23]
	s_cbranch_execz .LBB14_3677
; %bb.3660:
	v_mov_b32_e32 v5, 43
	v_cmp_gt_i16_sdwa s[20:21], v11, v5 src0_sel:BYTE_0 src1_sel:DWORD
	s_mov_b64 s[24:25], 0
	;; [unrolled: 7-line block ×3, first 2 shown]
	s_and_saveexec_b64 s[26:27], s[4:5]
	s_xor_b64 s[4:5], exec, s[26:27]
	s_cbranch_execz .LBB14_3665
; %bb.3662:
	v_mov_b32_e32 v5, 46
	v_cmp_eq_u16_sdwa s[28:29], v11, v5 src0_sel:BYTE_0 src1_sel:DWORD
	s_mov_b64 s[26:27], -1
	s_and_saveexec_b64 s[24:25], s[28:29]
	s_cbranch_execz .LBB14_3664
; %bb.3663:
	v_bfe_u32 v5, v4, 16, 1
	s_movk_i32 s26, 0x7fff
	v_add3_u32 v5, v4, v5, s26
	v_lshrrev_b32_e32 v5, 16, v5
	v_mov_b32_e32 v13, 0x7fc0
	v_cmp_o_f32_e32 vcc, v4, v4
	v_cndmask_b32_e32 v4, v13, v5, vcc
	s_mov_b64 s[22:23], exec
	flat_store_dword v[2:3], v4
	s_xor_b64 s[26:27], exec, -1
.LBB14_3664:
	s_or_b64 exec, exec, s[24:25]
	s_and_b64 s[24:25], s[26:27], exec
	s_and_b64 s[22:23], s[22:23], exec
                                        ; implicit-def: $vgpr2_vgpr3
                                        ; implicit-def: $vgpr4
.LBB14_3665:
	s_andn2_saveexec_b64 s[26:27], s[4:5]
	s_cbranch_execz .LBB14_3671
; %bb.3666:
	v_mov_b32_e32 v5, 44
	v_cmp_eq_u16_sdwa s[30:31], v11, v5 src0_sel:BYTE_0 src1_sel:DWORD
	s_mov_b64 vcc, -1
	s_mov_b64 s[4:5], s[22:23]
	s_and_saveexec_b64 s[28:29], s[30:31]
	s_cbranch_execz .LBB14_3670
; %bb.3667:
	v_bfe_u32 v5, v4, 23, 8
	s_movk_i32 s4, 0xff
	v_cmp_ne_u32_e32 vcc, s4, v5
	v_mov_b32_e32 v13, 0xff
	s_and_saveexec_b64 s[30:31], vcc
; %bb.3668:
	s_mov_b32 s4, 0x3fffff
	v_lshrrev_b32_e32 v13, 23, v4
	v_and_b32_e32 v113, 0x400000, v4
	v_and_or_b32 v4, v4, s4, v5
	v_cmp_ne_u32_e32 vcc, 0, v113
	v_cmp_ne_u32_e64 s[4:5], 0, v4
	s_and_b64 s[4:5], vcc, s[4:5]
	v_cndmask_b32_e64 v4, 0, 1, s[4:5]
	v_add_u32_e32 v13, v13, v4
; %bb.3669:
	s_or_b64 exec, exec, s[30:31]
	s_xor_b64 vcc, exec, -1
	s_or_b64 s[4:5], s[22:23], exec
	flat_store_byte v[2:3], v13
.LBB14_3670:
	s_or_b64 exec, exec, s[28:29]
	s_andn2_b64 s[24:25], s[24:25], exec
	s_and_b64 s[28:29], vcc, exec
	s_andn2_b64 s[22:23], s[22:23], exec
	s_and_b64 s[4:5], s[4:5], exec
	s_or_b64 s[24:25], s[24:25], s[28:29]
	s_or_b64 s[22:23], s[22:23], s[4:5]
.LBB14_3671:
	s_or_b64 exec, exec, s[26:27]
	s_and_b64 s[24:25], s[24:25], exec
	s_and_b64 s[4:5], s[22:23], exec
                                        ; implicit-def: $vgpr4
                                        ; implicit-def: $vgpr2_vgpr3
.LBB14_3672:
	s_andn2_saveexec_b64 s[20:21], s[20:21]
	s_cbranch_execz .LBB14_3676
; %bb.3673:
	v_mov_b32_e32 v5, 29
	v_cmp_eq_u16_sdwa vcc, v11, v5 src0_sel:BYTE_0 src1_sel:DWORD
	s_mov_b64 s[28:29], -1
	s_mov_b64 s[26:27], s[4:5]
	s_and_saveexec_b64 s[22:23], vcc
	s_cbranch_execz .LBB14_3675
; %bb.3674:
	v_trunc_f32_e32 v4, v4
	v_mul_f32_e32 v5, 0x2f800000, v4
	v_floor_f32_e32 v13, v5
	v_fmac_f32_e32 v4, 0xcf800000, v13
	v_cvt_u32_f32_e32 v5, v13
	v_cvt_u32_f32_e32 v4, v4
	s_xor_b64 s[28:29], exec, -1
	s_or_b64 s[26:27], s[4:5], exec
	flat_store_dwordx2 v[2:3], v[4:5]
.LBB14_3675:
	s_or_b64 exec, exec, s[22:23]
	s_andn2_b64 s[22:23], s[24:25], exec
	s_and_b64 s[24:25], s[28:29], exec
	s_or_b64 s[24:25], s[22:23], s[24:25]
	s_andn2_b64 s[4:5], s[4:5], exec
	s_and_b64 s[22:23], s[26:27], exec
	s_or_b64 s[4:5], s[4:5], s[22:23]
.LBB14_3676:
	s_or_b64 exec, exec, s[20:21]
	s_and_b64 s[20:21], s[24:25], exec
	s_and_b64 s[4:5], s[4:5], exec
                                        ; implicit-def: $vgpr2_vgpr3
                                        ; implicit-def: $vgpr4
.LBB14_3677:
	s_andn2_saveexec_b64 s[14:15], s[14:15]
	s_cbranch_execz .LBB14_3693
; %bb.3678:
	v_mov_b32_e32 v5, 26
	v_cmp_gt_i16_sdwa s[22:23], v11, v5 src0_sel:BYTE_0 src1_sel:DWORD
	s_and_saveexec_b64 s[24:25], s[22:23]
	s_xor_b64 s[22:23], exec, s[24:25]
	s_cbranch_execz .LBB14_3684
; %bb.3679:
	v_cvt_u32_f32_e32 v4, v4
	v_mov_b32_e32 v5, 27
	v_cmp_gt_i16_sdwa s[24:25], v11, v5 src0_sel:BYTE_0 src1_sel:DWORD
	s_and_saveexec_b64 s[26:27], s[24:25]
	s_xor_b64 s[24:25], exec, s[26:27]
	s_cbranch_execz .LBB14_3681
; %bb.3680:
	flat_store_dword v[2:3], v4
                                        ; implicit-def: $vgpr2_vgpr3
                                        ; implicit-def: $vgpr4
.LBB14_3681:
	s_andn2_saveexec_b64 s[24:25], s[24:25]
	s_cbranch_execz .LBB14_3683
; %bb.3682:
	flat_store_short v[2:3], v4
.LBB14_3683:
	s_or_b64 exec, exec, s[24:25]
                                        ; implicit-def: $vgpr2_vgpr3
                                        ; implicit-def: $vgpr4
.LBB14_3684:
	s_andn2_saveexec_b64 s[22:23], s[22:23]
	s_cbranch_execz .LBB14_3692
; %bb.3685:
	v_and_b32_e32 v5, 0x7fffffff, v4
	s_mov_b32 s24, 0x43800000
	v_cmp_gt_u32_e32 vcc, s24, v5
	v_mov_b32_e32 v13, 0x80
	s_and_saveexec_b64 s[24:25], vcc
	s_cbranch_execz .LBB14_3691
; %bb.3686:
	s_mov_b32 s26, 0x3bffffff
	v_cmp_lt_u32_e32 vcc, s26, v5
	s_mov_b64 s[26:27], 0
                                        ; implicit-def: $vgpr5
	s_and_saveexec_b64 s[28:29], vcc
	s_xor_b64 s[28:29], exec, s[28:29]
	s_cbranch_execnz .LBB14_5255
; %bb.3687:
	s_or_saveexec_b64 s[28:29], s[28:29]
                                        ; implicit-def: $sgpr30
	s_xor_b64 exec, exec, s[28:29]
	s_cbranch_execnz .LBB14_5256
.LBB14_3688:
	s_or_b64 exec, exec, s[28:29]
	v_mov_b32_e32 v13, s30
	s_and_saveexec_b64 s[28:29], s[26:27]
.LBB14_3689:
	v_lshrrev_b32_e32 v4, 24, v4
	s_movk_i32 s26, 0x80
	v_and_or_b32 v13, v4, s26, v5
.LBB14_3690:
	s_or_b64 exec, exec, s[28:29]
.LBB14_3691:
	s_or_b64 exec, exec, s[24:25]
	flat_store_byte v[2:3], v13
.LBB14_3692:
	s_or_b64 exec, exec, s[22:23]
	s_or_b64 s[4:5], s[4:5], exec
.LBB14_3693:
	s_or_b64 exec, exec, s[14:15]
	s_and_b64 s[14:15], s[20:21], exec
	s_and_b64 s[4:5], s[4:5], exec
                                        ; implicit-def: $vgpr4
                                        ; implicit-def: $vgpr2_vgpr3
.LBB14_3694:
	s_andn2_saveexec_b64 s[18:19], s[18:19]
	s_cbranch_execz .LBB14_3738
; %bb.3695:
	v_mov_b32_e32 v5, 22
	v_cmp_gt_i16_sdwa s[20:21], v11, v5 src0_sel:BYTE_0 src1_sel:DWORD
	s_mov_b64 s[22:23], s[4:5]
	s_and_saveexec_b64 s[24:25], s[20:21]
	s_xor_b64 s[20:21], exec, s[24:25]
	s_cbranch_execz .LBB14_3727
; %bb.3696:
	v_mov_b32_e32 v5, 23
	v_cmp_gt_i16_sdwa s[22:23], v11, v5 src0_sel:BYTE_0 src1_sel:DWORD
	s_and_saveexec_b64 s[24:25], s[22:23]
	s_xor_b64 s[22:23], exec, s[24:25]
	s_cbranch_execz .LBB14_3716
; %bb.3697:
	v_mov_b32_e32 v5, 24
	v_cmp_gt_i16_sdwa s[24:25], v11, v5 src0_sel:BYTE_0 src1_sel:DWORD
	s_and_saveexec_b64 s[26:27], s[24:25]
	s_xor_b64 s[24:25], exec, s[26:27]
	s_cbranch_execz .LBB14_3705
; %bb.3698:
	v_and_b32_e32 v5, 0x7fffffff, v4
	s_mov_b32 s26, 0x47800000
	v_cmp_gt_u32_e32 vcc, s26, v5
	v_mov_b32_e32 v13, 0x80
	s_and_saveexec_b64 s[26:27], vcc
	s_cbranch_execz .LBB14_3704
; %bb.3699:
	s_mov_b32 s28, 0x37ffffff
	v_cmp_lt_u32_e32 vcc, s28, v5
	s_mov_b64 s[28:29], 0
                                        ; implicit-def: $vgpr5
	s_and_saveexec_b64 s[30:31], vcc
	s_xor_b64 vcc, exec, s[30:31]
	s_cbranch_execnz .LBB14_5379
; %bb.3700:
	s_or_saveexec_b64 s[30:31], vcc
                                        ; implicit-def: $sgpr34
	s_xor_b64 exec, exec, s[30:31]
	s_cbranch_execnz .LBB14_5380
.LBB14_3701:
	s_or_b64 exec, exec, s[30:31]
	v_mov_b32_e32 v13, s34
	s_and_saveexec_b64 vcc, s[28:29]
.LBB14_3702:
	v_lshrrev_b32_e32 v4, 24, v4
	s_movk_i32 s28, 0x80
	v_and_or_b32 v13, v4, s28, v5
.LBB14_3703:
	s_or_b64 exec, exec, vcc
.LBB14_3704:
	s_or_b64 exec, exec, s[26:27]
	flat_store_byte v[2:3], v13
                                        ; implicit-def: $vgpr4
                                        ; implicit-def: $vgpr2_vgpr3
.LBB14_3705:
	s_andn2_saveexec_b64 s[24:25], s[24:25]
	s_cbranch_execz .LBB14_3715
; %bb.3706:
	v_and_b32_e32 v13, 0x7fffffff, v4
	s_mov_b32 s26, 0x43f00000
	v_cmp_gt_u32_e32 vcc, s26, v13
                                        ; implicit-def: $vgpr5
	s_and_saveexec_b64 s[26:27], vcc
	s_xor_b64 s[26:27], exec, s[26:27]
	s_cbranch_execz .LBB14_3712
; %bb.3707:
	s_mov_b32 s28, 0x3c7fffff
	v_cmp_lt_u32_e32 vcc, s28, v13
                                        ; implicit-def: $vgpr5
	s_and_saveexec_b64 s[28:29], vcc
	s_xor_b64 s[28:29], exec, s[28:29]
; %bb.3708:
	v_bfe_u32 v5, v4, 20, 1
	s_mov_b32 vcc_lo, 0x407ffff
	v_add3_u32 v5, v4, v5, vcc_lo
	v_lshrrev_b32_e32 v13, 20, v5
	v_and_b32_e32 v5, 0xff00000, v5
	s_mov_b32 vcc_lo, 0x7f00000
	v_mov_b32_e32 v113, 0x7e
	v_cmp_ne_u32_e32 vcc, vcc_lo, v5
	v_cndmask_b32_e32 v5, v113, v13, vcc
; %bb.3709:
	s_andn2_saveexec_b64 s[28:29], s[28:29]
; %bb.3710:
	s_mov_b32 s30, 0x46800000
	v_add_f32_e64 v5, |v4|, s30
; %bb.3711:
	s_or_b64 exec, exec, s[28:29]
                                        ; implicit-def: $vgpr13
.LBB14_3712:
	s_andn2_saveexec_b64 s[26:27], s[26:27]
; %bb.3713:
	s_mov_b32 s28, 0x7f800000
	v_mov_b32_e32 v5, 0x7e
	v_mov_b32_e32 v113, 0x7f
	v_cmp_lt_u32_e32 vcc, s28, v13
	v_cndmask_b32_e32 v5, v5, v113, vcc
; %bb.3714:
	s_or_b64 exec, exec, s[26:27]
	v_lshrrev_b32_e32 v4, 24, v4
	s_movk_i32 s26, 0x80
	v_and_or_b32 v4, v4, s26, v5
	flat_store_byte v[2:3], v4
.LBB14_3715:
	s_or_b64 exec, exec, s[24:25]
                                        ; implicit-def: $vgpr4
                                        ; implicit-def: $vgpr2_vgpr3
.LBB14_3716:
	s_andn2_saveexec_b64 s[22:23], s[22:23]
	s_cbranch_execz .LBB14_3726
; %bb.3717:
	v_and_b32_e32 v13, 0x7fffffff, v4
	s_mov_b32 s24, 0x47800000
	v_cmp_gt_u32_e32 vcc, s24, v13
                                        ; implicit-def: $vgpr5
	s_and_saveexec_b64 s[24:25], vcc
	s_xor_b64 s[24:25], exec, s[24:25]
	s_cbranch_execz .LBB14_3723
; %bb.3718:
	s_mov_b32 s26, 0x387fffff
	v_cmp_lt_u32_e32 vcc, s26, v13
                                        ; implicit-def: $vgpr5
	s_and_saveexec_b64 s[26:27], vcc
	s_xor_b64 s[26:27], exec, s[26:27]
; %bb.3719:
	v_bfe_u32 v5, v4, 21, 1
	s_mov_b32 s28, 0x80fffff
	v_add3_u32 v5, v4, v5, s28
	v_lshrrev_b32_e32 v5, 21, v5
; %bb.3720:
	s_andn2_saveexec_b64 s[26:27], s[26:27]
; %bb.3721:
	s_mov_b32 s28, 0x43000000
	v_add_f32_e64 v5, |v4|, s28
; %bb.3722:
	s_or_b64 exec, exec, s[26:27]
                                        ; implicit-def: $vgpr13
.LBB14_3723:
	s_andn2_saveexec_b64 s[24:25], s[24:25]
; %bb.3724:
	s_mov_b32 s26, 0x7f800000
	v_mov_b32_e32 v5, 0x7c
	v_mov_b32_e32 v113, 0x7f
	v_cmp_lt_u32_e32 vcc, s26, v13
	v_cndmask_b32_e32 v5, v5, v113, vcc
; %bb.3725:
	s_or_b64 exec, exec, s[24:25]
	v_lshrrev_b32_e32 v4, 24, v4
	s_movk_i32 s24, 0x80
	v_and_or_b32 v4, v4, s24, v5
	flat_store_byte v[2:3], v4
.LBB14_3726:
	s_or_b64 exec, exec, s[22:23]
	s_or_b64 s[22:23], s[4:5], exec
                                        ; implicit-def: $vgpr4
                                        ; implicit-def: $vgpr2_vgpr3
.LBB14_3727:
	s_or_saveexec_b64 s[20:21], s[20:21]
	s_mov_b64 s[26:27], s[14:15]
	s_xor_b64 exec, exec, s[20:21]
	s_cbranch_execz .LBB14_3737
; %bb.3728:
	v_mov_b32_e32 v5, 14
	v_cmp_gt_i16_sdwa s[28:29], v11, v5 src0_sel:BYTE_0 src1_sel:DWORD
	s_mov_b64 s[24:25], s[22:23]
	s_mov_b64 s[26:27], s[14:15]
	s_and_saveexec_b64 vcc, s[28:29]
	s_xor_b64 s[28:29], exec, vcc
	s_cbranch_execz .LBB14_3732
; %bb.3729:
	v_mov_b32_e32 v5, 15
	v_cmp_eq_u16_sdwa s[30:31], v11, v5 src0_sel:BYTE_0 src1_sel:DWORD
	s_mov_b64 s[26:27], -1
	s_mov_b64 vcc, s[22:23]
	s_and_saveexec_b64 s[24:25], s[30:31]
	s_cbranch_execz .LBB14_3731
; %bb.3730:
	v_bfe_u32 v5, v4, 16, 1
	s_movk_i32 s26, 0x7fff
	v_add3_u32 v5, v4, v5, s26
	v_lshrrev_b32_e32 v5, 16, v5
	v_mov_b32_e32 v13, 0x7fc0
	v_cmp_o_f32_e32 vcc, v4, v4
	v_cndmask_b32_e32 v4, v13, v5, vcc
	flat_store_short v[2:3], v4
	s_xor_b64 s[26:27], exec, -1
	s_or_b64 vcc, s[22:23], exec
.LBB14_3731:
	s_or_b64 exec, exec, s[24:25]
	s_andn2_b64 s[24:25], s[14:15], exec
	s_and_b64 s[26:27], s[26:27], exec
	s_or_b64 s[26:27], s[24:25], s[26:27]
	s_andn2_b64 s[24:25], s[22:23], exec
	s_and_b64 vcc, vcc, exec
	s_or_b64 s[24:25], s[24:25], vcc
                                        ; implicit-def: $vgpr4
                                        ; implicit-def: $vgpr2_vgpr3
.LBB14_3732:
	s_andn2_saveexec_b64 s[28:29], s[28:29]
	s_cbranch_execz .LBB14_3736
; %bb.3733:
	v_mov_b32_e32 v5, 11
	v_cmp_eq_u16_sdwa s[36:37], v11, v5 src0_sel:BYTE_0 src1_sel:DWORD
	s_mov_b64 s[30:31], -1
	s_mov_b64 vcc, s[24:25]
	s_and_saveexec_b64 s[34:35], s[36:37]
	s_cbranch_execz .LBB14_3735
; %bb.3734:
	v_cmp_neq_f32_e32 vcc, 0, v4
	v_cndmask_b32_e64 v4, 0, 1, vcc
	flat_store_byte v[2:3], v4
	s_xor_b64 s[30:31], exec, -1
	s_or_b64 vcc, s[24:25], exec
.LBB14_3735:
	s_or_b64 exec, exec, s[34:35]
	s_andn2_b64 s[26:27], s[26:27], exec
	s_and_b64 s[30:31], s[30:31], exec
	s_andn2_b64 s[24:25], s[24:25], exec
	s_and_b64 vcc, vcc, exec
	s_or_b64 s[26:27], s[26:27], s[30:31]
	s_or_b64 s[24:25], s[24:25], vcc
.LBB14_3736:
	s_or_b64 exec, exec, s[28:29]
	s_andn2_b64 s[28:29], s[14:15], exec
	s_and_b64 s[26:27], s[26:27], exec
	s_andn2_b64 s[22:23], s[22:23], exec
	s_and_b64 s[24:25], s[24:25], exec
	s_or_b64 s[26:27], s[28:29], s[26:27]
	s_or_b64 s[22:23], s[22:23], s[24:25]
.LBB14_3737:
	s_or_b64 exec, exec, s[20:21]
	s_andn2_b64 s[14:15], s[14:15], exec
	s_and_b64 s[20:21], s[26:27], exec
	s_or_b64 s[14:15], s[14:15], s[20:21]
	s_andn2_b64 s[4:5], s[4:5], exec
	s_and_b64 s[20:21], s[22:23], exec
	s_or_b64 s[4:5], s[4:5], s[20:21]
.LBB14_3738:
	s_or_b64 exec, exec, s[18:19]
	s_and_b64 s[14:15], s[14:15], exec
	s_and_b64 s[4:5], s[4:5], exec
                                        ; implicit-def: $vgpr4
                                        ; implicit-def: $vgpr2_vgpr3
.LBB14_3739:
	s_andn2_saveexec_b64 s[10:11], s[10:11]
	s_cbranch_execz .LBB14_3781
; %bb.3740:
	v_mov_b32_e32 v5, 4
	v_cmp_gt_i16_sdwa s[18:19], v11, v5 src0_sel:BYTE_0 src1_sel:DWORD
	s_and_saveexec_b64 s[20:21], s[18:19]
	s_xor_b64 s[18:19], exec, s[20:21]
	s_cbranch_execz .LBB14_3762
; %bb.3741:
	v_mov_b32_e32 v5, 7
	v_cmp_gt_i16_sdwa s[20:21], v11, v5 src0_sel:BYTE_0 src1_sel:DWORD
	s_and_saveexec_b64 s[22:23], s[20:21]
	s_xor_b64 s[20:21], exec, s[22:23]
	;; [unrolled: 6-line block ×4, first 2 shown]
	s_cbranch_execz .LBB14_3745
; %bb.3744:
	v_mov_b32_e32 v116, 0
	v_cvt_f64_f32_e32 v[114:115], v4
	v_mov_b32_e32 v117, v116
	flat_store_dwordx4 v[2:3], v[114:117]
                                        ; implicit-def: $vgpr4
                                        ; implicit-def: $vgpr2_vgpr3
.LBB14_3745:
	s_andn2_saveexec_b64 s[24:25], s[24:25]
	s_cbranch_execz .LBB14_3747
; %bb.3746:
	v_mov_b32_e32 v5, 0
	flat_store_dwordx2 v[2:3], v[4:5]
.LBB14_3747:
	s_or_b64 exec, exec, s[24:25]
                                        ; implicit-def: $vgpr4
                                        ; implicit-def: $vgpr2_vgpr3
.LBB14_3748:
	s_andn2_saveexec_b64 s[22:23], s[22:23]
	s_cbranch_execz .LBB14_3750
; %bb.3749:
	v_cvt_f16_f32_e32 v4, v4
	flat_store_dword v[2:3], v4
.LBB14_3750:
	s_or_b64 exec, exec, s[22:23]
                                        ; implicit-def: $vgpr4
                                        ; implicit-def: $vgpr2_vgpr3
.LBB14_3751:
	s_andn2_saveexec_b64 s[20:21], s[20:21]
	s_cbranch_execz .LBB14_3761
; %bb.3752:
	v_mov_b32_e32 v5, 5
	v_cmp_gt_i16_sdwa s[22:23], v11, v5 src0_sel:BYTE_0 src1_sel:DWORD
	s_and_saveexec_b64 s[24:25], s[22:23]
	s_xor_b64 s[22:23], exec, s[24:25]
	s_cbranch_execz .LBB14_3758
; %bb.3753:
	v_mov_b32_e32 v5, 6
	v_cmp_gt_i16_sdwa s[24:25], v11, v5 src0_sel:BYTE_0 src1_sel:DWORD
	s_and_saveexec_b64 s[26:27], s[24:25]
	s_xor_b64 s[24:25], exec, s[26:27]
	s_cbranch_execz .LBB14_3755
; %bb.3754:
	v_cvt_f64_f32_e32 v[4:5], v4
	flat_store_dwordx2 v[2:3], v[4:5]
                                        ; implicit-def: $vgpr2_vgpr3
                                        ; implicit-def: $vgpr4
.LBB14_3755:
	s_andn2_saveexec_b64 s[24:25], s[24:25]
	s_cbranch_execz .LBB14_3757
; %bb.3756:
	flat_store_dword v[2:3], v4
.LBB14_3757:
	s_or_b64 exec, exec, s[24:25]
                                        ; implicit-def: $vgpr4
                                        ; implicit-def: $vgpr2_vgpr3
.LBB14_3758:
	s_andn2_saveexec_b64 s[22:23], s[22:23]
	s_cbranch_execz .LBB14_3760
; %bb.3759:
	v_cvt_f16_f32_e32 v4, v4
	flat_store_short v[2:3], v4
.LBB14_3760:
	s_or_b64 exec, exec, s[22:23]
.LBB14_3761:
	s_or_b64 exec, exec, s[20:21]
                                        ; implicit-def: $vgpr4
                                        ; implicit-def: $vgpr2_vgpr3
.LBB14_3762:
	s_andn2_saveexec_b64 s[18:19], s[18:19]
	s_cbranch_execz .LBB14_3780
; %bb.3763:
	v_mov_b32_e32 v5, 1
	v_cmp_gt_i16_sdwa s[20:21], v11, v5 src0_sel:BYTE_0 src1_sel:DWORD
	s_and_saveexec_b64 s[22:23], s[20:21]
	s_xor_b64 s[20:21], exec, s[22:23]
	s_cbranch_execz .LBB14_3773
; %bb.3764:
	v_mov_b32_e32 v5, 2
	v_cmp_gt_i16_sdwa s[22:23], v11, v5 src0_sel:BYTE_0 src1_sel:DWORD
	s_and_saveexec_b64 s[24:25], s[22:23]
	s_xor_b64 s[22:23], exec, s[24:25]
	;; [unrolled: 6-line block ×3, first 2 shown]
	s_cbranch_execz .LBB14_3767
; %bb.3766:
	v_trunc_f32_e32 v4, v4
	s_mov_b32 s26, 0x2f800000
	v_mul_f32_e64 v5, |v4|, s26
	v_floor_f32_e32 v5, v5
	s_mov_b32 s26, 0xcf800000
	v_cvt_u32_f32_e32 v13, v5
	v_fma_f32 v5, v5, s26, |v4|
	v_cvt_u32_f32_e32 v5, v5
	v_ashrrev_i32_e32 v113, 31, v4
	v_xor_b32_e32 v13, v13, v113
	v_xor_b32_e32 v4, v5, v113
	v_sub_co_u32_e32 v4, vcc, v4, v113
	v_subb_co_u32_e32 v5, vcc, v13, v113, vcc
	flat_store_dwordx2 v[2:3], v[4:5]
                                        ; implicit-def: $vgpr4
                                        ; implicit-def: $vgpr2_vgpr3
.LBB14_3767:
	s_andn2_saveexec_b64 s[24:25], s[24:25]
	s_cbranch_execz .LBB14_3769
; %bb.3768:
	v_cvt_i32_f32_e32 v4, v4
	flat_store_dword v[2:3], v4
.LBB14_3769:
	s_or_b64 exec, exec, s[24:25]
                                        ; implicit-def: $vgpr4
                                        ; implicit-def: $vgpr2_vgpr3
.LBB14_3770:
	s_andn2_saveexec_b64 s[22:23], s[22:23]
	s_cbranch_execz .LBB14_3772
; %bb.3771:
	v_cvt_i32_f32_e32 v4, v4
	flat_store_short v[2:3], v4
.LBB14_3772:
	s_or_b64 exec, exec, s[22:23]
                                        ; implicit-def: $vgpr4
                                        ; implicit-def: $vgpr2_vgpr3
.LBB14_3773:
	s_andn2_saveexec_b64 s[20:21], s[20:21]
	s_cbranch_execz .LBB14_3779
; %bb.3774:
	v_mov_b32_e32 v5, 0
	v_cmp_gt_i16_sdwa s[22:23], v11, v5 src0_sel:BYTE_0 src1_sel:DWORD
	s_and_saveexec_b64 s[24:25], s[22:23]
	s_xor_b64 s[22:23], exec, s[24:25]
	s_cbranch_execz .LBB14_3776
; %bb.3775:
	v_cvt_i32_f32_e32 v4, v4
	flat_store_byte v[2:3], v4
                                        ; implicit-def: $vgpr4
                                        ; implicit-def: $vgpr2_vgpr3
.LBB14_3776:
	s_andn2_saveexec_b64 s[22:23], s[22:23]
	s_cbranch_execz .LBB14_3778
; %bb.3777:
	v_trunc_f32_e32 v4, v4
	s_mov_b32 s24, 0x2f800000
	v_mul_f32_e64 v5, |v4|, s24
	v_floor_f32_e32 v5, v5
	s_mov_b32 s24, 0xcf800000
	v_fma_f32 v5, v5, s24, |v4|
	v_cvt_u32_f32_e32 v5, v5
	v_ashrrev_i32_e32 v4, 31, v4
	v_xor_b32_e32 v5, v5, v4
	v_sub_u32_e32 v4, v5, v4
	flat_store_byte v[2:3], v4
.LBB14_3778:
	s_or_b64 exec, exec, s[22:23]
.LBB14_3779:
	s_or_b64 exec, exec, s[20:21]
.LBB14_3780:
	s_or_b64 exec, exec, s[18:19]
	s_or_b64 s[4:5], s[4:5], exec
.LBB14_3781:
	s_or_b64 exec, exec, s[10:11]
	s_and_b64 s[10:11], s[14:15], exec
	s_orn2_b64 s[14:15], s[4:5], exec
	v_mov_b32_e32 v13, v102
.LBB14_3782:
	s_or_b64 exec, exec, s[12:13]
	s_mov_b64 s[18:19], 0
	s_mov_b64 s[4:5], 0
                                        ; implicit-def: $vgpr2
                                        ; implicit-def: $vgpr102
                                        ; implicit-def: $vgpr4_vgpr5
	s_and_saveexec_b64 s[12:13], s[14:15]
	s_cbranch_execnz .LBB14_3786
; %bb.3783:
	s_or_b64 exec, exec, s[12:13]
	s_mov_b64 s[12:13], 0
	s_and_saveexec_b64 s[14:15], s[10:11]
	s_cbranch_execnz .LBB14_4719
.LBB14_3784:
	s_or_b64 exec, exec, s[14:15]
	s_and_saveexec_b64 s[10:11], s[16:17]
	s_xor_b64 s[10:11], exec, s[10:11]
	s_cbranch_execnz .LBB14_4720
.LBB14_3785:
	s_or_b64 exec, exec, s[10:11]
	s_and_saveexec_b64 s[10:11], s[18:19]
	s_cbranch_execnz .LBB14_4721
	s_branch .LBB14_4762
.LBB14_3786:
	v_cmp_lt_i32_e32 vcc, v13, v6
	s_mov_b64 s[4:5], -1
	s_mov_b64 s[14:15], s[10:11]
	s_and_saveexec_b64 s[16:17], vcc
	s_cbranch_execz .LBB14_3792
; %bb.3787:
	v_readlane_b32 s4, v44, 1
	v_add_u32_e32 v2, s4, v13
	v_mul_lo_u32 v2, v2, v12
	v_add_co_u32_e32 v2, vcc, v0, v2
	v_addc_co_u32_e32 v3, vcc, 0, v1, vcc
	s_waitcnt vmcnt(0)
	v_mul_f32_e32 v4, v112, v103
	v_cmp_lt_f32_e32 vcc, 0, v103
	v_mov_b32_e32 v5, 10
	v_cndmask_b32_e32 v4, v4, v103, vcc
	v_cmp_gt_i16_sdwa s[14:15], v11, v5 src0_sel:BYTE_0 src1_sel:DWORD
	s_mov_b64 s[4:5], 0
	s_mov_b64 s[18:19], s[10:11]
	s_and_saveexec_b64 s[20:21], s[14:15]
	s_xor_b64 s[14:15], exec, s[20:21]
	s_cbranch_execnz .LBB14_4766
; %bb.3788:
	s_andn2_saveexec_b64 s[14:15], s[14:15]
	s_cbranch_execnz .LBB14_4847
.LBB14_3789:
	s_or_b64 exec, exec, s[14:15]
	s_mov_b64 s[20:21], 0
	s_and_saveexec_b64 s[14:15], s[4:5]
.LBB14_3790:
	s_mov_b64 s[20:21], exec
	v_add_u32_e32 v13, 0x200, v13
.LBB14_3791:
	s_or_b64 exec, exec, s[14:15]
	s_andn2_b64 s[4:5], s[10:11], exec
	s_and_b64 s[14:15], s[18:19], exec
	s_or_b64 s[14:15], s[4:5], s[14:15]
	s_orn2_b64 s[4:5], s[20:21], exec
.LBB14_3792:
	s_or_b64 exec, exec, s[16:17]
	s_mov_b64 s[20:21], 0
	s_mov_b64 s[22:23], 0
	;; [unrolled: 1-line block ×3, first 2 shown]
                                        ; implicit-def: $vgpr2
                                        ; implicit-def: $vgpr102
                                        ; implicit-def: $vgpr4_vgpr5
	s_and_saveexec_b64 s[16:17], s[4:5]
	s_cbranch_execz .LBB14_4718
; %bb.3793:
	v_cmp_lt_i32_e32 vcc, v13, v6
	s_mov_b64 s[22:23], -1
	s_mov_b64 s[18:19], s[14:15]
	s_and_saveexec_b64 s[20:21], vcc
	s_cbranch_execz .LBB14_3799
; %bb.3794:
	v_readlane_b32 s4, v44, 1
	v_add_u32_e32 v2, s4, v13
	v_mul_lo_u32 v2, v2, v12
	v_add_co_u32_e32 v2, vcc, v0, v2
	v_addc_co_u32_e32 v3, vcc, 0, v1, vcc
	s_waitcnt vmcnt(0)
	v_mul_f32_e32 v4, v101, v100
	v_cmp_lt_f32_e32 vcc, 0, v100
	v_mov_b32_e32 v5, 10
	v_cndmask_b32_e32 v4, v4, v100, vcc
	v_cmp_gt_i16_sdwa s[18:19], v11, v5 src0_sel:BYTE_0 src1_sel:DWORD
	s_mov_b64 s[4:5], 0
	s_mov_b64 s[22:23], s[14:15]
	s_and_saveexec_b64 s[24:25], s[18:19]
	s_xor_b64 s[18:19], exec, s[24:25]
	s_cbranch_execnz .LBB14_4889
; %bb.3795:
	s_andn2_saveexec_b64 s[18:19], s[18:19]
	s_cbranch_execnz .LBB14_4970
.LBB14_3796:
	s_or_b64 exec, exec, s[18:19]
	s_mov_b64 s[24:25], 0
	s_and_saveexec_b64 s[18:19], s[4:5]
.LBB14_3797:
	s_mov_b64 s[24:25], exec
	v_add_u32_e32 v13, 0x200, v13
.LBB14_3798:
	s_or_b64 exec, exec, s[18:19]
	s_andn2_b64 s[4:5], s[14:15], exec
	s_and_b64 s[18:19], s[22:23], exec
	s_or_b64 s[18:19], s[4:5], s[18:19]
	s_orn2_b64 s[22:23], s[24:25], exec
.LBB14_3799:
	s_or_b64 exec, exec, s[20:21]
	s_mov_b64 s[4:5], 0
	s_mov_b64 s[24:25], 0
	;; [unrolled: 1-line block ×3, first 2 shown]
                                        ; implicit-def: $vgpr2
                                        ; implicit-def: $vgpr102
                                        ; implicit-def: $vgpr4_vgpr5
	s_and_saveexec_b64 s[20:21], s[22:23]
	s_cbranch_execz .LBB14_4717
; %bb.3800:
	v_cmp_lt_i32_e32 vcc, v13, v6
	s_mov_b64 s[26:27], -1
	s_mov_b64 s[22:23], s[18:19]
	s_and_saveexec_b64 s[24:25], vcc
	s_cbranch_execz .LBB14_3806
; %bb.3801:
	v_readlane_b32 s4, v44, 1
	v_add_u32_e32 v2, s4, v13
	v_mul_lo_u32 v2, v2, v12
	v_add_co_u32_e32 v2, vcc, v0, v2
	v_addc_co_u32_e32 v3, vcc, 0, v1, vcc
	s_waitcnt vmcnt(0)
	v_mul_f32_e32 v4, v99, v98
	v_cmp_lt_f32_e32 vcc, 0, v98
	v_mov_b32_e32 v5, 10
	v_cndmask_b32_e32 v4, v4, v98, vcc
	v_cmp_gt_i16_sdwa s[22:23], v11, v5 src0_sel:BYTE_0 src1_sel:DWORD
	s_mov_b64 s[4:5], 0
	s_mov_b64 s[26:27], s[18:19]
	s_and_saveexec_b64 s[28:29], s[22:23]
	s_xor_b64 s[22:23], exec, s[28:29]
	s_cbranch_execnz .LBB14_5011
; %bb.3802:
	s_andn2_saveexec_b64 s[22:23], s[22:23]
	s_cbranch_execnz .LBB14_5092
.LBB14_3803:
	s_or_b64 exec, exec, s[22:23]
	s_mov_b64 s[28:29], 0
	s_and_saveexec_b64 s[22:23], s[4:5]
.LBB14_3804:
	s_mov_b64 s[28:29], exec
	v_add_u32_e32 v13, 0x200, v13
.LBB14_3805:
	s_or_b64 exec, exec, s[22:23]
	s_andn2_b64 s[4:5], s[18:19], exec
	s_and_b64 s[22:23], s[26:27], exec
	s_or_b64 s[22:23], s[4:5], s[22:23]
	s_orn2_b64 s[26:27], s[28:29], exec
.LBB14_3806:
	s_or_b64 exec, exec, s[24:25]
	s_mov_b64 s[4:5], 0
	s_mov_b64 s[28:29], 0
	;; [unrolled: 1-line block ×3, first 2 shown]
                                        ; implicit-def: $vgpr2
                                        ; implicit-def: $vgpr102
                                        ; implicit-def: $vgpr4_vgpr5
	s_and_saveexec_b64 s[24:25], s[26:27]
	s_cbranch_execz .LBB14_4716
; %bb.3807:
	v_cmp_lt_i32_e32 vcc, v13, v6
	s_mov_b64 s[4:5], -1
	s_mov_b64 s[26:27], s[22:23]
	s_and_saveexec_b64 s[28:29], vcc
	s_cbranch_execz .LBB14_3813
; %bb.3808:
	v_readlane_b32 s4, v44, 1
	v_add_u32_e32 v2, s4, v13
	v_mul_lo_u32 v2, v2, v12
	v_add_co_u32_e32 v2, vcc, v0, v2
	v_addc_co_u32_e32 v3, vcc, 0, v1, vcc
	s_waitcnt vmcnt(0)
	v_mul_f32_e32 v4, v97, v96
	v_cmp_lt_f32_e32 vcc, 0, v96
	v_mov_b32_e32 v5, 10
	v_cndmask_b32_e32 v4, v4, v96, vcc
	v_cmp_gt_i16_sdwa s[26:27], v11, v5 src0_sel:BYTE_0 src1_sel:DWORD
	s_mov_b64 s[4:5], 0
	s_mov_b64 s[30:31], s[22:23]
	s_and_saveexec_b64 vcc, s[26:27]
	s_xor_b64 s[26:27], exec, vcc
	s_cbranch_execnz .LBB14_5133
; %bb.3809:
	s_andn2_saveexec_b64 s[26:27], s[26:27]
	s_cbranch_execnz .LBB14_5214
.LBB14_3810:
	s_or_b64 exec, exec, s[26:27]
	s_mov_b64 vcc, 0
	s_and_saveexec_b64 s[26:27], s[4:5]
.LBB14_3811:
	s_mov_b64 vcc, exec
	v_add_u32_e32 v13, 0x200, v13
.LBB14_3812:
	s_or_b64 exec, exec, s[26:27]
	s_andn2_b64 s[4:5], s[22:23], exec
	s_and_b64 s[26:27], s[30:31], exec
	s_or_b64 s[26:27], s[4:5], s[26:27]
	s_orn2_b64 s[4:5], vcc, exec
.LBB14_3813:
	s_or_b64 exec, exec, s[28:29]
	s_mov_b64 vcc, 0
	s_mov_b64 s[30:31], 0
	s_mov_b64 s[34:35], 0
                                        ; implicit-def: $vgpr2
                                        ; implicit-def: $vgpr102
                                        ; implicit-def: $vgpr4_vgpr5
	s_and_saveexec_b64 s[28:29], s[4:5]
	s_cbranch_execz .LBB14_4715
; %bb.3814:
	v_cmp_lt_i32_e32 vcc, v13, v6
	s_mov_b64 s[34:35], -1
	s_mov_b64 s[4:5], s[26:27]
	s_and_saveexec_b64 s[30:31], vcc
	s_cbranch_execz .LBB14_3820
; %bb.3815:
	v_readlane_b32 s4, v44, 1
	v_add_u32_e32 v2, s4, v13
	v_mul_lo_u32 v2, v2, v12
	v_add_co_u32_e32 v2, vcc, v0, v2
	v_addc_co_u32_e32 v3, vcc, 0, v1, vcc
	s_waitcnt vmcnt(0)
	v_mul_f32_e32 v4, v87, v86
	v_cmp_lt_f32_e32 vcc, 0, v86
	v_mov_b32_e32 v5, 10
	v_cndmask_b32_e32 v4, v4, v86, vcc
	v_cmp_gt_i16_sdwa vcc, v11, v5 src0_sel:BYTE_0 src1_sel:DWORD
	s_mov_b64 s[4:5], 0
	s_mov_b64 s[36:37], s[26:27]
	s_and_saveexec_b64 s[34:35], vcc
	s_xor_b64 s[34:35], exec, s[34:35]
	s_cbranch_execnz .LBB14_5257
; %bb.3816:
	s_andn2_saveexec_b64 s[34:35], s[34:35]
	s_cbranch_execnz .LBB14_5338
.LBB14_3817:
	s_or_b64 exec, exec, s[34:35]
	s_mov_b64 vcc, 0
	s_and_saveexec_b64 s[34:35], s[4:5]
.LBB14_3818:
	s_mov_b64 vcc, exec
	v_add_u32_e32 v13, 0x200, v13
.LBB14_3819:
	s_or_b64 exec, exec, s[34:35]
	s_andn2_b64 s[4:5], s[26:27], exec
	s_and_b64 s[34:35], s[36:37], exec
	s_or_b64 s[4:5], s[4:5], s[34:35]
	s_orn2_b64 s[34:35], vcc, exec
.LBB14_3820:
	s_or_b64 exec, exec, s[30:31]
	s_mov_b64 vcc, 0
	s_mov_b64 s[36:37], 0
	s_mov_b64 s[38:39], 0
                                        ; implicit-def: $vgpr2
                                        ; implicit-def: $vgpr102
                                        ; implicit-def: $vgpr4_vgpr5
	s_and_saveexec_b64 s[30:31], s[34:35]
	s_cbranch_execz .LBB14_4714
; %bb.3821:
	v_cmp_lt_i32_e32 vcc, v13, v6
	s_mov_b64 s[38:39], -1
	s_mov_b64 s[34:35], s[4:5]
	s_and_saveexec_b64 s[36:37], vcc
	s_cbranch_execz .LBB14_3827
; %bb.3822:
	v_readlane_b32 vcc_lo, v44, 1
	v_add_u32_e32 v2, vcc_lo, v13
	v_mul_lo_u32 v2, v2, v12
	v_add_co_u32_e32 v2, vcc, v0, v2
	v_addc_co_u32_e32 v3, vcc, 0, v1, vcc
	s_waitcnt vmcnt(0)
	v_mul_f32_e32 v4, v85, v84
	v_cmp_lt_f32_e32 vcc, 0, v84
	v_mov_b32_e32 v5, 10
	v_cndmask_b32_e32 v4, v4, v84, vcc
	v_cmp_gt_i16_sdwa vcc, v11, v5 src0_sel:BYTE_0 src1_sel:DWORD
	s_mov_b64 s[38:39], 0
	s_mov_b64 s[40:41], s[4:5]
	s_and_saveexec_b64 s[34:35], vcc
	s_xor_b64 s[34:35], exec, s[34:35]
	s_cbranch_execnz .LBB14_5381
; %bb.3823:
	s_andn2_saveexec_b64 s[34:35], s[34:35]
	s_cbranch_execnz .LBB14_5462
.LBB14_3824:
	s_or_b64 exec, exec, s[34:35]
	s_mov_b64 vcc, 0
	s_and_saveexec_b64 s[34:35], s[38:39]
.LBB14_3825:
	s_mov_b64 vcc, exec
	v_add_u32_e32 v13, 0x200, v13
.LBB14_3826:
	s_or_b64 exec, exec, s[34:35]
	s_andn2_b64 s[34:35], s[4:5], exec
	s_and_b64 s[38:39], s[40:41], exec
	s_or_b64 s[34:35], s[34:35], s[38:39]
	s_orn2_b64 s[38:39], vcc, exec
.LBB14_3827:
	s_or_b64 exec, exec, s[36:37]
	s_mov_b64 vcc, 0
	s_mov_b64 s[42:43], 0
	s_mov_b64 s[46:47], 0
                                        ; implicit-def: $vgpr2
                                        ; implicit-def: $vgpr102
                                        ; implicit-def: $vgpr4_vgpr5
	s_and_saveexec_b64 s[36:37], s[38:39]
	s_cbranch_execz .LBB14_4713
; %bb.3828:
	v_cmp_lt_i32_e32 vcc, v13, v6
	s_mov_b64 s[42:43], -1
	s_mov_b64 s[38:39], s[34:35]
	s_and_saveexec_b64 s[40:41], vcc
	s_cbranch_execz .LBB14_3834
; %bb.3829:
	v_readlane_b32 vcc_lo, v44, 1
	v_add_u32_e32 v2, vcc_lo, v13
	v_mul_lo_u32 v2, v2, v12
	v_add_co_u32_e32 v2, vcc, v0, v2
	v_addc_co_u32_e32 v3, vcc, 0, v1, vcc
	s_waitcnt vmcnt(0)
	v_mul_f32_e32 v4, v83, v82
	v_cmp_lt_f32_e32 vcc, 0, v82
	v_mov_b32_e32 v5, 10
	v_cndmask_b32_e32 v4, v4, v82, vcc
	v_cmp_gt_i16_sdwa vcc, v11, v5 src0_sel:BYTE_0 src1_sel:DWORD
	s_mov_b64 s[42:43], 0
	s_mov_b64 s[44:45], s[34:35]
	s_and_saveexec_b64 s[38:39], vcc
	s_xor_b64 s[38:39], exec, s[38:39]
	s_cbranch_execnz .LBB14_5505
; %bb.3830:
	s_andn2_saveexec_b64 s[38:39], s[38:39]
	s_cbranch_execnz .LBB14_5586
.LBB14_3831:
	s_or_b64 exec, exec, s[38:39]
	s_mov_b64 vcc, 0
	s_and_saveexec_b64 s[38:39], s[42:43]
.LBB14_3832:
	s_mov_b64 vcc, exec
	v_add_u32_e32 v13, 0x200, v13
.LBB14_3833:
	s_or_b64 exec, exec, s[38:39]
	s_andn2_b64 s[38:39], s[34:35], exec
	s_and_b64 s[42:43], s[44:45], exec
	s_or_b64 s[38:39], s[38:39], s[42:43]
	s_orn2_b64 s[42:43], vcc, exec
.LBB14_3834:
	s_or_b64 exec, exec, s[40:41]
	s_mov_b64 s[40:41], 0
	s_mov_b64 s[44:45], 0
	;; [unrolled: 1-line block ×3, first 2 shown]
                                        ; implicit-def: $vgpr2
                                        ; implicit-def: $vgpr102
                                        ; implicit-def: $vgpr4_vgpr5
	s_and_saveexec_b64 vcc, s[42:43]
	s_cbranch_execz .LBB14_4712
; %bb.3835:
	v_writelane_b32 v44, vcc_lo, 56
	v_writelane_b32 v44, vcc_hi, 57
	v_cmp_lt_i32_e32 vcc, v13, v6
	s_mov_b64 s[48:49], -1
	v_writelane_b32 v44, s38, 58
	v_writelane_b32 v44, s39, 59
	s_and_saveexec_b64 s[40:41], vcc
	s_cbranch_execz .LBB14_3841
; %bb.3836:
	v_readlane_b32 vcc_lo, v44, 1
	v_add_u32_e32 v2, vcc_lo, v13
	v_mul_lo_u32 v2, v2, v12
	v_add_co_u32_e32 v2, vcc, v0, v2
	v_addc_co_u32_e32 v3, vcc, 0, v1, vcc
	s_waitcnt vmcnt(0)
	v_mul_f32_e32 v4, v81, v80
	v_cmp_lt_f32_e32 vcc, 0, v80
	v_mov_b32_e32 v5, 10
	v_cndmask_b32_e32 v4, v4, v80, vcc
	v_cmp_gt_i16_sdwa vcc, v11, v5 src0_sel:BYTE_0 src1_sel:DWORD
	s_mov_b64 s[46:47], s[38:39]
	s_and_saveexec_b64 s[42:43], vcc
	s_xor_b64 s[42:43], exec, s[42:43]
	s_cbranch_execnz .LBB14_5631
; %bb.3837:
	s_andn2_saveexec_b64 s[42:43], s[42:43]
	s_cbranch_execnz .LBB14_5712
.LBB14_3838:
	s_or_b64 exec, exec, s[42:43]
	s_mov_b64 vcc, 0
	s_and_saveexec_b64 s[42:43], s[44:45]
.LBB14_3839:
	s_mov_b64 vcc, exec
	v_add_u32_e32 v13, 0x200, v13
.LBB14_3840:
	s_or_b64 exec, exec, s[42:43]
	s_andn2_b64 s[42:43], s[38:39], exec
	s_and_b64 s[44:45], s[46:47], exec
	s_or_b64 s[42:43], s[42:43], s[44:45]
	v_writelane_b32 v44, s42, 58
	v_writelane_b32 v44, s43, 59
	s_orn2_b64 s[48:49], vcc, exec
.LBB14_3841:
	s_or_b64 exec, exec, s[40:41]
	s_mov_b64 s[42:43], 0
	s_mov_b64 s[44:45], 0
	;; [unrolled: 1-line block ×3, first 2 shown]
                                        ; implicit-def: $vgpr2
                                        ; implicit-def: $vgpr102
                                        ; implicit-def: $vgpr4_vgpr5
	s_and_saveexec_b64 s[40:41], s[48:49]
	v_readlane_b32 vcc_lo, v44, 56
	v_readlane_b32 vcc_hi, v44, 57
	s_cbranch_execz .LBB14_4711
; %bb.3842:
	v_writelane_b32 v44, s40, 60
	v_writelane_b32 v44, s41, 61
	v_readlane_b32 s40, v44, 58
	v_readlane_b32 s41, v44, 59
	v_cmp_lt_i32_e32 vcc, v13, v6
	s_mov_b64 s[50:51], -1
	v_writelane_b32 v44, s40, 62
	v_writelane_b32 v44, s41, 63
	s_and_saveexec_b64 s[40:41], vcc
	s_cbranch_execz .LBB14_3848
; %bb.3843:
	v_readlane_b32 vcc_lo, v44, 1
	v_add_u32_e32 v2, vcc_lo, v13
	v_mul_lo_u32 v2, v2, v12
	v_add_co_u32_e32 v2, vcc, v0, v2
	v_addc_co_u32_e32 v3, vcc, 0, v1, vcc
	s_waitcnt vmcnt(0)
	v_mul_f32_e32 v4, v71, v70
	v_cmp_lt_f32_e32 vcc, 0, v70
	v_cndmask_b32_e32 v4, v4, v70, vcc
	v_readlane_b32 vcc_lo, v44, 58
	v_mov_b32_e32 v5, 10
	v_readlane_b32 vcc_hi, v44, 59
	v_cmp_gt_i16_sdwa s[42:43], v11, v5 src0_sel:BYTE_0 src1_sel:DWORD
	s_mov_b64 s[46:47], vcc
	s_and_saveexec_b64 s[48:49], s[42:43]
	s_xor_b64 s[42:43], exec, s[48:49]
	s_cbranch_execnz .LBB14_5757
; %bb.3844:
	s_andn2_saveexec_b64 s[42:43], s[42:43]
	s_cbranch_execnz .LBB14_5838
.LBB14_3845:
	s_or_b64 exec, exec, s[42:43]
	s_mov_b64 s[42:43], 0
	s_and_saveexec_b64 s[48:49], s[44:45]
.LBB14_3846:
	s_mov_b64 s[42:43], exec
	v_add_u32_e32 v13, 0x200, v13
.LBB14_3847:
	s_or_b64 exec, exec, s[48:49]
	s_andn2_b64 vcc, vcc, exec
	s_and_b64 s[44:45], s[46:47], exec
	s_or_b64 vcc, vcc, s[44:45]
	v_writelane_b32 v44, vcc_lo, 62
	v_writelane_b32 v44, vcc_hi, 63
	s_orn2_b64 s[50:51], s[42:43], exec
.LBB14_3848:
	s_or_b64 exec, exec, s[40:41]
	s_mov_b64 s[42:43], 0
	s_mov_b64 s[44:45], 0
	;; [unrolled: 1-line block ×3, first 2 shown]
                                        ; implicit-def: $vgpr2
                                        ; implicit-def: $vgpr102
                                        ; implicit-def: $vgpr4_vgpr5
	s_and_saveexec_b64 s[46:47], s[50:51]
	v_readlane_b32 vcc_lo, v44, 56
	v_readlane_b32 s40, v44, 60
	v_readlane_b32 vcc_hi, v44, 57
	v_readlane_b32 s41, v44, 61
	s_cbranch_execz .LBB14_4710
; %bb.3849:
                                        ; implicit-def: $vgpr43 : SGPR spill to VGPR lane
	v_readlane_b32 s40, v44, 62
	v_writelane_b32 v43, s46, 0
	v_writelane_b32 v43, s47, 1
	v_readlane_b32 s41, v44, 63
	v_cmp_lt_i32_e32 vcc, v13, v6
	s_mov_b64 s[46:47], -1
	v_writelane_b32 v43, s40, 2
	v_writelane_b32 v43, s41, 3
	s_and_saveexec_b64 s[40:41], vcc
	s_cbranch_execz .LBB14_3855
; %bb.3850:
	v_readlane_b32 vcc_lo, v44, 1
	v_add_u32_e32 v2, vcc_lo, v13
	v_mul_lo_u32 v2, v2, v12
	v_add_co_u32_e32 v2, vcc, v0, v2
	v_addc_co_u32_e32 v3, vcc, 0, v1, vcc
	s_waitcnt vmcnt(0)
	v_mul_f32_e32 v4, v69, v68
	v_cmp_lt_f32_e32 vcc, 0, v68
	v_cndmask_b32_e32 v4, v4, v68, vcc
	v_readlane_b32 vcc_lo, v44, 62
	v_mov_b32_e32 v5, 10
	v_readlane_b32 vcc_hi, v44, 63
	v_cmp_gt_i16_sdwa s[42:43], v11, v5 src0_sel:BYTE_0 src1_sel:DWORD
	s_mov_b64 s[46:47], vcc
	s_and_saveexec_b64 s[44:45], s[42:43]
	s_xor_b64 s[42:43], exec, s[44:45]
	s_cbranch_execnz .LBB14_5883
; %bb.3851:
	s_andn2_saveexec_b64 s[42:43], s[42:43]
	s_cbranch_execnz .LBB14_5964
.LBB14_3852:
	s_or_b64 exec, exec, s[42:43]
	s_mov_b64 s[42:43], 0
	s_and_saveexec_b64 s[44:45], s[48:49]
.LBB14_3853:
	s_mov_b64 s[42:43], exec
	v_add_u32_e32 v13, 0x200, v13
.LBB14_3854:
	s_or_b64 exec, exec, s[44:45]
	s_andn2_b64 vcc, vcc, exec
	s_and_b64 s[44:45], s[46:47], exec
	s_or_b64 vcc, vcc, s[44:45]
	v_writelane_b32 v43, vcc_lo, 2
	v_writelane_b32 v43, vcc_hi, 3
	s_orn2_b64 s[46:47], s[42:43], exec
.LBB14_3855:
	s_or_b64 exec, exec, s[40:41]
	s_mov_b64 s[42:43], 0
	s_mov_b64 s[44:45], 0
	;; [unrolled: 1-line block ×3, first 2 shown]
                                        ; implicit-def: $vgpr2
                                        ; implicit-def: $vgpr102
                                        ; implicit-def: $vgpr4_vgpr5
	s_and_saveexec_b64 s[50:51], s[46:47]
	v_readlane_b32 vcc_lo, v44, 56
	v_readlane_b32 s40, v44, 60
	v_readlane_b32 s46, v43, 0
	v_readlane_b32 vcc_hi, v44, 57
	v_readlane_b32 s41, v44, 61
	v_readlane_b32 s47, v43, 1
	s_cbranch_execz .LBB14_4709
; %bb.3856:
	v_writelane_b32 v43, s50, 4
	v_writelane_b32 v43, s51, 5
	v_readlane_b32 s40, v43, 2
	v_cmp_lt_i32_e32 vcc, v13, v6
	s_mov_b64 s[46:47], -1
	v_readlane_b32 s41, v43, 3
	s_and_saveexec_b64 s[42:43], vcc
	s_cbranch_execz .LBB14_3862
; %bb.3857:
	s_mov_b64 s[44:45], s[4:5]
	v_readlane_b32 s4, v44, 1
	v_add_u32_e32 v2, s4, v13
	v_mul_lo_u32 v2, v2, v12
	v_add_co_u32_e32 v2, vcc, v0, v2
	v_addc_co_u32_e32 v3, vcc, 0, v1, vcc
	s_waitcnt vmcnt(0)
	v_mul_f32_e32 v4, v67, v66
	v_cmp_lt_f32_e32 vcc, 0, v66
	v_cndmask_b32_e32 v4, v4, v66, vcc
	v_readlane_b32 vcc_lo, v43, 2
	v_mov_b32_e32 v5, 10
	v_readlane_b32 vcc_hi, v43, 3
	v_cmp_gt_i16_sdwa s[40:41], v11, v5 src0_sel:BYTE_0 src1_sel:DWORD
	s_mov_b64 s[4:5], 0
	s_mov_b64 s[46:47], vcc
	s_and_saveexec_b64 s[48:49], s[40:41]
	s_xor_b64 s[40:41], exec, s[48:49]
	s_cbranch_execnz .LBB14_6009
; %bb.3858:
	s_andn2_saveexec_b64 s[40:41], s[40:41]
	s_cbranch_execnz .LBB14_6090
.LBB14_3859:
	s_or_b64 exec, exec, s[40:41]
	s_mov_b64 vcc, 0
	s_and_saveexec_b64 s[40:41], s[4:5]
.LBB14_3860:
	s_mov_b64 vcc, exec
	v_add_u32_e32 v13, 0x200, v13
.LBB14_3861:
	s_or_b64 exec, exec, s[40:41]
	v_readlane_b32 s4, v43, 2
	v_readlane_b32 s5, v43, 3
	s_andn2_b64 s[4:5], s[4:5], exec
	s_and_b64 s[40:41], s[46:47], exec
	s_or_b64 s[40:41], s[4:5], s[40:41]
	s_orn2_b64 s[46:47], vcc, exec
	s_mov_b64 s[4:5], s[44:45]
.LBB14_3862:
	s_or_b64 exec, exec, s[42:43]
	s_mov_b64 vcc, 0
	s_mov_b64 s[42:43], 0
	s_mov_b64 s[44:45], 0
                                        ; implicit-def: $vgpr2
                                        ; implicit-def: $vgpr102
                                        ; implicit-def: $vgpr4_vgpr5
	s_and_saveexec_b64 s[48:49], s[46:47]
	s_cbranch_execz .LBB14_4708
; %bb.3863:
	v_writelane_b32 v43, s48, 6
	v_writelane_b32 v43, s49, 7
	;; [unrolled: 1-line block ×4, first 2 shown]
	v_cmp_lt_i32_e32 vcc, v13, v6
	s_mov_b64 s[44:45], -1
	s_mov_b64 s[4:5], s[40:41]
	s_and_saveexec_b64 s[42:43], vcc
	s_cbranch_execz .LBB14_3869
; %bb.3864:
	v_readlane_b32 s4, v44, 1
	v_add_u32_e32 v2, s4, v13
	v_mul_lo_u32 v2, v2, v12
	v_add_co_u32_e32 v2, vcc, v0, v2
	v_addc_co_u32_e32 v3, vcc, 0, v1, vcc
	s_waitcnt vmcnt(0)
	v_mul_f32_e32 v4, v65, v64
	v_cmp_lt_f32_e32 vcc, 0, v64
	v_mov_b32_e32 v5, 10
	v_cndmask_b32_e32 v4, v4, v64, vcc
	v_cmp_gt_i16_sdwa vcc, v11, v5 src0_sel:BYTE_0 src1_sel:DWORD
	s_mov_b64 s[4:5], 0
	s_mov_b64 s[46:47], s[40:41]
	s_and_saveexec_b64 s[44:45], vcc
	s_xor_b64 s[44:45], exec, s[44:45]
	s_cbranch_execnz .LBB14_6135
; %bb.3865:
	s_andn2_saveexec_b64 s[44:45], s[44:45]
	s_cbranch_execnz .LBB14_6216
.LBB14_3866:
	s_or_b64 exec, exec, s[44:45]
	s_mov_b64 vcc, 0
	s_and_saveexec_b64 s[44:45], s[4:5]
.LBB14_3867:
	s_mov_b64 vcc, exec
	v_add_u32_e32 v13, 0x200, v13
.LBB14_3868:
	s_or_b64 exec, exec, s[44:45]
	s_andn2_b64 s[4:5], s[40:41], exec
	s_and_b64 s[44:45], s[46:47], exec
	s_or_b64 s[4:5], s[4:5], s[44:45]
	s_orn2_b64 s[44:45], vcc, exec
.LBB14_3869:
	s_or_b64 exec, exec, s[42:43]
	s_mov_b64 vcc, 0
	s_mov_b64 s[48:49], 0
	s_mov_b64 s[50:51], 0
                                        ; implicit-def: $vgpr2
                                        ; implicit-def: $vgpr102
                                        ; implicit-def: $vgpr4_vgpr5
	s_and_saveexec_b64 s[42:43], s[44:45]
	s_cbranch_execz .LBB14_4707
; %bb.3870:
	v_cmp_lt_i32_e32 vcc, v13, v6
	s_mov_b64 s[50:51], -1
	s_mov_b64 s[44:45], s[4:5]
	s_mov_b64 s[46:47], s[4:5]
	s_and_saveexec_b64 s[48:49], vcc
	s_cbranch_execz .LBB14_3876
; %bb.3871:
	v_readlane_b32 s4, v44, 1
	v_add_u32_e32 v2, s4, v13
	v_mul_lo_u32 v2, v2, v12
	v_add_co_u32_e32 v2, vcc, v0, v2
	v_addc_co_u32_e32 v3, vcc, 0, v1, vcc
	s_waitcnt vmcnt(0)
	v_mul_f32_e32 v4, v55, v54
	v_cmp_lt_f32_e32 vcc, 0, v54
	v_mov_b32_e32 v5, 10
	v_cndmask_b32_e32 v4, v4, v54, vcc
	v_cmp_gt_i16_sdwa vcc, v11, v5 src0_sel:BYTE_0 src1_sel:DWORD
	s_mov_b64 s[4:5], 0
	s_mov_b64 s[50:51], s[44:45]
	s_and_saveexec_b64 s[46:47], vcc
	s_xor_b64 s[46:47], exec, s[46:47]
	s_cbranch_execnz .LBB14_6261
; %bb.3872:
	s_andn2_saveexec_b64 s[46:47], s[46:47]
	s_cbranch_execnz .LBB14_6342
.LBB14_3873:
	s_or_b64 exec, exec, s[46:47]
	s_mov_b64 vcc, 0
	s_and_saveexec_b64 s[46:47], s[4:5]
.LBB14_3874:
	s_mov_b64 vcc, exec
	v_add_u32_e32 v13, 0x200, v13
.LBB14_3875:
	s_or_b64 exec, exec, s[46:47]
	s_andn2_b64 s[4:5], s[44:45], exec
	s_and_b64 s[46:47], s[50:51], exec
	s_or_b64 s[46:47], s[4:5], s[46:47]
	s_orn2_b64 s[50:51], vcc, exec
.LBB14_3876:
	s_or_b64 exec, exec, s[48:49]
	s_mov_b64 s[4:5], 0
	s_mov_b64 vcc, 0
	s_mov_b64 s[52:53], 0
                                        ; implicit-def: $vgpr2
                                        ; implicit-def: $vgpr102
                                        ; implicit-def: $vgpr4_vgpr5
	s_and_saveexec_b64 s[48:49], s[50:51]
	s_cbranch_execz .LBB14_4706
; %bb.3877:
	v_cmp_lt_i32_e32 vcc, v13, v6
	s_mov_b64 s[54:55], -1
	s_mov_b64 s[50:51], s[46:47]
	s_and_saveexec_b64 s[52:53], vcc
	s_cbranch_execz .LBB14_3883
; %bb.3878:
	v_readlane_b32 s4, v44, 1
	v_add_u32_e32 v2, s4, v13
	v_mul_lo_u32 v2, v2, v12
	v_add_co_u32_e32 v2, vcc, v0, v2
	v_addc_co_u32_e32 v3, vcc, 0, v1, vcc
	s_waitcnt vmcnt(0)
	v_mul_f32_e32 v4, v53, v52
	v_cmp_lt_f32_e32 vcc, 0, v52
	v_mov_b32_e32 v5, 10
	v_cndmask_b32_e32 v4, v4, v52, vcc
	v_cmp_gt_i16_sdwa vcc, v11, v5 src0_sel:BYTE_0 src1_sel:DWORD
	s_mov_b64 s[4:5], 0
	s_mov_b64 s[54:55], s[46:47]
	s_and_saveexec_b64 s[50:51], vcc
	s_xor_b64 s[50:51], exec, s[50:51]
	s_cbranch_execnz .LBB14_6387
; %bb.3879:
	s_andn2_saveexec_b64 s[50:51], s[50:51]
	s_cbranch_execnz .LBB14_6468
.LBB14_3880:
	s_or_b64 exec, exec, s[50:51]
	s_mov_b64 vcc, 0
	s_and_saveexec_b64 s[50:51], s[4:5]
.LBB14_3881:
	s_mov_b64 vcc, exec
	v_add_u32_e32 v13, 0x200, v13
.LBB14_3882:
	s_or_b64 exec, exec, s[50:51]
	s_andn2_b64 s[4:5], s[46:47], exec
	s_and_b64 s[50:51], s[54:55], exec
	s_or_b64 s[50:51], s[4:5], s[50:51]
	s_orn2_b64 s[54:55], vcc, exec
.LBB14_3883:
	s_or_b64 exec, exec, s[52:53]
	s_mov_b64 s[4:5], 0
	s_mov_b64 vcc, 0
	s_mov_b64 s[56:57], 0
                                        ; implicit-def: $vgpr2
                                        ; implicit-def: $vgpr102
                                        ; implicit-def: $vgpr4_vgpr5
	s_and_saveexec_b64 s[52:53], s[54:55]
	s_cbranch_execz .LBB14_4705
; %bb.3884:
	v_cmp_lt_i32_e32 vcc, v13, v6
	s_mov_b64 s[58:59], -1
	s_mov_b64 s[54:55], s[50:51]
	s_and_saveexec_b64 s[56:57], vcc
	s_cbranch_execz .LBB14_3890
; %bb.3885:
	v_readlane_b32 s4, v44, 1
	v_add_u32_e32 v2, s4, v13
	v_mul_lo_u32 v2, v2, v12
	v_add_co_u32_e32 v2, vcc, v0, v2
	v_addc_co_u32_e32 v3, vcc, 0, v1, vcc
	s_waitcnt vmcnt(0)
	v_mul_f32_e32 v4, v51, v50
	v_cmp_lt_f32_e32 vcc, 0, v50
	v_mov_b32_e32 v5, 10
	v_cndmask_b32_e32 v4, v4, v50, vcc
	v_cmp_gt_i16_sdwa vcc, v11, v5 src0_sel:BYTE_0 src1_sel:DWORD
	s_mov_b64 s[4:5], 0
	s_mov_b64 s[58:59], s[50:51]
	s_and_saveexec_b64 s[54:55], vcc
	s_xor_b64 s[54:55], exec, s[54:55]
	s_cbranch_execnz .LBB14_6513
; %bb.3886:
	s_andn2_saveexec_b64 s[54:55], s[54:55]
	s_cbranch_execnz .LBB14_6594
.LBB14_3887:
	s_or_b64 exec, exec, s[54:55]
	s_mov_b64 vcc, 0
	s_and_saveexec_b64 s[54:55], s[4:5]
.LBB14_3888:
	s_mov_b64 vcc, exec
	v_add_u32_e32 v13, 0x200, v13
.LBB14_3889:
	s_or_b64 exec, exec, s[54:55]
	s_andn2_b64 s[4:5], s[50:51], exec
	s_and_b64 s[54:55], s[58:59], exec
	s_or_b64 s[54:55], s[4:5], s[54:55]
	s_orn2_b64 s[58:59], vcc, exec
.LBB14_3890:
	s_or_b64 exec, exec, s[56:57]
	s_mov_b64 s[4:5], 0
	s_mov_b64 vcc, 0
	s_mov_b64 s[60:61], 0
                                        ; implicit-def: $vgpr2
                                        ; implicit-def: $vgpr102
                                        ; implicit-def: $vgpr4_vgpr5
	s_and_saveexec_b64 s[56:57], s[58:59]
	s_cbranch_execz .LBB14_4704
; %bb.3891:
	v_cmp_lt_i32_e32 vcc, v13, v6
	s_mov_b64 s[62:63], -1
	s_mov_b64 s[58:59], s[54:55]
	s_and_saveexec_b64 s[60:61], vcc
	s_cbranch_execz .LBB14_3897
; %bb.3892:
	v_readlane_b32 s4, v44, 1
	v_add_u32_e32 v2, s4, v13
	v_mul_lo_u32 v2, v2, v12
	v_add_co_u32_e32 v2, vcc, v0, v2
	v_addc_co_u32_e32 v3, vcc, 0, v1, vcc
	s_waitcnt vmcnt(0)
	v_mul_f32_e32 v4, v49, v48
	v_cmp_lt_f32_e32 vcc, 0, v48
	v_mov_b32_e32 v5, 10
	v_cndmask_b32_e32 v4, v4, v48, vcc
	v_cmp_gt_i16_sdwa vcc, v11, v5 src0_sel:BYTE_0 src1_sel:DWORD
	s_mov_b64 s[4:5], 0
	s_mov_b64 s[62:63], s[54:55]
	s_and_saveexec_b64 s[58:59], vcc
	s_xor_b64 s[58:59], exec, s[58:59]
	s_cbranch_execnz .LBB14_6639
; %bb.3893:
	s_andn2_saveexec_b64 s[58:59], s[58:59]
	s_cbranch_execnz .LBB14_6720
.LBB14_3894:
	s_or_b64 exec, exec, s[58:59]
	s_mov_b64 vcc, 0
	s_and_saveexec_b64 s[58:59], s[4:5]
.LBB14_3895:
	s_mov_b64 vcc, exec
	v_add_u32_e32 v13, 0x200, v13
.LBB14_3896:
	s_or_b64 exec, exec, s[58:59]
	s_andn2_b64 s[4:5], s[54:55], exec
	s_and_b64 s[58:59], s[62:63], exec
	s_or_b64 s[58:59], s[4:5], s[58:59]
	s_orn2_b64 s[62:63], vcc, exec
.LBB14_3897:
	s_or_b64 exec, exec, s[60:61]
	s_mov_b64 s[4:5], 0
	s_mov_b64 vcc, 0
	s_mov_b64 s[64:65], 0
                                        ; implicit-def: $vgpr2
                                        ; implicit-def: $vgpr102
                                        ; implicit-def: $vgpr4_vgpr5
	s_and_saveexec_b64 s[60:61], s[62:63]
	s_cbranch_execz .LBB14_4703
; %bb.3898:
	v_cmp_lt_i32_e32 vcc, v13, v6
	s_mov_b64 s[66:67], -1
	s_mov_b64 s[62:63], s[58:59]
	s_and_saveexec_b64 s[64:65], vcc
	s_cbranch_execz .LBB14_3904
; %bb.3899:
	v_readlane_b32 s4, v44, 1
	v_add_u32_e32 v2, s4, v13
	v_mul_lo_u32 v2, v2, v12
	v_add_co_u32_e32 v2, vcc, v0, v2
	v_addc_co_u32_e32 v3, vcc, 0, v1, vcc
	s_waitcnt vmcnt(0)
	v_mul_f32_e32 v4, v39, v38
	v_cmp_lt_f32_e32 vcc, 0, v38
	v_mov_b32_e32 v5, 10
	v_cndmask_b32_e32 v4, v4, v38, vcc
	v_cmp_gt_i16_sdwa vcc, v11, v5 src0_sel:BYTE_0 src1_sel:DWORD
	s_mov_b64 s[4:5], 0
	s_mov_b64 s[66:67], s[58:59]
	s_and_saveexec_b64 s[62:63], vcc
	s_xor_b64 s[62:63], exec, s[62:63]
	s_cbranch_execnz .LBB14_6765
; %bb.3900:
	s_andn2_saveexec_b64 s[62:63], s[62:63]
	s_cbranch_execnz .LBB14_6846
.LBB14_3901:
	s_or_b64 exec, exec, s[62:63]
	s_mov_b64 vcc, 0
	s_and_saveexec_b64 s[62:63], s[4:5]
.LBB14_3902:
	s_mov_b64 vcc, exec
	v_add_u32_e32 v13, 0x200, v13
.LBB14_3903:
	s_or_b64 exec, exec, s[62:63]
	s_andn2_b64 s[4:5], s[58:59], exec
	s_and_b64 s[62:63], s[66:67], exec
	s_or_b64 s[62:63], s[4:5], s[62:63]
	s_orn2_b64 s[66:67], vcc, exec
.LBB14_3904:
	s_or_b64 exec, exec, s[64:65]
	s_mov_b64 s[4:5], 0
	s_mov_b64 vcc, 0
	s_mov_b64 s[68:69], 0
                                        ; implicit-def: $vgpr2
                                        ; implicit-def: $vgpr102
                                        ; implicit-def: $vgpr4_vgpr5
	s_and_saveexec_b64 s[64:65], s[66:67]
	s_cbranch_execz .LBB14_4702
; %bb.3905:
	v_cmp_lt_i32_e32 vcc, v13, v6
	s_mov_b64 s[70:71], -1
	s_mov_b64 s[66:67], s[62:63]
	s_and_saveexec_b64 s[68:69], vcc
	s_cbranch_execz .LBB14_3911
; %bb.3906:
	v_readlane_b32 s4, v44, 1
	v_add_u32_e32 v2, s4, v13
	v_mul_lo_u32 v2, v2, v12
	v_add_co_u32_e32 v2, vcc, v0, v2
	v_addc_co_u32_e32 v3, vcc, 0, v1, vcc
	s_waitcnt vmcnt(0)
	v_mul_f32_e32 v4, v37, v36
	v_cmp_lt_f32_e32 vcc, 0, v36
	v_mov_b32_e32 v5, 10
	v_cndmask_b32_e32 v4, v4, v36, vcc
	v_cmp_gt_i16_sdwa vcc, v11, v5 src0_sel:BYTE_0 src1_sel:DWORD
	s_mov_b64 s[4:5], 0
	s_mov_b64 s[70:71], s[62:63]
	s_and_saveexec_b64 s[66:67], vcc
	s_xor_b64 s[66:67], exec, s[66:67]
	s_cbranch_execnz .LBB14_6891
; %bb.3907:
	s_andn2_saveexec_b64 s[66:67], s[66:67]
	s_cbranch_execnz .LBB14_6972
.LBB14_3908:
	s_or_b64 exec, exec, s[66:67]
	s_mov_b64 vcc, 0
	s_and_saveexec_b64 s[66:67], s[4:5]
.LBB14_3909:
	s_mov_b64 vcc, exec
	v_add_u32_e32 v13, 0x200, v13
.LBB14_3910:
	s_or_b64 exec, exec, s[66:67]
	s_andn2_b64 s[4:5], s[62:63], exec
	s_and_b64 s[66:67], s[70:71], exec
	s_or_b64 s[66:67], s[4:5], s[66:67]
	s_orn2_b64 s[70:71], vcc, exec
.LBB14_3911:
	s_or_b64 exec, exec, s[68:69]
	s_mov_b64 s[4:5], 0
	s_mov_b64 vcc, 0
	s_mov_b64 s[72:73], 0
                                        ; implicit-def: $vgpr2
                                        ; implicit-def: $vgpr102
                                        ; implicit-def: $vgpr4_vgpr5
	s_and_saveexec_b64 s[68:69], s[70:71]
	s_cbranch_execz .LBB14_4701
; %bb.3912:
	v_cmp_lt_i32_e32 vcc, v13, v6
	s_mov_b64 s[74:75], -1
	s_mov_b64 s[70:71], s[66:67]
	s_and_saveexec_b64 s[72:73], vcc
	s_cbranch_execz .LBB14_3918
; %bb.3913:
	v_readlane_b32 s4, v44, 1
	v_add_u32_e32 v2, s4, v13
	v_mul_lo_u32 v2, v2, v12
	v_add_co_u32_e32 v2, vcc, v0, v2
	v_addc_co_u32_e32 v3, vcc, 0, v1, vcc
	s_waitcnt vmcnt(0)
	v_mul_f32_e32 v4, v35, v34
	v_cmp_lt_f32_e32 vcc, 0, v34
	v_mov_b32_e32 v5, 10
	v_cndmask_b32_e32 v4, v4, v34, vcc
	v_cmp_gt_i16_sdwa vcc, v11, v5 src0_sel:BYTE_0 src1_sel:DWORD
	s_mov_b64 s[4:5], 0
	s_mov_b64 s[74:75], s[66:67]
	s_and_saveexec_b64 s[70:71], vcc
	s_xor_b64 s[70:71], exec, s[70:71]
	s_cbranch_execnz .LBB14_7017
; %bb.3914:
	s_andn2_saveexec_b64 s[70:71], s[70:71]
	s_cbranch_execnz .LBB14_7098
.LBB14_3915:
	s_or_b64 exec, exec, s[70:71]
	s_mov_b64 vcc, 0
	s_and_saveexec_b64 s[70:71], s[4:5]
.LBB14_3916:
	s_mov_b64 vcc, exec
	v_add_u32_e32 v13, 0x200, v13
.LBB14_3917:
	s_or_b64 exec, exec, s[70:71]
	s_andn2_b64 s[4:5], s[66:67], exec
	s_and_b64 s[70:71], s[74:75], exec
	s_or_b64 s[70:71], s[4:5], s[70:71]
	s_orn2_b64 s[74:75], vcc, exec
.LBB14_3918:
	s_or_b64 exec, exec, s[72:73]
	s_mov_b64 s[4:5], 0
	s_mov_b64 vcc, 0
	s_mov_b64 s[76:77], 0
                                        ; implicit-def: $vgpr2
                                        ; implicit-def: $vgpr102
                                        ; implicit-def: $vgpr4_vgpr5
	s_and_saveexec_b64 s[72:73], s[74:75]
	s_cbranch_execz .LBB14_4700
; %bb.3919:
	v_cmp_lt_i32_e32 vcc, v13, v6
	s_mov_b64 s[78:79], -1
	v_writelane_b32 v43, s70, 10
	v_writelane_b32 v43, s71, 11
	s_and_saveexec_b64 s[76:77], vcc
	s_cbranch_execz .LBB14_3925
; %bb.3920:
	v_readlane_b32 s4, v44, 1
	v_add_u32_e32 v2, s4, v13
	v_mul_lo_u32 v2, v2, v12
	v_add_co_u32_e32 v2, vcc, v0, v2
	v_addc_co_u32_e32 v3, vcc, 0, v1, vcc
	s_waitcnt vmcnt(0)
	v_mul_f32_e32 v4, v33, v32
	v_cmp_lt_f32_e32 vcc, 0, v32
	v_mov_b32_e32 v5, 10
	v_cndmask_b32_e32 v4, v4, v32, vcc
	v_cmp_gt_i16_sdwa vcc, v11, v5 src0_sel:BYTE_0 src1_sel:DWORD
	s_mov_b64 s[4:5], 0
	s_mov_b64 s[78:79], s[70:71]
	s_and_saveexec_b64 s[74:75], vcc
	s_xor_b64 s[74:75], exec, s[74:75]
	s_cbranch_execnz .LBB14_7143
; %bb.3921:
	s_andn2_saveexec_b64 s[74:75], s[74:75]
	s_cbranch_execnz .LBB14_7224
.LBB14_3922:
	s_or_b64 exec, exec, s[74:75]
	s_mov_b64 vcc, 0
	s_and_saveexec_b64 s[74:75], s[4:5]
.LBB14_3923:
	s_mov_b64 vcc, exec
	v_add_u32_e32 v13, 0x200, v13
.LBB14_3924:
	s_or_b64 exec, exec, s[74:75]
	s_andn2_b64 s[4:5], s[70:71], exec
	s_and_b64 s[74:75], s[78:79], exec
	s_or_b64 s[4:5], s[4:5], s[74:75]
	v_writelane_b32 v43, s4, 10
	v_writelane_b32 v43, s5, 11
	s_orn2_b64 s[78:79], vcc, exec
.LBB14_3925:
	s_or_b64 exec, exec, s[76:77]
	s_mov_b64 s[4:5], 0
	s_mov_b64 vcc, 0
	s_mov_b64 s[80:81], 0
                                        ; implicit-def: $vgpr2
                                        ; implicit-def: $vgpr102
                                        ; implicit-def: $vgpr4_vgpr5
	s_mov_b64 s[74:75], exec
	v_writelane_b32 v43, s74, 12
	s_and_b64 s[76:77], s[74:75], s[78:79]
	v_writelane_b32 v43, s75, 13
	s_mov_b64 exec, s[76:77]
	s_cbranch_execz .LBB14_4699
; %bb.3926:
	v_readlane_b32 s4, v43, 10
	v_readlane_b32 s5, v43, 11
	v_cmp_lt_i32_e32 vcc, v13, v6
	s_mov_b64 s[82:83], -1
	v_writelane_b32 v43, s4, 14
	v_writelane_b32 v43, s5, 15
	s_and_saveexec_b64 s[80:81], vcc
	s_cbranch_execz .LBB14_3932
; %bb.3927:
	v_readlane_b32 s4, v44, 1
	v_add_u32_e32 v2, s4, v13
	v_mul_lo_u32 v2, v2, v12
	v_add_co_u32_e32 v2, vcc, v0, v2
	v_addc_co_u32_e32 v3, vcc, 0, v1, vcc
	s_waitcnt vmcnt(0)
	v_mul_f32_e32 v4, v31, v30
	v_cmp_lt_f32_e32 vcc, 0, v30
	v_mov_b32_e32 v5, 10
	v_readlane_b32 s82, v43, 10
	v_cndmask_b32_e32 v4, v4, v30, vcc
	v_cmp_gt_i16_sdwa vcc, v11, v5 src0_sel:BYTE_0 src1_sel:DWORD
	s_mov_b64 s[4:5], 0
	v_readlane_b32 s83, v43, 11
	s_and_saveexec_b64 s[76:77], vcc
	s_xor_b64 s[78:79], exec, s[76:77]
	s_cbranch_execnz .LBB14_7269
; %bb.3928:
	s_andn2_saveexec_b64 s[78:79], s[78:79]
	s_cbranch_execnz .LBB14_7350
.LBB14_3929:
	s_or_b64 exec, exec, s[78:79]
	s_mov_b64 vcc, 0
	s_and_saveexec_b64 s[76:77], s[4:5]
.LBB14_3930:
	s_mov_b64 vcc, exec
	v_add_u32_e32 v13, 0x200, v13
.LBB14_3931:
	s_or_b64 exec, exec, s[76:77]
	v_readlane_b32 s4, v43, 10
	v_readlane_b32 s5, v43, 11
	s_andn2_b64 s[4:5], s[4:5], exec
	s_and_b64 s[74:75], s[82:83], exec
	s_or_b64 s[4:5], s[4:5], s[74:75]
	v_writelane_b32 v43, s4, 14
	v_writelane_b32 v43, s5, 15
	s_orn2_b64 s[82:83], vcc, exec
.LBB14_3932:
	s_or_b64 exec, exec, s[80:81]
	s_mov_b64 s[4:5], 0
	s_mov_b64 vcc, 0
	s_mov_b64 s[80:81], 0
                                        ; implicit-def: $vgpr2
                                        ; implicit-def: $vgpr102
                                        ; implicit-def: $vgpr4_vgpr5
	s_mov_b64 s[74:75], exec
	v_writelane_b32 v43, s74, 16
	s_and_b64 s[76:77], s[74:75], s[82:83]
	v_writelane_b32 v43, s75, 17
	s_mov_b64 exec, s[76:77]
	s_cbranch_execz .LBB14_4698
; %bb.3933:
	v_readlane_b32 s4, v43, 14
	v_readlane_b32 s5, v43, 15
	v_cmp_lt_i32_e32 vcc, v13, v6
	s_mov_b64 s[82:83], -1
	v_writelane_b32 v43, s4, 18
	v_writelane_b32 v43, s5, 19
	s_and_saveexec_b64 s[84:85], vcc
	s_cbranch_execz .LBB14_3939
; %bb.3934:
	v_readlane_b32 s4, v44, 1
	v_add_u32_e32 v2, s4, v13
	v_mul_lo_u32 v2, v2, v12
	v_add_co_u32_e32 v2, vcc, v0, v2
	v_addc_co_u32_e32 v3, vcc, 0, v1, vcc
	s_waitcnt vmcnt(0)
	v_mul_f32_e32 v4, v29, v28
	v_cmp_lt_f32_e32 vcc, 0, v28
	v_mov_b32_e32 v5, 10
	v_readlane_b32 s86, v43, 14
	v_cndmask_b32_e32 v4, v4, v28, vcc
	v_cmp_gt_i16_sdwa vcc, v11, v5 src0_sel:BYTE_0 src1_sel:DWORD
	s_mov_b64 s[4:5], 0
	v_readlane_b32 s87, v43, 15
	s_and_saveexec_b64 s[74:75], vcc
	s_xor_b64 s[82:83], exec, s[74:75]
	s_cbranch_execnz .LBB14_7395
; %bb.3935:
	s_andn2_saveexec_b64 s[82:83], s[82:83]
	s_cbranch_execnz .LBB14_7476
.LBB14_3936:
	s_or_b64 exec, exec, s[82:83]
	s_mov_b64 vcc, 0
	s_and_saveexec_b64 s[76:77], s[4:5]
.LBB14_3937:
	s_mov_b64 vcc, exec
	v_add_u32_e32 v13, 0x200, v13
.LBB14_3938:
	s_or_b64 exec, exec, s[76:77]
	v_readlane_b32 s4, v43, 14
	v_readlane_b32 s5, v43, 15
	s_andn2_b64 s[4:5], s[4:5], exec
	s_and_b64 s[74:75], s[86:87], exec
	s_or_b64 s[4:5], s[4:5], s[74:75]
	v_writelane_b32 v43, s4, 18
	v_writelane_b32 v43, s5, 19
	s_orn2_b64 s[82:83], vcc, exec
.LBB14_3939:
	s_or_b64 exec, exec, s[84:85]
	s_mov_b64 s[4:5], 0
	s_mov_b64 vcc, 0
	s_mov_b64 s[80:81], 0
                                        ; implicit-def: $vgpr2
                                        ; implicit-def: $vgpr102
                                        ; implicit-def: $vgpr4_vgpr5
	s_mov_b64 s[74:75], exec
	v_writelane_b32 v43, s74, 20
	v_writelane_b32 v43, s75, 21
	s_and_b64 s[74:75], s[74:75], s[82:83]
	s_mov_b64 exec, s[74:75]
	s_cbranch_execz .LBB14_4697
; %bb.3940:
	v_readlane_b32 s4, v43, 18
	v_readlane_b32 s5, v43, 19
	v_cmp_lt_i32_e32 vcc, v13, v6
	s_mov_b64 s[82:83], -1
	v_writelane_b32 v43, s4, 22
	v_writelane_b32 v43, s5, 23
	s_and_saveexec_b64 s[88:89], vcc
	s_cbranch_execz .LBB14_3946
; %bb.3941:
	v_readlane_b32 s4, v44, 1
	v_add_u32_e32 v2, s4, v13
	v_mul_lo_u32 v2, v2, v12
	v_add_co_u32_e32 v2, vcc, v0, v2
	v_addc_co_u32_e32 v3, vcc, 0, v1, vcc
	s_waitcnt vmcnt(0)
	v_mul_f32_e32 v4, v27, v26
	v_cmp_lt_f32_e32 vcc, 0, v26
	v_mov_b32_e32 v5, 10
	v_readlane_b32 s90, v43, 18
	v_cndmask_b32_e32 v4, v4, v26, vcc
	v_cmp_gt_i16_sdwa vcc, v11, v5 src0_sel:BYTE_0 src1_sel:DWORD
	s_mov_b64 s[4:5], 0
	v_readlane_b32 s91, v43, 19
	s_and_saveexec_b64 s[74:75], vcc
	s_xor_b64 s[86:87], exec, s[74:75]
	s_cbranch_execnz .LBB14_7521
; %bb.3942:
	s_andn2_saveexec_b64 s[86:87], s[86:87]
	s_cbranch_execnz .LBB14_7602
.LBB14_3943:
	s_or_b64 exec, exec, s[86:87]
	s_mov_b64 vcc, 0
	s_and_saveexec_b64 s[76:77], s[4:5]
.LBB14_3944:
	s_mov_b64 vcc, exec
	v_add_u32_e32 v13, 0x200, v13
.LBB14_3945:
	s_or_b64 exec, exec, s[76:77]
	v_readlane_b32 s4, v43, 18
	v_readlane_b32 s5, v43, 19
	s_andn2_b64 s[4:5], s[4:5], exec
	s_and_b64 s[74:75], s[90:91], exec
	s_or_b64 s[4:5], s[4:5], s[74:75]
	v_writelane_b32 v43, s4, 22
	v_writelane_b32 v43, s5, 23
	s_orn2_b64 s[82:83], vcc, exec
.LBB14_3946:
	s_or_b64 exec, exec, s[88:89]
	s_mov_b64 s[4:5], 0
	s_mov_b64 vcc, 0
	s_mov_b64 s[80:81], 0
                                        ; implicit-def: $vgpr2
                                        ; implicit-def: $vgpr102
                                        ; implicit-def: $vgpr4_vgpr5
	s_mov_b64 s[74:75], exec
	v_writelane_b32 v43, s74, 24
	v_writelane_b32 v43, s75, 25
	s_and_b64 s[74:75], s[74:75], s[82:83]
	s_mov_b64 exec, s[74:75]
	s_cbranch_execz .LBB14_4696
; %bb.3947:
	v_readlane_b32 s94, v43, 22
	v_cmp_lt_i32_e32 vcc, v13, v6
	s_mov_b64 s[82:83], -1
	v_readlane_b32 s95, v43, 23
	s_and_saveexec_b64 s[92:93], vcc
	s_cbranch_execz .LBB14_3953
; %bb.3948:
	v_readlane_b32 s4, v44, 1
	v_add_u32_e32 v2, s4, v13
	v_mul_lo_u32 v2, v2, v12
	v_add_co_u32_e32 v2, vcc, v0, v2
	v_addc_co_u32_e32 v3, vcc, 0, v1, vcc
	s_waitcnt vmcnt(0)
	v_mul_f32_e32 v4, v25, v24
	v_cmp_lt_f32_e32 vcc, 0, v24
	v_mov_b32_e32 v5, 10
	v_readlane_b32 s94, v43, 22
	v_cndmask_b32_e32 v4, v4, v24, vcc
	v_cmp_gt_i16_sdwa vcc, v11, v5 src0_sel:BYTE_0 src1_sel:DWORD
	s_mov_b64 s[4:5], 0
	v_readlane_b32 s95, v43, 23
	s_and_saveexec_b64 s[74:75], vcc
	s_xor_b64 s[90:91], exec, s[74:75]
	s_cbranch_execnz .LBB14_7647
; %bb.3949:
	s_andn2_saveexec_b64 s[90:91], s[90:91]
	s_cbranch_execnz .LBB14_7728
.LBB14_3950:
	s_or_b64 exec, exec, s[90:91]
	s_mov_b64 vcc, 0
	s_and_saveexec_b64 s[76:77], s[4:5]
.LBB14_3951:
	s_mov_b64 vcc, exec
	v_add_u32_e32 v13, 0x200, v13
.LBB14_3952:
	s_or_b64 exec, exec, s[76:77]
	v_readlane_b32 s4, v43, 22
	v_readlane_b32 s5, v43, 23
	s_andn2_b64 s[4:5], s[4:5], exec
	s_and_b64 s[74:75], s[94:95], exec
	s_or_b64 s[94:95], s[4:5], s[74:75]
	s_orn2_b64 s[82:83], vcc, exec
.LBB14_3953:
	s_or_b64 exec, exec, s[92:93]
	s_mov_b64 s[4:5], 0
	s_mov_b64 vcc, 0
	s_mov_b64 s[80:81], 0
                                        ; implicit-def: $vgpr2
                                        ; implicit-def: $vgpr102
                                        ; implicit-def: $vgpr4_vgpr5
	s_mov_b64 s[74:75], exec
	v_writelane_b32 v43, s74, 26
	v_writelane_b32 v43, s75, 27
	s_and_b64 s[74:75], s[74:75], s[82:83]
	s_mov_b64 exec, s[74:75]
	s_cbranch_execz .LBB14_4695
; %bb.3954:
	v_cmp_lt_i32_e32 vcc, v13, v6
	s_mov_b64 s[82:83], -1
	v_writelane_b32 v43, s94, 30
	v_writelane_b32 v43, s95, 31
	s_and_saveexec_b64 s[96:97], vcc
	s_cbranch_execz .LBB14_4082
; %bb.3955:
	v_readlane_b32 s4, v44, 1
	v_add_u32_e32 v2, s4, v13
	v_mul_lo_u32 v2, v2, v12
	v_add_co_u32_e32 v2, vcc, v0, v2
	v_addc_co_u32_e32 v3, vcc, 0, v1, vcc
	s_waitcnt vmcnt(0)
	v_mul_f32_e32 v4, v23, v22
	v_cmp_lt_f32_e32 vcc, 0, v22
	v_mov_b32_e32 v5, 10
	v_cndmask_b32_e32 v4, v4, v22, vcc
	v_cmp_gt_i16_sdwa vcc, v11, v5 src0_sel:BYTE_0 src1_sel:DWORD
	s_mov_b64 s[4:5], 0
	s_mov_b64 s[90:91], s[94:95]
	s_and_saveexec_b64 s[74:75], vcc
	s_xor_b64 s[74:75], exec, s[74:75]
	v_writelane_b32 v43, s74, 34
	v_writelane_b32 v43, s75, 35
	s_cbranch_execz .LBB14_4037
; %bb.3956:
	v_mov_b32_e32 v5, 25
	v_cmp_gt_i16_sdwa s[4:5], v11, v5 src0_sel:BYTE_0 src1_sel:DWORD
	s_mov_b64 s[88:89], 0
	s_mov_b64 s[90:91], s[94:95]
	s_and_saveexec_b64 vcc, s[4:5]
	s_xor_b64 s[92:93], exec, vcc
	s_cbranch_execz .LBB14_3992
; %bb.3957:
	v_mov_b32_e32 v5, 28
	v_cmp_gt_i16_sdwa vcc, v11, v5 src0_sel:BYTE_0 src1_sel:DWORD
	s_mov_b64 s[4:5], 0
	s_mov_b64 s[90:91], s[94:95]
	s_and_saveexec_b64 s[74:75], vcc
	s_xor_b64 s[88:89], exec, s[74:75]
	s_cbranch_execz .LBB14_3975
; %bb.3958:
	v_mov_b32_e32 v5, 43
	v_cmp_gt_i16_sdwa s[74:75], v11, v5 src0_sel:BYTE_0 src1_sel:DWORD
	s_mov_b64 vcc, s[94:95]
	s_and_saveexec_b64 s[76:77], s[74:75]
	s_xor_b64 s[76:77], exec, s[76:77]
	s_cbranch_execz .LBB14_3970
; %bb.3959:
	v_mov_b32_e32 v5, 45
	v_cmp_gt_i16_sdwa s[4:5], v11, v5 src0_sel:BYTE_0 src1_sel:DWORD
	s_mov_b64 s[86:87], 0
	s_mov_b64 s[84:85], s[94:95]
	s_and_saveexec_b64 vcc, s[4:5]
	s_xor_b64 s[4:5], exec, vcc
	s_cbranch_execz .LBB14_3963
; %bb.3960:
	v_mov_b32_e32 v5, 46
	v_cmp_eq_u16_sdwa s[74:75], v11, v5 src0_sel:BYTE_0 src1_sel:DWORD
	s_mov_b64 vcc, -1
	s_and_saveexec_b64 s[82:83], s[74:75]
	s_cbranch_execz .LBB14_3962
; %bb.3961:
	v_bfe_u32 v5, v4, 16, 1
	s_movk_i32 vcc_lo, 0x7fff
	v_add3_u32 v5, v4, v5, vcc_lo
	v_lshrrev_b32_e32 v5, 16, v5
	v_mov_b32_e32 v22, 0x7fc0
	v_cmp_o_f32_e32 vcc, v4, v4
	v_cndmask_b32_e32 v4, v22, v5, vcc
	s_mov_b64 s[80:81], exec
	flat_store_dword v[2:3], v4
	s_xor_b64 vcc, exec, -1
.LBB14_3962:
	s_or_b64 exec, exec, s[82:83]
	s_andn2_b64 s[74:75], s[94:95], exec
	s_and_b64 vcc, vcc, exec
	s_or_b64 s[84:85], s[74:75], vcc
	s_and_b64 s[86:87], s[80:81], exec
                                        ; implicit-def: $vgpr2_vgpr3
                                        ; implicit-def: $vgpr4
.LBB14_3963:
	s_andn2_saveexec_b64 s[90:91], s[4:5]
	s_cbranch_execz .LBB14_3969
; %bb.3964:
	v_mov_b32_e32 v5, 44
	v_cmp_eq_u16_sdwa s[74:75], v11, v5 src0_sel:BYTE_0 src1_sel:DWORD
	s_mov_b64 vcc, -1
	s_mov_b64 s[4:5], s[86:87]
	s_and_saveexec_b64 s[80:81], s[74:75]
	s_cbranch_execz .LBB14_3968
; %bb.3965:
	v_bfe_u32 v5, v4, 23, 8
	s_movk_i32 s4, 0xff
	v_cmp_ne_u32_e32 vcc, s4, v5
	v_mov_b32_e32 v22, 0xff
	s_and_saveexec_b64 s[82:83], vcc
; %bb.3966:
	s_mov_b32 s4, 0x3fffff
	v_lshrrev_b32_e32 v22, 23, v4
	v_and_b32_e32 v23, 0x400000, v4
	v_and_or_b32 v4, v4, s4, v5
	v_cmp_ne_u32_e32 vcc, 0, v23
	v_cmp_ne_u32_e64 s[4:5], 0, v4
	s_and_b64 s[4:5], vcc, s[4:5]
	v_cndmask_b32_e64 v4, 0, 1, s[4:5]
	v_add_u32_e32 v22, v22, v4
; %bb.3967:
	s_or_b64 exec, exec, s[82:83]
	s_xor_b64 vcc, exec, -1
	s_or_b64 s[4:5], s[86:87], exec
	flat_store_byte v[2:3], v22
.LBB14_3968:
	s_or_b64 exec, exec, s[80:81]
	s_andn2_b64 s[74:75], s[84:85], exec
	s_and_b64 vcc, vcc, exec
	s_or_b64 s[84:85], s[74:75], vcc
	s_andn2_b64 vcc, s[86:87], exec
	s_and_b64 s[4:5], s[4:5], exec
	s_or_b64 s[86:87], vcc, s[4:5]
.LBB14_3969:
	s_or_b64 exec, exec, s[90:91]
	s_andn2_b64 s[4:5], s[94:95], exec
	s_and_b64 vcc, s[84:85], exec
	s_or_b64 vcc, s[4:5], vcc
	s_and_b64 s[4:5], s[86:87], exec
                                        ; implicit-def: $vgpr4
                                        ; implicit-def: $vgpr2_vgpr3
.LBB14_3970:
	s_andn2_saveexec_b64 s[82:83], s[76:77]
	s_cbranch_execz .LBB14_3974
; %bb.3971:
	v_mov_b32_e32 v5, 29
	v_cmp_eq_u16_sdwa s[74:75], v11, v5 src0_sel:BYTE_0 src1_sel:DWORD
	s_mov_b64 s[86:87], -1
	s_mov_b64 s[84:85], s[4:5]
	s_and_saveexec_b64 s[80:81], s[74:75]
	s_cbranch_execz .LBB14_3973
; %bb.3972:
	v_trunc_f32_e32 v4, v4
	v_mul_f32_e32 v5, 0x2f800000, v4
	v_floor_f32_e32 v22, v5
	v_fmac_f32_e32 v4, 0xcf800000, v22
	v_cvt_u32_f32_e32 v5, v22
	v_cvt_u32_f32_e32 v4, v4
	s_xor_b64 s[86:87], exec, -1
	s_or_b64 s[84:85], s[4:5], exec
	flat_store_dwordx2 v[2:3], v[4:5]
.LBB14_3973:
	s_or_b64 exec, exec, s[80:81]
	s_andn2_b64 vcc, vcc, exec
	s_and_b64 s[74:75], s[86:87], exec
	s_or_b64 vcc, vcc, s[74:75]
	s_andn2_b64 s[4:5], s[4:5], exec
	s_and_b64 s[74:75], s[84:85], exec
	s_or_b64 s[4:5], s[4:5], s[74:75]
.LBB14_3974:
	s_or_b64 exec, exec, s[82:83]
	s_andn2_b64 s[74:75], s[94:95], exec
	s_and_b64 vcc, vcc, exec
	s_or_b64 s[90:91], s[74:75], vcc
	s_and_b64 s[4:5], s[4:5], exec
                                        ; implicit-def: $vgpr2_vgpr3
                                        ; implicit-def: $vgpr4
.LBB14_3975:
	s_andn2_saveexec_b64 s[88:89], s[88:89]
	s_cbranch_execz .LBB14_3991
; %bb.3976:
	v_mov_b32_e32 v5, 26
	v_cmp_gt_i16_sdwa vcc, v11, v5 src0_sel:BYTE_0 src1_sel:DWORD
	s_and_saveexec_b64 s[74:75], vcc
	s_xor_b64 vcc, exec, s[74:75]
	s_cbranch_execz .LBB14_3982
; %bb.3977:
	v_cvt_u32_f32_e32 v4, v4
	v_mov_b32_e32 v5, 27
	v_cmp_gt_i16_sdwa s[74:75], v11, v5 src0_sel:BYTE_0 src1_sel:DWORD
	s_and_saveexec_b64 s[76:77], s[74:75]
	s_xor_b64 s[76:77], exec, s[76:77]
	s_cbranch_execz .LBB14_3979
; %bb.3978:
	flat_store_dword v[2:3], v4
                                        ; implicit-def: $vgpr2_vgpr3
                                        ; implicit-def: $vgpr4
.LBB14_3979:
	s_andn2_saveexec_b64 s[76:77], s[76:77]
	s_cbranch_execz .LBB14_3981
; %bb.3980:
	flat_store_short v[2:3], v4
.LBB14_3981:
	s_or_b64 exec, exec, s[76:77]
                                        ; implicit-def: $vgpr2_vgpr3
                                        ; implicit-def: $vgpr4
.LBB14_3982:
	s_andn2_saveexec_b64 s[86:87], vcc
	s_cbranch_execz .LBB14_3990
; %bb.3983:
	v_and_b32_e32 v5, 0x7fffffff, v4
	s_mov_b32 vcc_lo, 0x43800000
	v_cmp_gt_u32_e32 vcc, vcc_lo, v5
	v_mov_b32_e32 v22, 0x80
	s_and_saveexec_b64 s[84:85], vcc
	s_cbranch_execz .LBB14_3989
; %bb.3984:
	s_mov_b32 vcc_lo, 0x3bffffff
	v_cmp_lt_u32_e32 vcc, vcc_lo, v5
	s_mov_b64 s[82:83], 0
                                        ; implicit-def: $vgpr5
	s_and_saveexec_b64 s[74:75], vcc
	s_xor_b64 vcc, exec, s[74:75]
	s_cbranch_execnz .LBB14_7793
; %bb.3985:
	s_or_saveexec_b64 s[80:81], vcc
                                        ; implicit-def: $sgpr76
	s_xor_b64 exec, exec, s[80:81]
	s_cbranch_execnz .LBB14_7794
.LBB14_3986:
	s_or_b64 exec, exec, s[80:81]
	v_mov_b32_e32 v22, s76
	s_and_saveexec_b64 vcc, s[82:83]
.LBB14_3987:
	v_lshrrev_b32_e32 v4, 24, v4
	s_movk_i32 s74, 0x80
	v_and_or_b32 v22, v4, s74, v5
.LBB14_3988:
	s_or_b64 exec, exec, vcc
.LBB14_3989:
	s_or_b64 exec, exec, s[84:85]
	flat_store_byte v[2:3], v22
.LBB14_3990:
	s_or_b64 exec, exec, s[86:87]
	s_or_b64 s[4:5], s[4:5], exec
.LBB14_3991:
	s_or_b64 exec, exec, s[88:89]
	s_andn2_b64 vcc, s[94:95], exec
	s_and_b64 s[74:75], s[90:91], exec
	s_or_b64 s[90:91], vcc, s[74:75]
	s_and_b64 s[88:89], s[4:5], exec
                                        ; implicit-def: $vgpr4
                                        ; implicit-def: $vgpr2_vgpr3
.LBB14_3992:
	s_andn2_saveexec_b64 s[92:93], s[92:93]
	s_cbranch_execz .LBB14_4036
; %bb.3993:
	v_mov_b32_e32 v5, 22
	v_cmp_gt_i16_sdwa vcc, v11, v5 src0_sel:BYTE_0 src1_sel:DWORD
	s_mov_b64 s[4:5], s[88:89]
	s_and_saveexec_b64 s[74:75], vcc
	s_xor_b64 s[86:87], exec, s[74:75]
	s_cbranch_execz .LBB14_4025
; %bb.3994:
	v_mov_b32_e32 v5, 23
	v_cmp_gt_i16_sdwa s[4:5], v11, v5 src0_sel:BYTE_0 src1_sel:DWORD
	s_and_saveexec_b64 vcc, s[4:5]
	s_xor_b64 vcc, exec, vcc
	v_writelane_b32 v43, vcc_lo, 36
	v_writelane_b32 v43, vcc_hi, 37
	s_cbranch_execz .LBB14_4014
; %bb.3995:
	v_mov_b32_e32 v5, 24
	v_cmp_gt_i16_sdwa s[4:5], v11, v5 src0_sel:BYTE_0 src1_sel:DWORD
	s_and_saveexec_b64 vcc, s[4:5]
	s_xor_b64 s[4:5], exec, vcc
	s_cbranch_execz .LBB14_4003
; %bb.3996:
	v_and_b32_e32 v5, 0x7fffffff, v4
	s_mov_b32 vcc_lo, 0x47800000
	v_cmp_gt_u32_e32 vcc, vcc_lo, v5
	v_mov_b32_e32 v22, 0x80
	s_and_saveexec_b64 s[84:85], vcc
	s_cbranch_execz .LBB14_4002
; %bb.3997:
	s_mov_b32 vcc_lo, 0x37ffffff
	v_cmp_lt_u32_e32 vcc, vcc_lo, v5
	s_mov_b64 s[82:83], 0
                                        ; implicit-def: $vgpr5
	s_and_saveexec_b64 s[74:75], vcc
	s_xor_b64 vcc, exec, s[74:75]
	s_cbranch_execnz .LBB14_7919
; %bb.3998:
	s_or_saveexec_b64 s[80:81], vcc
                                        ; implicit-def: $sgpr76
	s_xor_b64 exec, exec, s[80:81]
	s_cbranch_execnz .LBB14_7920
.LBB14_3999:
	s_or_b64 exec, exec, s[80:81]
	v_mov_b32_e32 v22, s76
	s_and_saveexec_b64 vcc, s[82:83]
.LBB14_4000:
	v_lshrrev_b32_e32 v4, 24, v4
	s_movk_i32 s74, 0x80
	v_and_or_b32 v22, v4, s74, v5
.LBB14_4001:
	s_or_b64 exec, exec, vcc
.LBB14_4002:
	s_or_b64 exec, exec, s[84:85]
	flat_store_byte v[2:3], v22
                                        ; implicit-def: $vgpr4
                                        ; implicit-def: $vgpr2_vgpr3
.LBB14_4003:
	s_andn2_saveexec_b64 s[4:5], s[4:5]
	s_cbranch_execz .LBB14_4013
; %bb.4004:
	v_and_b32_e32 v22, 0x7fffffff, v4
	s_mov_b32 vcc_lo, 0x43f00000
	v_cmp_gt_u32_e32 vcc, vcc_lo, v22
                                        ; implicit-def: $vgpr5
	s_and_saveexec_b64 s[74:75], vcc
	s_xor_b64 s[80:81], exec, s[74:75]
	s_cbranch_execz .LBB14_4010
; %bb.4005:
	s_mov_b32 vcc_lo, 0x3c7fffff
	v_cmp_lt_u32_e32 vcc, vcc_lo, v22
                                        ; implicit-def: $vgpr5
	s_and_saveexec_b64 s[74:75], vcc
	s_xor_b64 s[78:79], exec, s[74:75]
; %bb.4006:
	v_bfe_u32 v5, v4, 20, 1
	s_mov_b32 vcc_lo, 0x407ffff
	v_add3_u32 v5, v4, v5, vcc_lo
	v_lshrrev_b32_e32 v22, 20, v5
	v_and_b32_e32 v5, 0xff00000, v5
	s_mov_b32 vcc_lo, 0x7f00000
	v_mov_b32_e32 v23, 0x7e
	v_cmp_ne_u32_e32 vcc, vcc_lo, v5
	v_cndmask_b32_e32 v5, v23, v22, vcc
; %bb.4007:
	s_andn2_saveexec_b64 vcc, s[78:79]
; %bb.4008:
	s_mov_b32 s74, 0x46800000
	v_add_f32_e64 v5, |v4|, s74
; %bb.4009:
	s_or_b64 exec, exec, vcc
                                        ; implicit-def: $vgpr22
.LBB14_4010:
	s_andn2_saveexec_b64 s[80:81], s[80:81]
; %bb.4011:
	s_mov_b32 vcc_lo, 0x7f800000
	v_mov_b32_e32 v5, 0x7e
	v_mov_b32_e32 v23, 0x7f
	v_cmp_lt_u32_e32 vcc, vcc_lo, v22
	v_cndmask_b32_e32 v5, v5, v23, vcc
; %bb.4012:
	s_or_b64 exec, exec, s[80:81]
	v_lshrrev_b32_e32 v4, 24, v4
	s_movk_i32 vcc_lo, 0x80
	v_and_or_b32 v4, v4, vcc_lo, v5
	flat_store_byte v[2:3], v4
.LBB14_4013:
	s_or_b64 exec, exec, s[4:5]
                                        ; implicit-def: $vgpr4
                                        ; implicit-def: $vgpr2_vgpr3
.LBB14_4014:
	v_readlane_b32 s4, v43, 36
	v_readlane_b32 s5, v43, 37
	s_andn2_saveexec_b64 s[4:5], s[4:5]
	s_cbranch_execz .LBB14_4024
; %bb.4015:
	v_and_b32_e32 v22, 0x7fffffff, v4
	s_mov_b32 vcc_lo, 0x47800000
	v_cmp_gt_u32_e32 vcc, vcc_lo, v22
                                        ; implicit-def: $vgpr5
	s_and_saveexec_b64 s[74:75], vcc
	s_xor_b64 s[80:81], exec, s[74:75]
	s_cbranch_execz .LBB14_4021
; %bb.4016:
	s_mov_b32 vcc_lo, 0x387fffff
	v_cmp_lt_u32_e32 vcc, vcc_lo, v22
                                        ; implicit-def: $vgpr5
	s_and_saveexec_b64 s[74:75], vcc
	s_xor_b64 vcc, exec, s[74:75]
; %bb.4017:
	v_bfe_u32 v5, v4, 21, 1
	s_mov_b32 s74, 0x80fffff
	v_add3_u32 v5, v4, v5, s74
	v_lshrrev_b32_e32 v5, 21, v5
; %bb.4018:
	s_andn2_saveexec_b64 vcc, vcc
; %bb.4019:
	s_mov_b32 s74, 0x43000000
	v_add_f32_e64 v5, |v4|, s74
; %bb.4020:
	s_or_b64 exec, exec, vcc
                                        ; implicit-def: $vgpr22
.LBB14_4021:
	s_andn2_saveexec_b64 s[80:81], s[80:81]
; %bb.4022:
	s_mov_b32 vcc_lo, 0x7f800000
	v_mov_b32_e32 v5, 0x7c
	v_mov_b32_e32 v23, 0x7f
	v_cmp_lt_u32_e32 vcc, vcc_lo, v22
	v_cndmask_b32_e32 v5, v5, v23, vcc
; %bb.4023:
	s_or_b64 exec, exec, s[80:81]
	v_lshrrev_b32_e32 v4, 24, v4
	s_movk_i32 vcc_lo, 0x80
	v_and_or_b32 v4, v4, vcc_lo, v5
	flat_store_byte v[2:3], v4
.LBB14_4024:
	s_or_b64 exec, exec, s[4:5]
	s_or_b64 s[4:5], s[88:89], exec
                                        ; implicit-def: $vgpr4
                                        ; implicit-def: $vgpr2_vgpr3
.LBB14_4025:
	s_or_saveexec_b64 s[86:87], s[86:87]
	s_mov_b64 vcc, s[90:91]
	s_xor_b64 exec, exec, s[86:87]
	s_cbranch_execz .LBB14_4035
; %bb.4026:
	v_mov_b32_e32 v5, 14
	v_cmp_gt_i16_sdwa vcc, v11, v5 src0_sel:BYTE_0 src1_sel:DWORD
	s_mov_b64 s[84:85], s[4:5]
	s_mov_b64 s[82:83], s[90:91]
	s_and_saveexec_b64 s[74:75], vcc
	s_xor_b64 s[80:81], exec, s[74:75]
	s_cbranch_execz .LBB14_4030
; %bb.4027:
	v_mov_b32_e32 v5, 15
	v_cmp_eq_u16_sdwa s[74:75], v11, v5 src0_sel:BYTE_0 src1_sel:DWORD
	s_mov_b64 s[78:79], -1
	s_mov_b64 vcc, s[4:5]
	s_and_saveexec_b64 s[82:83], s[74:75]
	s_cbranch_execz .LBB14_4029
; %bb.4028:
	v_bfe_u32 v5, v4, 16, 1
	s_movk_i32 vcc_lo, 0x7fff
	v_add3_u32 v5, v4, v5, vcc_lo
	v_lshrrev_b32_e32 v5, 16, v5
	v_mov_b32_e32 v22, 0x7fc0
	v_cmp_o_f32_e32 vcc, v4, v4
	v_cndmask_b32_e32 v4, v22, v5, vcc
	flat_store_short v[2:3], v4
	s_xor_b64 s[78:79], exec, -1
	s_or_b64 vcc, s[4:5], exec
.LBB14_4029:
	s_or_b64 exec, exec, s[82:83]
	s_andn2_b64 s[74:75], s[90:91], exec
	s_and_b64 s[76:77], s[78:79], exec
	s_or_b64 s[82:83], s[74:75], s[76:77]
	s_andn2_b64 s[74:75], s[4:5], exec
	s_and_b64 vcc, vcc, exec
	s_or_b64 s[84:85], s[74:75], vcc
                                        ; implicit-def: $vgpr4
                                        ; implicit-def: $vgpr2_vgpr3
.LBB14_4030:
	s_andn2_saveexec_b64 s[80:81], s[80:81]
	s_cbranch_execz .LBB14_4034
; %bb.4031:
	v_mov_b32_e32 v5, 11
	v_cmp_eq_u16_sdwa s[74:75], v11, v5 src0_sel:BYTE_0 src1_sel:DWORD
	s_mov_b64 s[78:79], -1
	s_mov_b64 vcc, s[84:85]
	s_and_saveexec_b64 s[76:77], s[74:75]
	s_cbranch_execz .LBB14_4033
; %bb.4032:
	v_cmp_neq_f32_e32 vcc, 0, v4
	v_cndmask_b32_e64 v4, 0, 1, vcc
	flat_store_byte v[2:3], v4
	s_xor_b64 s[78:79], exec, -1
	s_or_b64 vcc, s[84:85], exec
.LBB14_4033:
	s_or_b64 exec, exec, s[76:77]
	s_andn2_b64 s[74:75], s[82:83], exec
	s_and_b64 s[76:77], s[78:79], exec
	s_or_b64 s[82:83], s[74:75], s[76:77]
	s_andn2_b64 s[74:75], s[84:85], exec
	s_and_b64 vcc, vcc, exec
	s_or_b64 s[84:85], s[74:75], vcc
.LBB14_4034:
	s_or_b64 exec, exec, s[80:81]
	s_andn2_b64 vcc, s[90:91], exec
	s_and_b64 s[74:75], s[82:83], exec
	s_or_b64 vcc, vcc, s[74:75]
	s_andn2_b64 s[4:5], s[4:5], exec
	s_and_b64 s[74:75], s[84:85], exec
	s_or_b64 s[4:5], s[4:5], s[74:75]
.LBB14_4035:
	s_or_b64 exec, exec, s[86:87]
	s_andn2_b64 s[74:75], s[90:91], exec
	s_and_b64 vcc, vcc, exec
	s_or_b64 s[90:91], s[74:75], vcc
	s_andn2_b64 vcc, s[88:89], exec
	s_and_b64 s[4:5], s[4:5], exec
	s_or_b64 s[88:89], vcc, s[4:5]
.LBB14_4036:
	s_or_b64 exec, exec, s[92:93]
	s_andn2_b64 s[4:5], s[94:95], exec
	s_and_b64 vcc, s[90:91], exec
	s_or_b64 s[90:91], s[4:5], vcc
	s_and_b64 s[4:5], s[88:89], exec
                                        ; implicit-def: $vgpr4
                                        ; implicit-def: $vgpr2_vgpr3
.LBB14_4037:
	v_readlane_b32 vcc_lo, v43, 34
	v_readlane_b32 vcc_hi, v43, 35
	s_andn2_saveexec_b64 s[92:93], vcc
	s_cbranch_execz .LBB14_4079
; %bb.4038:
	v_mov_b32_e32 v5, 4
	v_cmp_gt_i16_sdwa vcc, v11, v5 src0_sel:BYTE_0 src1_sel:DWORD
	s_and_saveexec_b64 s[74:75], vcc
	s_xor_b64 vcc, exec, s[74:75]
	s_cbranch_execz .LBB14_4060
; %bb.4039:
	v_mov_b32_e32 v5, 7
	v_cmp_gt_i16_sdwa s[74:75], v11, v5 src0_sel:BYTE_0 src1_sel:DWORD
	s_and_saveexec_b64 s[76:77], s[74:75]
	s_xor_b64 s[84:85], exec, s[76:77]
	s_cbranch_execz .LBB14_4049
; %bb.4040:
	v_mov_b32_e32 v5, 8
	v_cmp_gt_i16_sdwa s[74:75], v11, v5 src0_sel:BYTE_0 src1_sel:DWORD
	s_and_saveexec_b64 s[76:77], s[74:75]
	s_xor_b64 s[82:83], exec, s[76:77]
	;; [unrolled: 6-line block ×3, first 2 shown]
	s_cbranch_execz .LBB14_4043
; %bb.4042:
	v_mov_b32_e32 v24, 0
	v_cvt_f64_f32_e32 v[22:23], v4
	v_mov_b32_e32 v25, v24
	flat_store_dwordx4 v[2:3], v[22:25]
                                        ; implicit-def: $vgpr4
                                        ; implicit-def: $vgpr2_vgpr3
.LBB14_4043:
	s_andn2_saveexec_b64 s[76:77], s[78:79]
	s_cbranch_execz .LBB14_4045
; %bb.4044:
	v_mov_b32_e32 v5, 0
	flat_store_dwordx2 v[2:3], v[4:5]
.LBB14_4045:
	s_or_b64 exec, exec, s[76:77]
                                        ; implicit-def: $vgpr4
                                        ; implicit-def: $vgpr2_vgpr3
.LBB14_4046:
	s_andn2_saveexec_b64 s[76:77], s[82:83]
	s_cbranch_execz .LBB14_4048
; %bb.4047:
	v_cvt_f16_f32_e32 v4, v4
	flat_store_dword v[2:3], v4
.LBB14_4048:
	s_or_b64 exec, exec, s[76:77]
                                        ; implicit-def: $vgpr4
                                        ; implicit-def: $vgpr2_vgpr3
.LBB14_4049:
	s_andn2_saveexec_b64 s[82:83], s[84:85]
	s_cbranch_execz .LBB14_4059
; %bb.4050:
	v_mov_b32_e32 v5, 5
	v_cmp_gt_i16_sdwa s[74:75], v11, v5 src0_sel:BYTE_0 src1_sel:DWORD
	s_and_saveexec_b64 s[76:77], s[74:75]
	s_xor_b64 s[80:81], exec, s[76:77]
	s_cbranch_execz .LBB14_4056
; %bb.4051:
	v_mov_b32_e32 v5, 6
	v_cmp_gt_i16_sdwa s[74:75], v11, v5 src0_sel:BYTE_0 src1_sel:DWORD
	s_and_saveexec_b64 s[76:77], s[74:75]
	s_xor_b64 s[76:77], exec, s[76:77]
	s_cbranch_execz .LBB14_4053
; %bb.4052:
	v_cvt_f64_f32_e32 v[4:5], v4
	flat_store_dwordx2 v[2:3], v[4:5]
                                        ; implicit-def: $vgpr2_vgpr3
                                        ; implicit-def: $vgpr4
.LBB14_4053:
	s_andn2_saveexec_b64 s[76:77], s[76:77]
	s_cbranch_execz .LBB14_4055
; %bb.4054:
	flat_store_dword v[2:3], v4
.LBB14_4055:
	s_or_b64 exec, exec, s[76:77]
                                        ; implicit-def: $vgpr4
                                        ; implicit-def: $vgpr2_vgpr3
.LBB14_4056:
	s_andn2_saveexec_b64 s[76:77], s[80:81]
	s_cbranch_execz .LBB14_4058
; %bb.4057:
	v_cvt_f16_f32_e32 v4, v4
	flat_store_short v[2:3], v4
.LBB14_4058:
	s_or_b64 exec, exec, s[76:77]
.LBB14_4059:
	s_or_b64 exec, exec, s[82:83]
                                        ; implicit-def: $vgpr4
                                        ; implicit-def: $vgpr2_vgpr3
.LBB14_4060:
	s_andn2_saveexec_b64 s[88:89], vcc
	s_cbranch_execz .LBB14_4078
; %bb.4061:
	v_mov_b32_e32 v5, 1
	v_cmp_gt_i16_sdwa vcc, v11, v5 src0_sel:BYTE_0 src1_sel:DWORD
	s_and_saveexec_b64 s[74:75], vcc
	s_xor_b64 s[84:85], exec, s[74:75]
	s_cbranch_execz .LBB14_4071
; %bb.4062:
	v_mov_b32_e32 v5, 2
	v_cmp_gt_i16_sdwa vcc, v11, v5 src0_sel:BYTE_0 src1_sel:DWORD
	s_and_saveexec_b64 s[74:75], vcc
	s_xor_b64 s[82:83], exec, s[74:75]
	;; [unrolled: 6-line block ×3, first 2 shown]
	s_cbranch_execz .LBB14_4065
; %bb.4064:
	v_trunc_f32_e32 v4, v4
	s_mov_b32 s74, 0x2f800000
	v_mul_f32_e64 v5, |v4|, s74
	v_floor_f32_e32 v5, v5
	s_mov_b32 s74, 0xcf800000
	v_cvt_u32_f32_e32 v22, v5
	v_fma_f32 v5, v5, s74, |v4|
	v_cvt_u32_f32_e32 v5, v5
	v_ashrrev_i32_e32 v23, 31, v4
	v_xor_b32_e32 v22, v22, v23
	v_xor_b32_e32 v4, v5, v23
	v_sub_co_u32_e32 v4, vcc, v4, v23
	v_subb_co_u32_e32 v5, vcc, v22, v23, vcc
	flat_store_dwordx2 v[2:3], v[4:5]
                                        ; implicit-def: $vgpr4
                                        ; implicit-def: $vgpr2_vgpr3
.LBB14_4065:
	s_andn2_saveexec_b64 vcc, s[80:81]
	s_cbranch_execz .LBB14_4067
; %bb.4066:
	v_cvt_i32_f32_e32 v4, v4
	flat_store_dword v[2:3], v4
.LBB14_4067:
	s_or_b64 exec, exec, vcc
                                        ; implicit-def: $vgpr4
                                        ; implicit-def: $vgpr2_vgpr3
.LBB14_4068:
	s_andn2_saveexec_b64 vcc, s[82:83]
	s_cbranch_execz .LBB14_4070
; %bb.4069:
	v_cvt_i32_f32_e32 v4, v4
	flat_store_short v[2:3], v4
.LBB14_4070:
	s_or_b64 exec, exec, vcc
                                        ; implicit-def: $vgpr4
                                        ; implicit-def: $vgpr2_vgpr3
.LBB14_4071:
	s_andn2_saveexec_b64 vcc, s[84:85]
	s_cbranch_execz .LBB14_4077
; %bb.4072:
	v_mov_b32_e32 v5, 0
	v_cmp_gt_i16_sdwa s[74:75], v11, v5 src0_sel:BYTE_0 src1_sel:DWORD
	s_and_saveexec_b64 s[76:77], s[74:75]
	s_xor_b64 s[76:77], exec, s[76:77]
	s_cbranch_execz .LBB14_4074
; %bb.4073:
	v_cvt_i32_f32_e32 v4, v4
	flat_store_byte v[2:3], v4
                                        ; implicit-def: $vgpr4
                                        ; implicit-def: $vgpr2_vgpr3
.LBB14_4074:
	s_andn2_saveexec_b64 s[80:81], s[76:77]
	s_cbranch_execz .LBB14_4076
; %bb.4075:
	v_trunc_f32_e32 v4, v4
	s_mov_b32 s74, 0x2f800000
	v_mul_f32_e64 v5, |v4|, s74
	v_floor_f32_e32 v5, v5
	s_mov_b32 s74, 0xcf800000
	v_fma_f32 v5, v5, s74, |v4|
	v_cvt_u32_f32_e32 v5, v5
	v_ashrrev_i32_e32 v4, 31, v4
	v_xor_b32_e32 v5, v5, v4
	v_sub_u32_e32 v4, v5, v4
	flat_store_byte v[2:3], v4
.LBB14_4076:
	s_or_b64 exec, exec, s[80:81]
.LBB14_4077:
	s_or_b64 exec, exec, vcc
.LBB14_4078:
	s_or_b64 exec, exec, s[88:89]
	s_or_b64 s[4:5], s[4:5], exec
.LBB14_4079:
	s_or_b64 exec, exec, s[92:93]
	s_mov_b64 vcc, 0
	s_and_saveexec_b64 s[76:77], s[4:5]
; %bb.4080:
	s_mov_b64 vcc, exec
	v_add_u32_e32 v13, 0x200, v13
; %bb.4081:
	s_or_b64 exec, exec, s[76:77]
	s_andn2_b64 s[4:5], s[94:95], exec
	s_and_b64 s[74:75], s[90:91], exec
	s_or_b64 s[4:5], s[4:5], s[74:75]
	v_writelane_b32 v43, s4, 30
	v_writelane_b32 v43, s5, 31
	s_orn2_b64 s[82:83], vcc, exec
.LBB14_4082:
	s_or_b64 exec, exec, s[96:97]
	s_mov_b64 s[4:5], 0
	s_mov_b64 vcc, 0
	s_mov_b64 s[80:81], 0
                                        ; implicit-def: $vgpr2
                                        ; implicit-def: $vgpr102
                                        ; implicit-def: $vgpr4_vgpr5
	s_mov_b64 s[74:75], exec
	v_writelane_b32 v43, s74, 32
	v_writelane_b32 v43, s75, 33
	s_and_b64 s[74:75], s[74:75], s[82:83]
	s_mov_b64 exec, s[74:75]
	s_cbranch_execz .LBB14_4694
; %bb.4083:
	v_readlane_b32 s4, v43, 30
	v_readlane_b32 s5, v43, 31
	v_cmp_lt_i32_e32 vcc, v13, v6
	s_mov_b64 s[82:83], -1
	v_writelane_b32 v43, s4, 38
	v_writelane_b32 v43, s5, 39
	s_and_saveexec_b64 s[96:97], vcc
	s_cbranch_execz .LBB14_4211
; %bb.4084:
	v_readlane_b32 s4, v44, 1
	v_add_u32_e32 v2, s4, v13
	v_mul_lo_u32 v2, v2, v12
	v_add_co_u32_e32 v2, vcc, v0, v2
	v_addc_co_u32_e32 v3, vcc, 0, v1, vcc
	s_waitcnt vmcnt(0)
	v_mul_f32_e32 v4, v21, v20
	v_cmp_lt_f32_e32 vcc, 0, v20
	v_mov_b32_e32 v5, 10
	v_readlane_b32 s90, v43, 30
	v_cndmask_b32_e32 v4, v4, v20, vcc
	v_cmp_gt_i16_sdwa vcc, v11, v5 src0_sel:BYTE_0 src1_sel:DWORD
	s_mov_b64 s[4:5], 0
	v_readlane_b32 s91, v43, 31
	s_and_saveexec_b64 s[74:75], vcc
	s_xor_b64 s[74:75], exec, s[74:75]
	v_writelane_b32 v43, s74, 42
	v_writelane_b32 v43, s75, 43
	s_cbranch_execz .LBB14_4166
; %bb.4085:
	v_mov_b32_e32 v5, 25
	v_readlane_b32 s92, v43, 30
	v_cmp_gt_i16_sdwa s[4:5], v11, v5 src0_sel:BYTE_0 src1_sel:DWORD
	s_mov_b64 s[88:89], 0
	v_readlane_b32 s93, v43, 31
	s_and_saveexec_b64 vcc, s[4:5]
	s_xor_b64 s[90:91], exec, vcc
	s_cbranch_execz .LBB14_4121
; %bb.4086:
	v_mov_b32_e32 v5, 28
	v_readlane_b32 s92, v43, 30
	v_cmp_gt_i16_sdwa vcc, v11, v5 src0_sel:BYTE_0 src1_sel:DWORD
	s_mov_b64 s[4:5], 0
	v_readlane_b32 s93, v43, 31
	s_and_saveexec_b64 s[74:75], vcc
	s_xor_b64 s[88:89], exec, s[74:75]
	s_cbranch_execz .LBB14_4104
; %bb.4087:
	v_mov_b32_e32 v5, 43
	v_readlane_b32 vcc_lo, v43, 30
	v_cmp_gt_i16_sdwa s[74:75], v11, v5 src0_sel:BYTE_0 src1_sel:DWORD
	v_readlane_b32 vcc_hi, v43, 31
	s_and_saveexec_b64 s[76:77], s[74:75]
	s_xor_b64 s[76:77], exec, s[76:77]
	s_cbranch_execz .LBB14_4099
; %bb.4088:
	v_mov_b32_e32 v5, 45
	v_readlane_b32 s84, v43, 30
	v_cmp_gt_i16_sdwa s[4:5], v11, v5 src0_sel:BYTE_0 src1_sel:DWORD
	s_mov_b64 s[86:87], 0
	v_readlane_b32 s85, v43, 31
	s_and_saveexec_b64 vcc, s[4:5]
	s_xor_b64 s[4:5], exec, vcc
	s_cbranch_execz .LBB14_4092
; %bb.4089:
	v_mov_b32_e32 v5, 46
	v_cmp_eq_u16_sdwa s[74:75], v11, v5 src0_sel:BYTE_0 src1_sel:DWORD
	s_mov_b64 vcc, -1
	s_and_saveexec_b64 s[82:83], s[74:75]
	s_cbranch_execz .LBB14_4091
; %bb.4090:
	v_bfe_u32 v5, v4, 16, 1
	s_movk_i32 vcc_lo, 0x7fff
	v_add3_u32 v5, v4, v5, vcc_lo
	v_lshrrev_b32_e32 v5, 16, v5
	v_mov_b32_e32 v20, 0x7fc0
	v_cmp_o_f32_e32 vcc, v4, v4
	v_cndmask_b32_e32 v4, v20, v5, vcc
	s_mov_b64 s[80:81], exec
	flat_store_dword v[2:3], v4
	s_xor_b64 vcc, exec, -1
.LBB14_4091:
	s_or_b64 exec, exec, s[82:83]
	v_readlane_b32 s74, v43, 30
	v_readlane_b32 s75, v43, 31
	s_andn2_b64 s[74:75], s[74:75], exec
	s_and_b64 vcc, vcc, exec
	s_or_b64 s[84:85], s[74:75], vcc
	s_and_b64 s[86:87], s[80:81], exec
                                        ; implicit-def: $vgpr2_vgpr3
                                        ; implicit-def: $vgpr4
.LBB14_4092:
	s_andn2_saveexec_b64 s[92:93], s[4:5]
	s_cbranch_execz .LBB14_4098
; %bb.4093:
	v_mov_b32_e32 v5, 44
	v_cmp_eq_u16_sdwa s[74:75], v11, v5 src0_sel:BYTE_0 src1_sel:DWORD
	s_mov_b64 vcc, -1
	s_mov_b64 s[4:5], s[86:87]
	s_and_saveexec_b64 s[80:81], s[74:75]
	s_cbranch_execz .LBB14_4097
; %bb.4094:
	v_bfe_u32 v5, v4, 23, 8
	s_movk_i32 s4, 0xff
	v_cmp_ne_u32_e32 vcc, s4, v5
	v_mov_b32_e32 v20, 0xff
	s_and_saveexec_b64 s[82:83], vcc
; %bb.4095:
	s_mov_b32 s4, 0x3fffff
	v_lshrrev_b32_e32 v20, 23, v4
	v_and_b32_e32 v21, 0x400000, v4
	v_and_or_b32 v4, v4, s4, v5
	v_cmp_ne_u32_e32 vcc, 0, v21
	v_cmp_ne_u32_e64 s[4:5], 0, v4
	s_and_b64 s[4:5], vcc, s[4:5]
	v_cndmask_b32_e64 v4, 0, 1, s[4:5]
	v_add_u32_e32 v20, v20, v4
; %bb.4096:
	s_or_b64 exec, exec, s[82:83]
	s_xor_b64 vcc, exec, -1
	s_or_b64 s[4:5], s[86:87], exec
	flat_store_byte v[2:3], v20
.LBB14_4097:
	s_or_b64 exec, exec, s[80:81]
	s_andn2_b64 s[74:75], s[84:85], exec
	s_and_b64 vcc, vcc, exec
	s_or_b64 s[84:85], s[74:75], vcc
	s_andn2_b64 vcc, s[86:87], exec
	s_and_b64 s[4:5], s[4:5], exec
	s_or_b64 s[86:87], vcc, s[4:5]
.LBB14_4098:
	s_or_b64 exec, exec, s[92:93]
	v_readlane_b32 s4, v43, 30
	v_readlane_b32 s5, v43, 31
	s_andn2_b64 s[4:5], s[4:5], exec
	s_and_b64 vcc, s[84:85], exec
	s_or_b64 vcc, s[4:5], vcc
	s_and_b64 s[4:5], s[86:87], exec
                                        ; implicit-def: $vgpr4
                                        ; implicit-def: $vgpr2_vgpr3
.LBB14_4099:
	s_andn2_saveexec_b64 s[82:83], s[76:77]
	s_cbranch_execz .LBB14_4103
; %bb.4100:
	v_mov_b32_e32 v5, 29
	v_cmp_eq_u16_sdwa s[74:75], v11, v5 src0_sel:BYTE_0 src1_sel:DWORD
	s_mov_b64 s[86:87], -1
	s_mov_b64 s[84:85], s[4:5]
	s_and_saveexec_b64 s[80:81], s[74:75]
	s_cbranch_execz .LBB14_4102
; %bb.4101:
	v_trunc_f32_e32 v4, v4
	v_mul_f32_e32 v5, 0x2f800000, v4
	v_floor_f32_e32 v20, v5
	v_fmac_f32_e32 v4, 0xcf800000, v20
	v_cvt_u32_f32_e32 v5, v20
	v_cvt_u32_f32_e32 v4, v4
	s_xor_b64 s[86:87], exec, -1
	s_or_b64 s[84:85], s[4:5], exec
	flat_store_dwordx2 v[2:3], v[4:5]
.LBB14_4102:
	s_or_b64 exec, exec, s[80:81]
	s_andn2_b64 vcc, vcc, exec
	s_and_b64 s[74:75], s[86:87], exec
	s_or_b64 vcc, vcc, s[74:75]
	s_andn2_b64 s[4:5], s[4:5], exec
	s_and_b64 s[74:75], s[84:85], exec
	s_or_b64 s[4:5], s[4:5], s[74:75]
.LBB14_4103:
	s_or_b64 exec, exec, s[82:83]
	v_readlane_b32 s74, v43, 30
	v_readlane_b32 s75, v43, 31
	s_andn2_b64 s[74:75], s[74:75], exec
	s_and_b64 vcc, vcc, exec
	s_or_b64 s[92:93], s[74:75], vcc
	s_and_b64 s[4:5], s[4:5], exec
                                        ; implicit-def: $vgpr2_vgpr3
                                        ; implicit-def: $vgpr4
.LBB14_4104:
	s_andn2_saveexec_b64 s[88:89], s[88:89]
	s_cbranch_execz .LBB14_4120
; %bb.4105:
	v_mov_b32_e32 v5, 26
	v_cmp_gt_i16_sdwa vcc, v11, v5 src0_sel:BYTE_0 src1_sel:DWORD
	s_and_saveexec_b64 s[74:75], vcc
	s_xor_b64 vcc, exec, s[74:75]
	s_cbranch_execz .LBB14_4111
; %bb.4106:
	v_cvt_u32_f32_e32 v4, v4
	v_mov_b32_e32 v5, 27
	v_cmp_gt_i16_sdwa s[74:75], v11, v5 src0_sel:BYTE_0 src1_sel:DWORD
	s_and_saveexec_b64 s[76:77], s[74:75]
	s_xor_b64 s[76:77], exec, s[76:77]
	s_cbranch_execz .LBB14_4108
; %bb.4107:
	flat_store_dword v[2:3], v4
                                        ; implicit-def: $vgpr2_vgpr3
                                        ; implicit-def: $vgpr4
.LBB14_4108:
	s_andn2_saveexec_b64 s[76:77], s[76:77]
	s_cbranch_execz .LBB14_4110
; %bb.4109:
	flat_store_short v[2:3], v4
.LBB14_4110:
	s_or_b64 exec, exec, s[76:77]
                                        ; implicit-def: $vgpr2_vgpr3
                                        ; implicit-def: $vgpr4
.LBB14_4111:
	s_andn2_saveexec_b64 s[86:87], vcc
	s_cbranch_execz .LBB14_4119
; %bb.4112:
	v_and_b32_e32 v5, 0x7fffffff, v4
	s_mov_b32 vcc_lo, 0x43800000
	v_cmp_gt_u32_e32 vcc, vcc_lo, v5
	v_mov_b32_e32 v20, 0x80
	s_and_saveexec_b64 s[84:85], vcc
	s_cbranch_execz .LBB14_4118
; %bb.4113:
	s_mov_b32 vcc_lo, 0x3bffffff
	v_cmp_lt_u32_e32 vcc, vcc_lo, v5
	s_mov_b64 s[82:83], 0
                                        ; implicit-def: $vgpr5
	s_and_saveexec_b64 s[74:75], vcc
	s_xor_b64 vcc, exec, s[74:75]
	s_cbranch_execnz .LBB14_7921
; %bb.4114:
	s_or_saveexec_b64 s[80:81], vcc
                                        ; implicit-def: $sgpr76
	s_xor_b64 exec, exec, s[80:81]
	s_cbranch_execnz .LBB14_7922
.LBB14_4115:
	s_or_b64 exec, exec, s[80:81]
	v_mov_b32_e32 v20, s76
	s_and_saveexec_b64 vcc, s[82:83]
.LBB14_4116:
	v_lshrrev_b32_e32 v4, 24, v4
	s_movk_i32 s74, 0x80
	v_and_or_b32 v20, v4, s74, v5
.LBB14_4117:
	s_or_b64 exec, exec, vcc
.LBB14_4118:
	s_or_b64 exec, exec, s[84:85]
	flat_store_byte v[2:3], v20
.LBB14_4119:
	s_or_b64 exec, exec, s[86:87]
	s_or_b64 s[4:5], s[4:5], exec
.LBB14_4120:
	s_or_b64 exec, exec, s[88:89]
	v_readlane_b32 vcc_lo, v43, 30
	v_readlane_b32 vcc_hi, v43, 31
	s_andn2_b64 vcc, vcc, exec
	s_and_b64 s[74:75], s[92:93], exec
	s_or_b64 s[92:93], vcc, s[74:75]
	s_and_b64 s[88:89], s[4:5], exec
                                        ; implicit-def: $vgpr4
                                        ; implicit-def: $vgpr2_vgpr3
.LBB14_4121:
	s_andn2_saveexec_b64 s[90:91], s[90:91]
	s_cbranch_execz .LBB14_4165
; %bb.4122:
	v_mov_b32_e32 v5, 22
	v_cmp_gt_i16_sdwa vcc, v11, v5 src0_sel:BYTE_0 src1_sel:DWORD
	s_mov_b64 s[4:5], s[88:89]
	s_and_saveexec_b64 s[74:75], vcc
	s_xor_b64 s[86:87], exec, s[74:75]
	s_cbranch_execz .LBB14_4154
; %bb.4123:
	v_mov_b32_e32 v5, 23
	v_cmp_gt_i16_sdwa s[4:5], v11, v5 src0_sel:BYTE_0 src1_sel:DWORD
	s_and_saveexec_b64 vcc, s[4:5]
	s_xor_b64 vcc, exec, vcc
	v_writelane_b32 v43, vcc_lo, 44
	v_writelane_b32 v43, vcc_hi, 45
	s_cbranch_execz .LBB14_4143
; %bb.4124:
	v_mov_b32_e32 v5, 24
	v_cmp_gt_i16_sdwa s[4:5], v11, v5 src0_sel:BYTE_0 src1_sel:DWORD
	s_and_saveexec_b64 vcc, s[4:5]
	s_xor_b64 s[4:5], exec, vcc
	s_cbranch_execz .LBB14_4132
; %bb.4125:
	v_and_b32_e32 v5, 0x7fffffff, v4
	s_mov_b32 vcc_lo, 0x47800000
	v_cmp_gt_u32_e32 vcc, vcc_lo, v5
	v_mov_b32_e32 v20, 0x80
	s_and_saveexec_b64 s[84:85], vcc
	s_cbranch_execz .LBB14_4131
; %bb.4126:
	s_mov_b32 vcc_lo, 0x37ffffff
	v_cmp_lt_u32_e32 vcc, vcc_lo, v5
	s_mov_b64 s[82:83], 0
                                        ; implicit-def: $vgpr5
	s_and_saveexec_b64 s[74:75], vcc
	s_xor_b64 vcc, exec, s[74:75]
	s_cbranch_execnz .LBB14_7923
; %bb.4127:
	s_or_saveexec_b64 s[80:81], vcc
                                        ; implicit-def: $sgpr76
	s_xor_b64 exec, exec, s[80:81]
	s_cbranch_execnz .LBB14_7924
.LBB14_4128:
	s_or_b64 exec, exec, s[80:81]
	v_mov_b32_e32 v20, s76
	s_and_saveexec_b64 vcc, s[82:83]
.LBB14_4129:
	v_lshrrev_b32_e32 v4, 24, v4
	s_movk_i32 s74, 0x80
	v_and_or_b32 v20, v4, s74, v5
.LBB14_4130:
	s_or_b64 exec, exec, vcc
.LBB14_4131:
	s_or_b64 exec, exec, s[84:85]
	flat_store_byte v[2:3], v20
                                        ; implicit-def: $vgpr4
                                        ; implicit-def: $vgpr2_vgpr3
.LBB14_4132:
	s_andn2_saveexec_b64 s[4:5], s[4:5]
	s_cbranch_execz .LBB14_4142
; %bb.4133:
	v_and_b32_e32 v20, 0x7fffffff, v4
	s_mov_b32 vcc_lo, 0x43f00000
	v_cmp_gt_u32_e32 vcc, vcc_lo, v20
                                        ; implicit-def: $vgpr5
	s_and_saveexec_b64 s[74:75], vcc
	s_xor_b64 s[80:81], exec, s[74:75]
	s_cbranch_execz .LBB14_4139
; %bb.4134:
	s_mov_b32 vcc_lo, 0x3c7fffff
	v_cmp_lt_u32_e32 vcc, vcc_lo, v20
                                        ; implicit-def: $vgpr5
	s_and_saveexec_b64 s[74:75], vcc
	s_xor_b64 s[78:79], exec, s[74:75]
; %bb.4135:
	v_bfe_u32 v5, v4, 20, 1
	s_mov_b32 vcc_lo, 0x407ffff
	v_add3_u32 v5, v4, v5, vcc_lo
	v_lshrrev_b32_e32 v20, 20, v5
	v_and_b32_e32 v5, 0xff00000, v5
	s_mov_b32 vcc_lo, 0x7f00000
	v_mov_b32_e32 v21, 0x7e
	v_cmp_ne_u32_e32 vcc, vcc_lo, v5
	v_cndmask_b32_e32 v5, v21, v20, vcc
; %bb.4136:
	s_andn2_saveexec_b64 vcc, s[78:79]
; %bb.4137:
	s_mov_b32 s74, 0x46800000
	v_add_f32_e64 v5, |v4|, s74
; %bb.4138:
	s_or_b64 exec, exec, vcc
                                        ; implicit-def: $vgpr20
.LBB14_4139:
	s_andn2_saveexec_b64 s[80:81], s[80:81]
; %bb.4140:
	s_mov_b32 vcc_lo, 0x7f800000
	v_mov_b32_e32 v5, 0x7e
	v_mov_b32_e32 v21, 0x7f
	v_cmp_lt_u32_e32 vcc, vcc_lo, v20
	v_cndmask_b32_e32 v5, v5, v21, vcc
; %bb.4141:
	s_or_b64 exec, exec, s[80:81]
	v_lshrrev_b32_e32 v4, 24, v4
	s_movk_i32 vcc_lo, 0x80
	v_and_or_b32 v4, v4, vcc_lo, v5
	flat_store_byte v[2:3], v4
.LBB14_4142:
	s_or_b64 exec, exec, s[4:5]
                                        ; implicit-def: $vgpr4
                                        ; implicit-def: $vgpr2_vgpr3
.LBB14_4143:
	v_readlane_b32 s4, v43, 44
	v_readlane_b32 s5, v43, 45
	s_andn2_saveexec_b64 s[4:5], s[4:5]
	s_cbranch_execz .LBB14_4153
; %bb.4144:
	v_and_b32_e32 v20, 0x7fffffff, v4
	s_mov_b32 vcc_lo, 0x47800000
	v_cmp_gt_u32_e32 vcc, vcc_lo, v20
                                        ; implicit-def: $vgpr5
	s_and_saveexec_b64 s[74:75], vcc
	s_xor_b64 s[80:81], exec, s[74:75]
	s_cbranch_execz .LBB14_4150
; %bb.4145:
	s_mov_b32 vcc_lo, 0x387fffff
	v_cmp_lt_u32_e32 vcc, vcc_lo, v20
                                        ; implicit-def: $vgpr5
	s_and_saveexec_b64 s[74:75], vcc
	s_xor_b64 vcc, exec, s[74:75]
; %bb.4146:
	v_bfe_u32 v5, v4, 21, 1
	s_mov_b32 s74, 0x80fffff
	v_add3_u32 v5, v4, v5, s74
	v_lshrrev_b32_e32 v5, 21, v5
; %bb.4147:
	s_andn2_saveexec_b64 vcc, vcc
; %bb.4148:
	s_mov_b32 s74, 0x43000000
	v_add_f32_e64 v5, |v4|, s74
; %bb.4149:
	s_or_b64 exec, exec, vcc
                                        ; implicit-def: $vgpr20
.LBB14_4150:
	s_andn2_saveexec_b64 s[80:81], s[80:81]
; %bb.4151:
	s_mov_b32 vcc_lo, 0x7f800000
	v_mov_b32_e32 v5, 0x7c
	v_mov_b32_e32 v21, 0x7f
	v_cmp_lt_u32_e32 vcc, vcc_lo, v20
	v_cndmask_b32_e32 v5, v5, v21, vcc
; %bb.4152:
	s_or_b64 exec, exec, s[80:81]
	v_lshrrev_b32_e32 v4, 24, v4
	s_movk_i32 vcc_lo, 0x80
	v_and_or_b32 v4, v4, vcc_lo, v5
	flat_store_byte v[2:3], v4
.LBB14_4153:
	s_or_b64 exec, exec, s[4:5]
	s_or_b64 s[4:5], s[88:89], exec
                                        ; implicit-def: $vgpr4
                                        ; implicit-def: $vgpr2_vgpr3
.LBB14_4154:
	s_or_saveexec_b64 s[86:87], s[86:87]
	s_mov_b64 vcc, s[92:93]
	s_xor_b64 exec, exec, s[86:87]
	s_cbranch_execz .LBB14_4164
; %bb.4155:
	v_mov_b32_e32 v5, 14
	v_cmp_gt_i16_sdwa vcc, v11, v5 src0_sel:BYTE_0 src1_sel:DWORD
	s_mov_b64 s[84:85], s[4:5]
	s_mov_b64 s[82:83], s[92:93]
	s_and_saveexec_b64 s[74:75], vcc
	s_xor_b64 s[80:81], exec, s[74:75]
	s_cbranch_execz .LBB14_4159
; %bb.4156:
	v_mov_b32_e32 v5, 15
	v_cmp_eq_u16_sdwa s[74:75], v11, v5 src0_sel:BYTE_0 src1_sel:DWORD
	s_mov_b64 s[78:79], -1
	s_mov_b64 vcc, s[4:5]
	s_and_saveexec_b64 s[82:83], s[74:75]
	s_cbranch_execz .LBB14_4158
; %bb.4157:
	v_bfe_u32 v5, v4, 16, 1
	s_movk_i32 vcc_lo, 0x7fff
	v_add3_u32 v5, v4, v5, vcc_lo
	v_lshrrev_b32_e32 v5, 16, v5
	v_mov_b32_e32 v20, 0x7fc0
	v_cmp_o_f32_e32 vcc, v4, v4
	v_cndmask_b32_e32 v4, v20, v5, vcc
	flat_store_short v[2:3], v4
	s_xor_b64 s[78:79], exec, -1
	s_or_b64 vcc, s[4:5], exec
.LBB14_4158:
	s_or_b64 exec, exec, s[82:83]
	s_andn2_b64 s[74:75], s[92:93], exec
	s_and_b64 s[76:77], s[78:79], exec
	s_or_b64 s[82:83], s[74:75], s[76:77]
	s_andn2_b64 s[74:75], s[4:5], exec
	s_and_b64 vcc, vcc, exec
	s_or_b64 s[84:85], s[74:75], vcc
                                        ; implicit-def: $vgpr4
                                        ; implicit-def: $vgpr2_vgpr3
.LBB14_4159:
	s_andn2_saveexec_b64 s[80:81], s[80:81]
	s_cbranch_execz .LBB14_4163
; %bb.4160:
	v_mov_b32_e32 v5, 11
	v_cmp_eq_u16_sdwa s[74:75], v11, v5 src0_sel:BYTE_0 src1_sel:DWORD
	s_mov_b64 s[78:79], -1
	s_mov_b64 vcc, s[84:85]
	s_and_saveexec_b64 s[76:77], s[74:75]
	s_cbranch_execz .LBB14_4162
; %bb.4161:
	v_cmp_neq_f32_e32 vcc, 0, v4
	v_cndmask_b32_e64 v4, 0, 1, vcc
	flat_store_byte v[2:3], v4
	s_xor_b64 s[78:79], exec, -1
	s_or_b64 vcc, s[84:85], exec
.LBB14_4162:
	s_or_b64 exec, exec, s[76:77]
	s_andn2_b64 s[74:75], s[82:83], exec
	s_and_b64 s[76:77], s[78:79], exec
	s_or_b64 s[82:83], s[74:75], s[76:77]
	s_andn2_b64 s[74:75], s[84:85], exec
	s_and_b64 vcc, vcc, exec
	s_or_b64 s[84:85], s[74:75], vcc
.LBB14_4163:
	s_or_b64 exec, exec, s[80:81]
	s_andn2_b64 vcc, s[92:93], exec
	s_and_b64 s[74:75], s[82:83], exec
	s_or_b64 vcc, vcc, s[74:75]
	s_andn2_b64 s[4:5], s[4:5], exec
	s_and_b64 s[74:75], s[84:85], exec
	s_or_b64 s[4:5], s[4:5], s[74:75]
.LBB14_4164:
	s_or_b64 exec, exec, s[86:87]
	s_andn2_b64 s[74:75], s[92:93], exec
	s_and_b64 vcc, vcc, exec
	s_or_b64 s[92:93], s[74:75], vcc
	s_andn2_b64 vcc, s[88:89], exec
	s_and_b64 s[4:5], s[4:5], exec
	s_or_b64 s[88:89], vcc, s[4:5]
.LBB14_4165:
	s_or_b64 exec, exec, s[90:91]
	v_readlane_b32 s4, v43, 30
	v_readlane_b32 s5, v43, 31
	s_andn2_b64 s[4:5], s[4:5], exec
	s_and_b64 vcc, s[92:93], exec
	s_or_b64 s[90:91], s[4:5], vcc
	s_and_b64 s[4:5], s[88:89], exec
                                        ; implicit-def: $vgpr4
                                        ; implicit-def: $vgpr2_vgpr3
.LBB14_4166:
	v_readlane_b32 vcc_lo, v43, 42
	v_readlane_b32 vcc_hi, v43, 43
	s_andn2_saveexec_b64 s[92:93], vcc
	s_cbranch_execz .LBB14_4208
; %bb.4167:
	v_mov_b32_e32 v5, 4
	v_cmp_gt_i16_sdwa vcc, v11, v5 src0_sel:BYTE_0 src1_sel:DWORD
	s_and_saveexec_b64 s[74:75], vcc
	s_xor_b64 vcc, exec, s[74:75]
	s_cbranch_execz .LBB14_4189
; %bb.4168:
	v_mov_b32_e32 v5, 7
	v_cmp_gt_i16_sdwa s[74:75], v11, v5 src0_sel:BYTE_0 src1_sel:DWORD
	s_and_saveexec_b64 s[76:77], s[74:75]
	s_xor_b64 s[84:85], exec, s[76:77]
	s_cbranch_execz .LBB14_4178
; %bb.4169:
	v_mov_b32_e32 v5, 8
	v_cmp_gt_i16_sdwa s[74:75], v11, v5 src0_sel:BYTE_0 src1_sel:DWORD
	s_and_saveexec_b64 s[76:77], s[74:75]
	s_xor_b64 s[82:83], exec, s[76:77]
	;; [unrolled: 6-line block ×3, first 2 shown]
	s_cbranch_execz .LBB14_4172
; %bb.4171:
	v_mov_b32_e32 v22, 0
	v_cvt_f64_f32_e32 v[20:21], v4
	v_mov_b32_e32 v23, v22
	flat_store_dwordx4 v[2:3], v[20:23]
                                        ; implicit-def: $vgpr4
                                        ; implicit-def: $vgpr2_vgpr3
.LBB14_4172:
	s_andn2_saveexec_b64 s[76:77], s[78:79]
	s_cbranch_execz .LBB14_4174
; %bb.4173:
	v_mov_b32_e32 v5, 0
	flat_store_dwordx2 v[2:3], v[4:5]
.LBB14_4174:
	s_or_b64 exec, exec, s[76:77]
                                        ; implicit-def: $vgpr4
                                        ; implicit-def: $vgpr2_vgpr3
.LBB14_4175:
	s_andn2_saveexec_b64 s[76:77], s[82:83]
	s_cbranch_execz .LBB14_4177
; %bb.4176:
	v_cvt_f16_f32_e32 v4, v4
	flat_store_dword v[2:3], v4
.LBB14_4177:
	s_or_b64 exec, exec, s[76:77]
                                        ; implicit-def: $vgpr4
                                        ; implicit-def: $vgpr2_vgpr3
.LBB14_4178:
	s_andn2_saveexec_b64 s[82:83], s[84:85]
	s_cbranch_execz .LBB14_4188
; %bb.4179:
	v_mov_b32_e32 v5, 5
	v_cmp_gt_i16_sdwa s[74:75], v11, v5 src0_sel:BYTE_0 src1_sel:DWORD
	s_and_saveexec_b64 s[76:77], s[74:75]
	s_xor_b64 s[80:81], exec, s[76:77]
	s_cbranch_execz .LBB14_4185
; %bb.4180:
	v_mov_b32_e32 v5, 6
	v_cmp_gt_i16_sdwa s[74:75], v11, v5 src0_sel:BYTE_0 src1_sel:DWORD
	s_and_saveexec_b64 s[76:77], s[74:75]
	s_xor_b64 s[76:77], exec, s[76:77]
	s_cbranch_execz .LBB14_4182
; %bb.4181:
	v_cvt_f64_f32_e32 v[4:5], v4
	flat_store_dwordx2 v[2:3], v[4:5]
                                        ; implicit-def: $vgpr2_vgpr3
                                        ; implicit-def: $vgpr4
.LBB14_4182:
	s_andn2_saveexec_b64 s[76:77], s[76:77]
	s_cbranch_execz .LBB14_4184
; %bb.4183:
	flat_store_dword v[2:3], v4
.LBB14_4184:
	s_or_b64 exec, exec, s[76:77]
                                        ; implicit-def: $vgpr4
                                        ; implicit-def: $vgpr2_vgpr3
.LBB14_4185:
	s_andn2_saveexec_b64 s[76:77], s[80:81]
	s_cbranch_execz .LBB14_4187
; %bb.4186:
	v_cvt_f16_f32_e32 v4, v4
	flat_store_short v[2:3], v4
.LBB14_4187:
	s_or_b64 exec, exec, s[76:77]
.LBB14_4188:
	s_or_b64 exec, exec, s[82:83]
                                        ; implicit-def: $vgpr4
                                        ; implicit-def: $vgpr2_vgpr3
.LBB14_4189:
	s_andn2_saveexec_b64 s[88:89], vcc
	s_cbranch_execz .LBB14_4207
; %bb.4190:
	v_mov_b32_e32 v5, 1
	v_cmp_gt_i16_sdwa vcc, v11, v5 src0_sel:BYTE_0 src1_sel:DWORD
	s_and_saveexec_b64 s[74:75], vcc
	s_xor_b64 s[84:85], exec, s[74:75]
	s_cbranch_execz .LBB14_4200
; %bb.4191:
	v_mov_b32_e32 v5, 2
	v_cmp_gt_i16_sdwa vcc, v11, v5 src0_sel:BYTE_0 src1_sel:DWORD
	s_and_saveexec_b64 s[74:75], vcc
	s_xor_b64 s[82:83], exec, s[74:75]
	s_cbranch_execz .LBB14_4197
; %bb.4192:
	v_mov_b32_e32 v5, 3
	v_cmp_gt_i16_sdwa vcc, v11, v5 src0_sel:BYTE_0 src1_sel:DWORD
	s_and_saveexec_b64 s[74:75], vcc
	s_xor_b64 s[80:81], exec, s[74:75]
	s_cbranch_execz .LBB14_4194
; %bb.4193:
	v_trunc_f32_e32 v4, v4
	s_mov_b32 s74, 0x2f800000
	v_mul_f32_e64 v5, |v4|, s74
	v_floor_f32_e32 v5, v5
	s_mov_b32 s74, 0xcf800000
	v_cvt_u32_f32_e32 v20, v5
	v_fma_f32 v5, v5, s74, |v4|
	v_cvt_u32_f32_e32 v5, v5
	v_ashrrev_i32_e32 v21, 31, v4
	v_xor_b32_e32 v20, v20, v21
	v_xor_b32_e32 v4, v5, v21
	v_sub_co_u32_e32 v4, vcc, v4, v21
	v_subb_co_u32_e32 v5, vcc, v20, v21, vcc
	flat_store_dwordx2 v[2:3], v[4:5]
                                        ; implicit-def: $vgpr4
                                        ; implicit-def: $vgpr2_vgpr3
.LBB14_4194:
	s_andn2_saveexec_b64 vcc, s[80:81]
	s_cbranch_execz .LBB14_4196
; %bb.4195:
	v_cvt_i32_f32_e32 v4, v4
	flat_store_dword v[2:3], v4
.LBB14_4196:
	s_or_b64 exec, exec, vcc
                                        ; implicit-def: $vgpr4
                                        ; implicit-def: $vgpr2_vgpr3
.LBB14_4197:
	s_andn2_saveexec_b64 vcc, s[82:83]
	s_cbranch_execz .LBB14_4199
; %bb.4198:
	v_cvt_i32_f32_e32 v4, v4
	flat_store_short v[2:3], v4
.LBB14_4199:
	s_or_b64 exec, exec, vcc
                                        ; implicit-def: $vgpr4
                                        ; implicit-def: $vgpr2_vgpr3
.LBB14_4200:
	s_andn2_saveexec_b64 vcc, s[84:85]
	s_cbranch_execz .LBB14_4206
; %bb.4201:
	v_mov_b32_e32 v5, 0
	v_cmp_gt_i16_sdwa s[74:75], v11, v5 src0_sel:BYTE_0 src1_sel:DWORD
	s_and_saveexec_b64 s[76:77], s[74:75]
	s_xor_b64 s[76:77], exec, s[76:77]
	s_cbranch_execz .LBB14_4203
; %bb.4202:
	v_cvt_i32_f32_e32 v4, v4
	flat_store_byte v[2:3], v4
                                        ; implicit-def: $vgpr4
                                        ; implicit-def: $vgpr2_vgpr3
.LBB14_4203:
	s_andn2_saveexec_b64 s[80:81], s[76:77]
	s_cbranch_execz .LBB14_4205
; %bb.4204:
	v_trunc_f32_e32 v4, v4
	s_mov_b32 s74, 0x2f800000
	v_mul_f32_e64 v5, |v4|, s74
	v_floor_f32_e32 v5, v5
	s_mov_b32 s74, 0xcf800000
	v_fma_f32 v5, v5, s74, |v4|
	v_cvt_u32_f32_e32 v5, v5
	v_ashrrev_i32_e32 v4, 31, v4
	v_xor_b32_e32 v5, v5, v4
	v_sub_u32_e32 v4, v5, v4
	flat_store_byte v[2:3], v4
.LBB14_4205:
	s_or_b64 exec, exec, s[80:81]
.LBB14_4206:
	s_or_b64 exec, exec, vcc
.LBB14_4207:
	s_or_b64 exec, exec, s[88:89]
	s_or_b64 s[4:5], s[4:5], exec
.LBB14_4208:
	s_or_b64 exec, exec, s[92:93]
	s_mov_b64 vcc, 0
	s_and_saveexec_b64 s[76:77], s[4:5]
; %bb.4209:
	s_mov_b64 vcc, exec
	v_add_u32_e32 v13, 0x200, v13
; %bb.4210:
	s_or_b64 exec, exec, s[76:77]
	v_readlane_b32 s4, v43, 30
	v_readlane_b32 s5, v43, 31
	s_andn2_b64 s[4:5], s[4:5], exec
	s_and_b64 s[74:75], s[90:91], exec
	s_or_b64 s[4:5], s[4:5], s[74:75]
	v_writelane_b32 v43, s4, 38
	v_writelane_b32 v43, s5, 39
	s_orn2_b64 s[82:83], vcc, exec
.LBB14_4211:
	s_or_b64 exec, exec, s[96:97]
	s_mov_b64 s[4:5], 0
	s_mov_b64 vcc, 0
	s_mov_b64 s[80:81], 0
                                        ; implicit-def: $vgpr2
                                        ; implicit-def: $vgpr102
                                        ; implicit-def: $vgpr4_vgpr5
	s_mov_b64 s[74:75], exec
	v_writelane_b32 v43, s74, 40
	v_writelane_b32 v43, s75, 41
	s_and_b64 s[74:75], s[74:75], s[82:83]
	s_mov_b64 exec, s[74:75]
	s_cbranch_execz .LBB14_4693
; %bb.4212:
	v_readlane_b32 s4, v43, 38
	v_readlane_b32 s5, v43, 39
	v_cmp_lt_i32_e32 vcc, v13, v6
	s_mov_b64 s[82:83], -1
	v_writelane_b32 v43, s4, 46
	v_writelane_b32 v43, s5, 47
	s_and_saveexec_b64 s[96:97], vcc
	s_cbranch_execz .LBB14_4340
; %bb.4213:
	v_readlane_b32 s4, v44, 1
	v_add_u32_e32 v2, s4, v13
	v_mul_lo_u32 v2, v2, v12
	v_add_co_u32_e32 v2, vcc, v0, v2
	v_addc_co_u32_e32 v3, vcc, 0, v1, vcc
	s_waitcnt vmcnt(0)
	v_mul_f32_e32 v4, v19, v18
	v_cmp_lt_f32_e32 vcc, 0, v18
	v_mov_b32_e32 v5, 10
	v_readlane_b32 s90, v43, 38
	v_cndmask_b32_e32 v4, v4, v18, vcc
	v_cmp_gt_i16_sdwa vcc, v11, v5 src0_sel:BYTE_0 src1_sel:DWORD
	s_mov_b64 s[4:5], 0
	v_readlane_b32 s91, v43, 39
	s_and_saveexec_b64 s[74:75], vcc
	s_xor_b64 s[74:75], exec, s[74:75]
	v_writelane_b32 v43, s74, 50
	v_writelane_b32 v43, s75, 51
	s_cbranch_execz .LBB14_4295
; %bb.4214:
	v_mov_b32_e32 v5, 25
	v_readlane_b32 s92, v43, 38
	v_cmp_gt_i16_sdwa s[4:5], v11, v5 src0_sel:BYTE_0 src1_sel:DWORD
	s_mov_b64 s[88:89], 0
	v_readlane_b32 s93, v43, 39
	s_and_saveexec_b64 vcc, s[4:5]
	s_xor_b64 s[90:91], exec, vcc
	s_cbranch_execz .LBB14_4250
; %bb.4215:
	v_mov_b32_e32 v5, 28
	v_readlane_b32 s92, v43, 38
	v_cmp_gt_i16_sdwa vcc, v11, v5 src0_sel:BYTE_0 src1_sel:DWORD
	s_mov_b64 s[4:5], 0
	v_readlane_b32 s93, v43, 39
	s_and_saveexec_b64 s[74:75], vcc
	s_xor_b64 s[88:89], exec, s[74:75]
	s_cbranch_execz .LBB14_4233
; %bb.4216:
	v_mov_b32_e32 v5, 43
	v_readlane_b32 vcc_lo, v43, 38
	v_cmp_gt_i16_sdwa s[74:75], v11, v5 src0_sel:BYTE_0 src1_sel:DWORD
	v_readlane_b32 vcc_hi, v43, 39
	s_and_saveexec_b64 s[76:77], s[74:75]
	s_xor_b64 s[76:77], exec, s[76:77]
	s_cbranch_execz .LBB14_4228
; %bb.4217:
	v_mov_b32_e32 v5, 45
	v_readlane_b32 s84, v43, 38
	v_cmp_gt_i16_sdwa s[4:5], v11, v5 src0_sel:BYTE_0 src1_sel:DWORD
	s_mov_b64 s[86:87], 0
	v_readlane_b32 s85, v43, 39
	s_and_saveexec_b64 vcc, s[4:5]
	s_xor_b64 s[4:5], exec, vcc
	s_cbranch_execz .LBB14_4221
; %bb.4218:
	v_mov_b32_e32 v5, 46
	v_cmp_eq_u16_sdwa s[74:75], v11, v5 src0_sel:BYTE_0 src1_sel:DWORD
	s_mov_b64 vcc, -1
	s_and_saveexec_b64 s[82:83], s[74:75]
	s_cbranch_execz .LBB14_4220
; %bb.4219:
	v_bfe_u32 v5, v4, 16, 1
	s_movk_i32 vcc_lo, 0x7fff
	v_add3_u32 v5, v4, v5, vcc_lo
	v_lshrrev_b32_e32 v5, 16, v5
	v_mov_b32_e32 v18, 0x7fc0
	v_cmp_o_f32_e32 vcc, v4, v4
	v_cndmask_b32_e32 v4, v18, v5, vcc
	s_mov_b64 s[80:81], exec
	flat_store_dword v[2:3], v4
	s_xor_b64 vcc, exec, -1
.LBB14_4220:
	s_or_b64 exec, exec, s[82:83]
	v_readlane_b32 s74, v43, 38
	v_readlane_b32 s75, v43, 39
	s_andn2_b64 s[74:75], s[74:75], exec
	s_and_b64 vcc, vcc, exec
	s_or_b64 s[84:85], s[74:75], vcc
	s_and_b64 s[86:87], s[80:81], exec
                                        ; implicit-def: $vgpr2_vgpr3
                                        ; implicit-def: $vgpr4
.LBB14_4221:
	s_andn2_saveexec_b64 s[92:93], s[4:5]
	s_cbranch_execz .LBB14_4227
; %bb.4222:
	v_mov_b32_e32 v5, 44
	v_cmp_eq_u16_sdwa s[74:75], v11, v5 src0_sel:BYTE_0 src1_sel:DWORD
	s_mov_b64 vcc, -1
	s_mov_b64 s[4:5], s[86:87]
	s_and_saveexec_b64 s[80:81], s[74:75]
	s_cbranch_execz .LBB14_4226
; %bb.4223:
	v_bfe_u32 v5, v4, 23, 8
	s_movk_i32 s4, 0xff
	v_cmp_ne_u32_e32 vcc, s4, v5
	v_mov_b32_e32 v18, 0xff
	s_and_saveexec_b64 s[82:83], vcc
; %bb.4224:
	s_mov_b32 s4, 0x3fffff
	v_lshrrev_b32_e32 v18, 23, v4
	v_and_b32_e32 v19, 0x400000, v4
	v_and_or_b32 v4, v4, s4, v5
	v_cmp_ne_u32_e32 vcc, 0, v19
	v_cmp_ne_u32_e64 s[4:5], 0, v4
	s_and_b64 s[4:5], vcc, s[4:5]
	v_cndmask_b32_e64 v4, 0, 1, s[4:5]
	v_add_u32_e32 v18, v18, v4
; %bb.4225:
	s_or_b64 exec, exec, s[82:83]
	s_xor_b64 vcc, exec, -1
	s_or_b64 s[4:5], s[86:87], exec
	flat_store_byte v[2:3], v18
.LBB14_4226:
	s_or_b64 exec, exec, s[80:81]
	s_andn2_b64 s[74:75], s[84:85], exec
	s_and_b64 vcc, vcc, exec
	s_or_b64 s[84:85], s[74:75], vcc
	s_andn2_b64 vcc, s[86:87], exec
	s_and_b64 s[4:5], s[4:5], exec
	s_or_b64 s[86:87], vcc, s[4:5]
.LBB14_4227:
	s_or_b64 exec, exec, s[92:93]
	v_readlane_b32 s4, v43, 38
	v_readlane_b32 s5, v43, 39
	s_andn2_b64 s[4:5], s[4:5], exec
	s_and_b64 vcc, s[84:85], exec
	s_or_b64 vcc, s[4:5], vcc
	s_and_b64 s[4:5], s[86:87], exec
                                        ; implicit-def: $vgpr4
                                        ; implicit-def: $vgpr2_vgpr3
.LBB14_4228:
	s_andn2_saveexec_b64 s[82:83], s[76:77]
	s_cbranch_execz .LBB14_4232
; %bb.4229:
	v_mov_b32_e32 v5, 29
	v_cmp_eq_u16_sdwa s[74:75], v11, v5 src0_sel:BYTE_0 src1_sel:DWORD
	s_mov_b64 s[86:87], -1
	s_mov_b64 s[84:85], s[4:5]
	s_and_saveexec_b64 s[80:81], s[74:75]
	s_cbranch_execz .LBB14_4231
; %bb.4230:
	v_trunc_f32_e32 v4, v4
	v_mul_f32_e32 v5, 0x2f800000, v4
	v_floor_f32_e32 v18, v5
	v_fmac_f32_e32 v4, 0xcf800000, v18
	v_cvt_u32_f32_e32 v5, v18
	v_cvt_u32_f32_e32 v4, v4
	s_xor_b64 s[86:87], exec, -1
	s_or_b64 s[84:85], s[4:5], exec
	flat_store_dwordx2 v[2:3], v[4:5]
.LBB14_4231:
	s_or_b64 exec, exec, s[80:81]
	s_andn2_b64 vcc, vcc, exec
	s_and_b64 s[74:75], s[86:87], exec
	s_or_b64 vcc, vcc, s[74:75]
	s_andn2_b64 s[4:5], s[4:5], exec
	s_and_b64 s[74:75], s[84:85], exec
	s_or_b64 s[4:5], s[4:5], s[74:75]
.LBB14_4232:
	s_or_b64 exec, exec, s[82:83]
	v_readlane_b32 s74, v43, 38
	v_readlane_b32 s75, v43, 39
	s_andn2_b64 s[74:75], s[74:75], exec
	s_and_b64 vcc, vcc, exec
	s_or_b64 s[92:93], s[74:75], vcc
	s_and_b64 s[4:5], s[4:5], exec
                                        ; implicit-def: $vgpr2_vgpr3
                                        ; implicit-def: $vgpr4
.LBB14_4233:
	s_andn2_saveexec_b64 s[88:89], s[88:89]
	s_cbranch_execz .LBB14_4249
; %bb.4234:
	v_mov_b32_e32 v5, 26
	v_cmp_gt_i16_sdwa vcc, v11, v5 src0_sel:BYTE_0 src1_sel:DWORD
	s_and_saveexec_b64 s[74:75], vcc
	s_xor_b64 vcc, exec, s[74:75]
	s_cbranch_execz .LBB14_4240
; %bb.4235:
	v_cvt_u32_f32_e32 v4, v4
	v_mov_b32_e32 v5, 27
	v_cmp_gt_i16_sdwa s[74:75], v11, v5 src0_sel:BYTE_0 src1_sel:DWORD
	s_and_saveexec_b64 s[76:77], s[74:75]
	s_xor_b64 s[76:77], exec, s[76:77]
	s_cbranch_execz .LBB14_4237
; %bb.4236:
	flat_store_dword v[2:3], v4
                                        ; implicit-def: $vgpr2_vgpr3
                                        ; implicit-def: $vgpr4
.LBB14_4237:
	s_andn2_saveexec_b64 s[76:77], s[76:77]
	s_cbranch_execz .LBB14_4239
; %bb.4238:
	flat_store_short v[2:3], v4
.LBB14_4239:
	s_or_b64 exec, exec, s[76:77]
                                        ; implicit-def: $vgpr2_vgpr3
                                        ; implicit-def: $vgpr4
.LBB14_4240:
	s_andn2_saveexec_b64 s[86:87], vcc
	s_cbranch_execz .LBB14_4248
; %bb.4241:
	v_and_b32_e32 v5, 0x7fffffff, v4
	s_mov_b32 vcc_lo, 0x43800000
	v_cmp_gt_u32_e32 vcc, vcc_lo, v5
	v_mov_b32_e32 v18, 0x80
	s_and_saveexec_b64 s[84:85], vcc
	s_cbranch_execz .LBB14_4247
; %bb.4242:
	s_mov_b32 vcc_lo, 0x3bffffff
	v_cmp_lt_u32_e32 vcc, vcc_lo, v5
	s_mov_b64 s[82:83], 0
                                        ; implicit-def: $vgpr5
	s_and_saveexec_b64 s[74:75], vcc
	s_xor_b64 vcc, exec, s[74:75]
	s_cbranch_execnz .LBB14_7925
; %bb.4243:
	s_or_saveexec_b64 s[80:81], vcc
                                        ; implicit-def: $sgpr76
	s_xor_b64 exec, exec, s[80:81]
	s_cbranch_execnz .LBB14_7926
.LBB14_4244:
	s_or_b64 exec, exec, s[80:81]
	v_mov_b32_e32 v18, s76
	s_and_saveexec_b64 vcc, s[82:83]
.LBB14_4245:
	v_lshrrev_b32_e32 v4, 24, v4
	s_movk_i32 s74, 0x80
	v_and_or_b32 v18, v4, s74, v5
.LBB14_4246:
	s_or_b64 exec, exec, vcc
.LBB14_4247:
	s_or_b64 exec, exec, s[84:85]
	flat_store_byte v[2:3], v18
.LBB14_4248:
	s_or_b64 exec, exec, s[86:87]
	s_or_b64 s[4:5], s[4:5], exec
.LBB14_4249:
	s_or_b64 exec, exec, s[88:89]
	v_readlane_b32 vcc_lo, v43, 38
	v_readlane_b32 vcc_hi, v43, 39
	s_andn2_b64 vcc, vcc, exec
	s_and_b64 s[74:75], s[92:93], exec
	s_or_b64 s[92:93], vcc, s[74:75]
	s_and_b64 s[88:89], s[4:5], exec
                                        ; implicit-def: $vgpr4
                                        ; implicit-def: $vgpr2_vgpr3
.LBB14_4250:
	s_andn2_saveexec_b64 s[90:91], s[90:91]
	s_cbranch_execz .LBB14_4294
; %bb.4251:
	v_mov_b32_e32 v5, 22
	v_cmp_gt_i16_sdwa vcc, v11, v5 src0_sel:BYTE_0 src1_sel:DWORD
	s_mov_b64 s[4:5], s[88:89]
	s_and_saveexec_b64 s[74:75], vcc
	s_xor_b64 s[86:87], exec, s[74:75]
	s_cbranch_execz .LBB14_4283
; %bb.4252:
	v_mov_b32_e32 v5, 23
	v_cmp_gt_i16_sdwa s[4:5], v11, v5 src0_sel:BYTE_0 src1_sel:DWORD
	s_and_saveexec_b64 vcc, s[4:5]
	s_xor_b64 vcc, exec, vcc
	v_writelane_b32 v43, vcc_lo, 52
	v_writelane_b32 v43, vcc_hi, 53
	s_cbranch_execz .LBB14_4272
; %bb.4253:
	v_mov_b32_e32 v5, 24
	v_cmp_gt_i16_sdwa s[4:5], v11, v5 src0_sel:BYTE_0 src1_sel:DWORD
	s_and_saveexec_b64 vcc, s[4:5]
	s_xor_b64 s[4:5], exec, vcc
	s_cbranch_execz .LBB14_4261
; %bb.4254:
	v_and_b32_e32 v5, 0x7fffffff, v4
	s_mov_b32 vcc_lo, 0x47800000
	v_cmp_gt_u32_e32 vcc, vcc_lo, v5
	v_mov_b32_e32 v18, 0x80
	s_and_saveexec_b64 s[84:85], vcc
	s_cbranch_execz .LBB14_4260
; %bb.4255:
	s_mov_b32 vcc_lo, 0x37ffffff
	v_cmp_lt_u32_e32 vcc, vcc_lo, v5
	s_mov_b64 s[82:83], 0
                                        ; implicit-def: $vgpr5
	s_and_saveexec_b64 s[74:75], vcc
	s_xor_b64 vcc, exec, s[74:75]
	s_cbranch_execnz .LBB14_7927
; %bb.4256:
	s_or_saveexec_b64 s[80:81], vcc
                                        ; implicit-def: $sgpr76
	s_xor_b64 exec, exec, s[80:81]
	s_cbranch_execnz .LBB14_7928
.LBB14_4257:
	s_or_b64 exec, exec, s[80:81]
	v_mov_b32_e32 v18, s76
	s_and_saveexec_b64 vcc, s[82:83]
.LBB14_4258:
	v_lshrrev_b32_e32 v4, 24, v4
	s_movk_i32 s74, 0x80
	v_and_or_b32 v18, v4, s74, v5
.LBB14_4259:
	s_or_b64 exec, exec, vcc
.LBB14_4260:
	s_or_b64 exec, exec, s[84:85]
	flat_store_byte v[2:3], v18
                                        ; implicit-def: $vgpr4
                                        ; implicit-def: $vgpr2_vgpr3
.LBB14_4261:
	s_andn2_saveexec_b64 s[4:5], s[4:5]
	s_cbranch_execz .LBB14_4271
; %bb.4262:
	v_and_b32_e32 v18, 0x7fffffff, v4
	s_mov_b32 vcc_lo, 0x43f00000
	v_cmp_gt_u32_e32 vcc, vcc_lo, v18
                                        ; implicit-def: $vgpr5
	s_and_saveexec_b64 s[74:75], vcc
	s_xor_b64 s[80:81], exec, s[74:75]
	s_cbranch_execz .LBB14_4268
; %bb.4263:
	s_mov_b32 vcc_lo, 0x3c7fffff
	v_cmp_lt_u32_e32 vcc, vcc_lo, v18
                                        ; implicit-def: $vgpr5
	s_and_saveexec_b64 s[74:75], vcc
	s_xor_b64 s[78:79], exec, s[74:75]
; %bb.4264:
	v_bfe_u32 v5, v4, 20, 1
	s_mov_b32 vcc_lo, 0x407ffff
	v_add3_u32 v5, v4, v5, vcc_lo
	v_lshrrev_b32_e32 v18, 20, v5
	v_and_b32_e32 v5, 0xff00000, v5
	s_mov_b32 vcc_lo, 0x7f00000
	v_mov_b32_e32 v19, 0x7e
	v_cmp_ne_u32_e32 vcc, vcc_lo, v5
	v_cndmask_b32_e32 v5, v19, v18, vcc
; %bb.4265:
	s_andn2_saveexec_b64 vcc, s[78:79]
; %bb.4266:
	s_mov_b32 s74, 0x46800000
	v_add_f32_e64 v5, |v4|, s74
; %bb.4267:
	s_or_b64 exec, exec, vcc
                                        ; implicit-def: $vgpr18
.LBB14_4268:
	s_andn2_saveexec_b64 s[80:81], s[80:81]
; %bb.4269:
	s_mov_b32 vcc_lo, 0x7f800000
	v_mov_b32_e32 v5, 0x7e
	v_mov_b32_e32 v19, 0x7f
	v_cmp_lt_u32_e32 vcc, vcc_lo, v18
	v_cndmask_b32_e32 v5, v5, v19, vcc
; %bb.4270:
	s_or_b64 exec, exec, s[80:81]
	v_lshrrev_b32_e32 v4, 24, v4
	s_movk_i32 vcc_lo, 0x80
	v_and_or_b32 v4, v4, vcc_lo, v5
	flat_store_byte v[2:3], v4
.LBB14_4271:
	s_or_b64 exec, exec, s[4:5]
                                        ; implicit-def: $vgpr4
                                        ; implicit-def: $vgpr2_vgpr3
.LBB14_4272:
	v_readlane_b32 s4, v43, 52
	v_readlane_b32 s5, v43, 53
	s_andn2_saveexec_b64 s[4:5], s[4:5]
	s_cbranch_execz .LBB14_4282
; %bb.4273:
	v_and_b32_e32 v18, 0x7fffffff, v4
	s_mov_b32 vcc_lo, 0x47800000
	v_cmp_gt_u32_e32 vcc, vcc_lo, v18
                                        ; implicit-def: $vgpr5
	s_and_saveexec_b64 s[74:75], vcc
	s_xor_b64 s[80:81], exec, s[74:75]
	s_cbranch_execz .LBB14_4279
; %bb.4274:
	s_mov_b32 vcc_lo, 0x387fffff
	v_cmp_lt_u32_e32 vcc, vcc_lo, v18
                                        ; implicit-def: $vgpr5
	s_and_saveexec_b64 s[74:75], vcc
	s_xor_b64 vcc, exec, s[74:75]
; %bb.4275:
	v_bfe_u32 v5, v4, 21, 1
	s_mov_b32 s74, 0x80fffff
	v_add3_u32 v5, v4, v5, s74
	v_lshrrev_b32_e32 v5, 21, v5
; %bb.4276:
	s_andn2_saveexec_b64 vcc, vcc
; %bb.4277:
	s_mov_b32 s74, 0x43000000
	v_add_f32_e64 v5, |v4|, s74
; %bb.4278:
	s_or_b64 exec, exec, vcc
                                        ; implicit-def: $vgpr18
.LBB14_4279:
	s_andn2_saveexec_b64 s[80:81], s[80:81]
; %bb.4280:
	s_mov_b32 vcc_lo, 0x7f800000
	v_mov_b32_e32 v5, 0x7c
	v_mov_b32_e32 v19, 0x7f
	v_cmp_lt_u32_e32 vcc, vcc_lo, v18
	v_cndmask_b32_e32 v5, v5, v19, vcc
; %bb.4281:
	s_or_b64 exec, exec, s[80:81]
	v_lshrrev_b32_e32 v4, 24, v4
	s_movk_i32 vcc_lo, 0x80
	v_and_or_b32 v4, v4, vcc_lo, v5
	flat_store_byte v[2:3], v4
.LBB14_4282:
	s_or_b64 exec, exec, s[4:5]
	s_or_b64 s[4:5], s[88:89], exec
                                        ; implicit-def: $vgpr4
                                        ; implicit-def: $vgpr2_vgpr3
.LBB14_4283:
	s_or_saveexec_b64 s[86:87], s[86:87]
	s_mov_b64 vcc, s[92:93]
	s_xor_b64 exec, exec, s[86:87]
	s_cbranch_execz .LBB14_4293
; %bb.4284:
	v_mov_b32_e32 v5, 14
	v_cmp_gt_i16_sdwa vcc, v11, v5 src0_sel:BYTE_0 src1_sel:DWORD
	s_mov_b64 s[84:85], s[4:5]
	s_mov_b64 s[82:83], s[92:93]
	s_and_saveexec_b64 s[74:75], vcc
	s_xor_b64 s[80:81], exec, s[74:75]
	s_cbranch_execz .LBB14_4288
; %bb.4285:
	v_mov_b32_e32 v5, 15
	v_cmp_eq_u16_sdwa s[74:75], v11, v5 src0_sel:BYTE_0 src1_sel:DWORD
	s_mov_b64 s[78:79], -1
	s_mov_b64 vcc, s[4:5]
	s_and_saveexec_b64 s[82:83], s[74:75]
	s_cbranch_execz .LBB14_4287
; %bb.4286:
	v_bfe_u32 v5, v4, 16, 1
	s_movk_i32 vcc_lo, 0x7fff
	v_add3_u32 v5, v4, v5, vcc_lo
	v_lshrrev_b32_e32 v5, 16, v5
	v_mov_b32_e32 v18, 0x7fc0
	v_cmp_o_f32_e32 vcc, v4, v4
	v_cndmask_b32_e32 v4, v18, v5, vcc
	flat_store_short v[2:3], v4
	s_xor_b64 s[78:79], exec, -1
	s_or_b64 vcc, s[4:5], exec
.LBB14_4287:
	s_or_b64 exec, exec, s[82:83]
	s_andn2_b64 s[74:75], s[92:93], exec
	s_and_b64 s[76:77], s[78:79], exec
	s_or_b64 s[82:83], s[74:75], s[76:77]
	s_andn2_b64 s[74:75], s[4:5], exec
	s_and_b64 vcc, vcc, exec
	s_or_b64 s[84:85], s[74:75], vcc
                                        ; implicit-def: $vgpr4
                                        ; implicit-def: $vgpr2_vgpr3
.LBB14_4288:
	s_andn2_saveexec_b64 s[80:81], s[80:81]
	s_cbranch_execz .LBB14_4292
; %bb.4289:
	v_mov_b32_e32 v5, 11
	v_cmp_eq_u16_sdwa s[74:75], v11, v5 src0_sel:BYTE_0 src1_sel:DWORD
	s_mov_b64 s[78:79], -1
	s_mov_b64 vcc, s[84:85]
	s_and_saveexec_b64 s[76:77], s[74:75]
	s_cbranch_execz .LBB14_4291
; %bb.4290:
	v_cmp_neq_f32_e32 vcc, 0, v4
	v_cndmask_b32_e64 v4, 0, 1, vcc
	flat_store_byte v[2:3], v4
	s_xor_b64 s[78:79], exec, -1
	s_or_b64 vcc, s[84:85], exec
.LBB14_4291:
	s_or_b64 exec, exec, s[76:77]
	s_andn2_b64 s[74:75], s[82:83], exec
	s_and_b64 s[76:77], s[78:79], exec
	s_or_b64 s[82:83], s[74:75], s[76:77]
	s_andn2_b64 s[74:75], s[84:85], exec
	s_and_b64 vcc, vcc, exec
	s_or_b64 s[84:85], s[74:75], vcc
.LBB14_4292:
	s_or_b64 exec, exec, s[80:81]
	s_andn2_b64 vcc, s[92:93], exec
	s_and_b64 s[74:75], s[82:83], exec
	s_or_b64 vcc, vcc, s[74:75]
	s_andn2_b64 s[4:5], s[4:5], exec
	s_and_b64 s[74:75], s[84:85], exec
	s_or_b64 s[4:5], s[4:5], s[74:75]
.LBB14_4293:
	s_or_b64 exec, exec, s[86:87]
	s_andn2_b64 s[74:75], s[92:93], exec
	s_and_b64 vcc, vcc, exec
	s_or_b64 s[92:93], s[74:75], vcc
	s_andn2_b64 vcc, s[88:89], exec
	s_and_b64 s[4:5], s[4:5], exec
	s_or_b64 s[88:89], vcc, s[4:5]
.LBB14_4294:
	s_or_b64 exec, exec, s[90:91]
	v_readlane_b32 s4, v43, 38
	v_readlane_b32 s5, v43, 39
	s_andn2_b64 s[4:5], s[4:5], exec
	s_and_b64 vcc, s[92:93], exec
	s_or_b64 s[90:91], s[4:5], vcc
	s_and_b64 s[4:5], s[88:89], exec
                                        ; implicit-def: $vgpr4
                                        ; implicit-def: $vgpr2_vgpr3
.LBB14_4295:
	v_readlane_b32 vcc_lo, v43, 50
	v_readlane_b32 vcc_hi, v43, 51
	s_andn2_saveexec_b64 s[92:93], vcc
	s_cbranch_execz .LBB14_4337
; %bb.4296:
	v_mov_b32_e32 v5, 4
	v_cmp_gt_i16_sdwa vcc, v11, v5 src0_sel:BYTE_0 src1_sel:DWORD
	s_and_saveexec_b64 s[74:75], vcc
	s_xor_b64 vcc, exec, s[74:75]
	s_cbranch_execz .LBB14_4318
; %bb.4297:
	v_mov_b32_e32 v5, 7
	v_cmp_gt_i16_sdwa s[74:75], v11, v5 src0_sel:BYTE_0 src1_sel:DWORD
	s_and_saveexec_b64 s[76:77], s[74:75]
	s_xor_b64 s[84:85], exec, s[76:77]
	s_cbranch_execz .LBB14_4307
; %bb.4298:
	v_mov_b32_e32 v5, 8
	v_cmp_gt_i16_sdwa s[74:75], v11, v5 src0_sel:BYTE_0 src1_sel:DWORD
	s_and_saveexec_b64 s[76:77], s[74:75]
	s_xor_b64 s[82:83], exec, s[76:77]
	;; [unrolled: 6-line block ×3, first 2 shown]
	s_cbranch_execz .LBB14_4301
; %bb.4300:
	v_mov_b32_e32 v20, 0
	v_cvt_f64_f32_e32 v[18:19], v4
	v_mov_b32_e32 v21, v20
	flat_store_dwordx4 v[2:3], v[18:21]
                                        ; implicit-def: $vgpr4
                                        ; implicit-def: $vgpr2_vgpr3
.LBB14_4301:
	s_andn2_saveexec_b64 s[76:77], s[78:79]
	s_cbranch_execz .LBB14_4303
; %bb.4302:
	v_mov_b32_e32 v5, 0
	flat_store_dwordx2 v[2:3], v[4:5]
.LBB14_4303:
	s_or_b64 exec, exec, s[76:77]
                                        ; implicit-def: $vgpr4
                                        ; implicit-def: $vgpr2_vgpr3
.LBB14_4304:
	s_andn2_saveexec_b64 s[76:77], s[82:83]
	s_cbranch_execz .LBB14_4306
; %bb.4305:
	v_cvt_f16_f32_e32 v4, v4
	flat_store_dword v[2:3], v4
.LBB14_4306:
	s_or_b64 exec, exec, s[76:77]
                                        ; implicit-def: $vgpr4
                                        ; implicit-def: $vgpr2_vgpr3
.LBB14_4307:
	s_andn2_saveexec_b64 s[82:83], s[84:85]
	s_cbranch_execz .LBB14_4317
; %bb.4308:
	v_mov_b32_e32 v5, 5
	v_cmp_gt_i16_sdwa s[74:75], v11, v5 src0_sel:BYTE_0 src1_sel:DWORD
	s_and_saveexec_b64 s[76:77], s[74:75]
	s_xor_b64 s[80:81], exec, s[76:77]
	s_cbranch_execz .LBB14_4314
; %bb.4309:
	v_mov_b32_e32 v5, 6
	v_cmp_gt_i16_sdwa s[74:75], v11, v5 src0_sel:BYTE_0 src1_sel:DWORD
	s_and_saveexec_b64 s[76:77], s[74:75]
	s_xor_b64 s[76:77], exec, s[76:77]
	s_cbranch_execz .LBB14_4311
; %bb.4310:
	v_cvt_f64_f32_e32 v[4:5], v4
	flat_store_dwordx2 v[2:3], v[4:5]
                                        ; implicit-def: $vgpr2_vgpr3
                                        ; implicit-def: $vgpr4
.LBB14_4311:
	s_andn2_saveexec_b64 s[76:77], s[76:77]
	s_cbranch_execz .LBB14_4313
; %bb.4312:
	flat_store_dword v[2:3], v4
.LBB14_4313:
	s_or_b64 exec, exec, s[76:77]
                                        ; implicit-def: $vgpr4
                                        ; implicit-def: $vgpr2_vgpr3
.LBB14_4314:
	s_andn2_saveexec_b64 s[76:77], s[80:81]
	s_cbranch_execz .LBB14_4316
; %bb.4315:
	v_cvt_f16_f32_e32 v4, v4
	flat_store_short v[2:3], v4
.LBB14_4316:
	s_or_b64 exec, exec, s[76:77]
.LBB14_4317:
	s_or_b64 exec, exec, s[82:83]
                                        ; implicit-def: $vgpr4
                                        ; implicit-def: $vgpr2_vgpr3
.LBB14_4318:
	s_andn2_saveexec_b64 s[88:89], vcc
	s_cbranch_execz .LBB14_4336
; %bb.4319:
	v_mov_b32_e32 v5, 1
	v_cmp_gt_i16_sdwa vcc, v11, v5 src0_sel:BYTE_0 src1_sel:DWORD
	s_and_saveexec_b64 s[74:75], vcc
	s_xor_b64 s[84:85], exec, s[74:75]
	s_cbranch_execz .LBB14_4329
; %bb.4320:
	v_mov_b32_e32 v5, 2
	v_cmp_gt_i16_sdwa vcc, v11, v5 src0_sel:BYTE_0 src1_sel:DWORD
	s_and_saveexec_b64 s[74:75], vcc
	s_xor_b64 s[82:83], exec, s[74:75]
	;; [unrolled: 6-line block ×3, first 2 shown]
	s_cbranch_execz .LBB14_4323
; %bb.4322:
	v_trunc_f32_e32 v4, v4
	s_mov_b32 s74, 0x2f800000
	v_mul_f32_e64 v5, |v4|, s74
	v_floor_f32_e32 v5, v5
	s_mov_b32 s74, 0xcf800000
	v_cvt_u32_f32_e32 v18, v5
	v_fma_f32 v5, v5, s74, |v4|
	v_cvt_u32_f32_e32 v5, v5
	v_ashrrev_i32_e32 v19, 31, v4
	v_xor_b32_e32 v18, v18, v19
	v_xor_b32_e32 v4, v5, v19
	v_sub_co_u32_e32 v4, vcc, v4, v19
	v_subb_co_u32_e32 v5, vcc, v18, v19, vcc
	flat_store_dwordx2 v[2:3], v[4:5]
                                        ; implicit-def: $vgpr4
                                        ; implicit-def: $vgpr2_vgpr3
.LBB14_4323:
	s_andn2_saveexec_b64 vcc, s[80:81]
	s_cbranch_execz .LBB14_4325
; %bb.4324:
	v_cvt_i32_f32_e32 v4, v4
	flat_store_dword v[2:3], v4
.LBB14_4325:
	s_or_b64 exec, exec, vcc
                                        ; implicit-def: $vgpr4
                                        ; implicit-def: $vgpr2_vgpr3
.LBB14_4326:
	s_andn2_saveexec_b64 vcc, s[82:83]
	s_cbranch_execz .LBB14_4328
; %bb.4327:
	v_cvt_i32_f32_e32 v4, v4
	flat_store_short v[2:3], v4
.LBB14_4328:
	s_or_b64 exec, exec, vcc
                                        ; implicit-def: $vgpr4
                                        ; implicit-def: $vgpr2_vgpr3
.LBB14_4329:
	s_andn2_saveexec_b64 vcc, s[84:85]
	s_cbranch_execz .LBB14_4335
; %bb.4330:
	v_mov_b32_e32 v5, 0
	v_cmp_gt_i16_sdwa s[74:75], v11, v5 src0_sel:BYTE_0 src1_sel:DWORD
	s_and_saveexec_b64 s[76:77], s[74:75]
	s_xor_b64 s[76:77], exec, s[76:77]
	s_cbranch_execz .LBB14_4332
; %bb.4331:
	v_cvt_i32_f32_e32 v4, v4
	flat_store_byte v[2:3], v4
                                        ; implicit-def: $vgpr4
                                        ; implicit-def: $vgpr2_vgpr3
.LBB14_4332:
	s_andn2_saveexec_b64 s[80:81], s[76:77]
	s_cbranch_execz .LBB14_4334
; %bb.4333:
	v_trunc_f32_e32 v4, v4
	s_mov_b32 s74, 0x2f800000
	v_mul_f32_e64 v5, |v4|, s74
	v_floor_f32_e32 v5, v5
	s_mov_b32 s74, 0xcf800000
	v_fma_f32 v5, v5, s74, |v4|
	v_cvt_u32_f32_e32 v5, v5
	v_ashrrev_i32_e32 v4, 31, v4
	v_xor_b32_e32 v5, v5, v4
	v_sub_u32_e32 v4, v5, v4
	flat_store_byte v[2:3], v4
.LBB14_4334:
	s_or_b64 exec, exec, s[80:81]
.LBB14_4335:
	s_or_b64 exec, exec, vcc
.LBB14_4336:
	s_or_b64 exec, exec, s[88:89]
	s_or_b64 s[4:5], s[4:5], exec
.LBB14_4337:
	s_or_b64 exec, exec, s[92:93]
	s_mov_b64 vcc, 0
	s_and_saveexec_b64 s[76:77], s[4:5]
; %bb.4338:
	s_mov_b64 vcc, exec
	v_add_u32_e32 v13, 0x200, v13
; %bb.4339:
	s_or_b64 exec, exec, s[76:77]
	v_readlane_b32 s4, v43, 38
	v_readlane_b32 s5, v43, 39
	s_andn2_b64 s[4:5], s[4:5], exec
	s_and_b64 s[74:75], s[90:91], exec
	s_or_b64 s[4:5], s[4:5], s[74:75]
	v_writelane_b32 v43, s4, 46
	v_writelane_b32 v43, s5, 47
	s_orn2_b64 s[82:83], vcc, exec
.LBB14_4340:
	s_or_b64 exec, exec, s[96:97]
	s_mov_b64 s[4:5], 0
	s_mov_b64 vcc, 0
	s_mov_b64 s[80:81], 0
                                        ; implicit-def: $vgpr2
                                        ; implicit-def: $vgpr102
                                        ; implicit-def: $vgpr4_vgpr5
	s_mov_b64 s[74:75], exec
	v_writelane_b32 v43, s74, 48
	v_writelane_b32 v43, s75, 49
	s_and_b64 s[74:75], s[74:75], s[82:83]
	s_mov_b64 exec, s[74:75]
	s_cbranch_execz .LBB14_4692
; %bb.4341:
	v_readlane_b32 s4, v43, 46
	v_readlane_b32 s5, v43, 47
	v_cmp_lt_i32_e32 vcc, v13, v6
	s_mov_b64 s[82:83], -1
	v_writelane_b32 v43, s4, 54
	v_writelane_b32 v43, s5, 55
	s_and_saveexec_b64 s[96:97], vcc
	s_cbranch_execz .LBB14_4469
; %bb.4342:
	v_readlane_b32 s4, v44, 1
	v_add_u32_e32 v2, s4, v13
	v_mul_lo_u32 v2, v2, v12
	v_add_co_u32_e32 v2, vcc, v0, v2
	v_addc_co_u32_e32 v3, vcc, 0, v1, vcc
	s_waitcnt vmcnt(0)
	v_mul_f32_e32 v4, v17, v16
	v_cmp_lt_f32_e32 vcc, 0, v16
	v_mov_b32_e32 v5, 10
	v_readlane_b32 s90, v43, 46
	v_cndmask_b32_e32 v4, v4, v16, vcc
	v_cmp_gt_i16_sdwa vcc, v11, v5 src0_sel:BYTE_0 src1_sel:DWORD
	s_mov_b64 s[4:5], 0
	v_readlane_b32 s91, v43, 47
	s_and_saveexec_b64 s[74:75], vcc
	s_xor_b64 s[74:75], exec, s[74:75]
	v_writelane_b32 v43, s74, 58
	v_writelane_b32 v43, s75, 59
	s_cbranch_execz .LBB14_4424
; %bb.4343:
	v_mov_b32_e32 v5, 25
	v_readlane_b32 s92, v43, 46
	v_cmp_gt_i16_sdwa s[4:5], v11, v5 src0_sel:BYTE_0 src1_sel:DWORD
	s_mov_b64 s[88:89], 0
	v_readlane_b32 s93, v43, 47
	s_and_saveexec_b64 vcc, s[4:5]
	s_xor_b64 s[90:91], exec, vcc
	s_cbranch_execz .LBB14_4379
; %bb.4344:
	v_mov_b32_e32 v5, 28
	v_readlane_b32 s92, v43, 46
	v_cmp_gt_i16_sdwa vcc, v11, v5 src0_sel:BYTE_0 src1_sel:DWORD
	s_mov_b64 s[4:5], 0
	v_readlane_b32 s93, v43, 47
	s_and_saveexec_b64 s[74:75], vcc
	s_xor_b64 s[88:89], exec, s[74:75]
	s_cbranch_execz .LBB14_4362
; %bb.4345:
	v_mov_b32_e32 v5, 43
	v_readlane_b32 vcc_lo, v43, 46
	v_cmp_gt_i16_sdwa s[74:75], v11, v5 src0_sel:BYTE_0 src1_sel:DWORD
	v_readlane_b32 vcc_hi, v43, 47
	s_and_saveexec_b64 s[76:77], s[74:75]
	s_xor_b64 s[76:77], exec, s[76:77]
	s_cbranch_execz .LBB14_4357
; %bb.4346:
	v_mov_b32_e32 v5, 45
	v_readlane_b32 s84, v43, 46
	v_cmp_gt_i16_sdwa s[4:5], v11, v5 src0_sel:BYTE_0 src1_sel:DWORD
	s_mov_b64 s[86:87], 0
	v_readlane_b32 s85, v43, 47
	s_and_saveexec_b64 vcc, s[4:5]
	s_xor_b64 s[4:5], exec, vcc
	s_cbranch_execz .LBB14_4350
; %bb.4347:
	v_mov_b32_e32 v5, 46
	v_cmp_eq_u16_sdwa s[74:75], v11, v5 src0_sel:BYTE_0 src1_sel:DWORD
	s_mov_b64 vcc, -1
	s_and_saveexec_b64 s[82:83], s[74:75]
	s_cbranch_execz .LBB14_4349
; %bb.4348:
	v_bfe_u32 v5, v4, 16, 1
	s_movk_i32 vcc_lo, 0x7fff
	v_add3_u32 v5, v4, v5, vcc_lo
	v_lshrrev_b32_e32 v5, 16, v5
	v_mov_b32_e32 v16, 0x7fc0
	v_cmp_o_f32_e32 vcc, v4, v4
	v_cndmask_b32_e32 v4, v16, v5, vcc
	s_mov_b64 s[80:81], exec
	flat_store_dword v[2:3], v4
	s_xor_b64 vcc, exec, -1
.LBB14_4349:
	s_or_b64 exec, exec, s[82:83]
	v_readlane_b32 s74, v43, 46
	v_readlane_b32 s75, v43, 47
	s_andn2_b64 s[74:75], s[74:75], exec
	s_and_b64 vcc, vcc, exec
	s_or_b64 s[84:85], s[74:75], vcc
	s_and_b64 s[86:87], s[80:81], exec
                                        ; implicit-def: $vgpr2_vgpr3
                                        ; implicit-def: $vgpr4
.LBB14_4350:
	s_andn2_saveexec_b64 s[92:93], s[4:5]
	s_cbranch_execz .LBB14_4356
; %bb.4351:
	v_mov_b32_e32 v5, 44
	v_cmp_eq_u16_sdwa s[74:75], v11, v5 src0_sel:BYTE_0 src1_sel:DWORD
	s_mov_b64 vcc, -1
	s_mov_b64 s[4:5], s[86:87]
	s_and_saveexec_b64 s[80:81], s[74:75]
	s_cbranch_execz .LBB14_4355
; %bb.4352:
	v_bfe_u32 v5, v4, 23, 8
	s_movk_i32 s4, 0xff
	v_cmp_ne_u32_e32 vcc, s4, v5
	v_mov_b32_e32 v16, 0xff
	s_and_saveexec_b64 s[82:83], vcc
; %bb.4353:
	s_mov_b32 s4, 0x3fffff
	v_lshrrev_b32_e32 v16, 23, v4
	v_and_b32_e32 v17, 0x400000, v4
	v_and_or_b32 v4, v4, s4, v5
	v_cmp_ne_u32_e32 vcc, 0, v17
	v_cmp_ne_u32_e64 s[4:5], 0, v4
	s_and_b64 s[4:5], vcc, s[4:5]
	v_cndmask_b32_e64 v4, 0, 1, s[4:5]
	v_add_u32_e32 v16, v16, v4
; %bb.4354:
	s_or_b64 exec, exec, s[82:83]
	s_xor_b64 vcc, exec, -1
	s_or_b64 s[4:5], s[86:87], exec
	flat_store_byte v[2:3], v16
.LBB14_4355:
	s_or_b64 exec, exec, s[80:81]
	s_andn2_b64 s[74:75], s[84:85], exec
	s_and_b64 vcc, vcc, exec
	s_or_b64 s[84:85], s[74:75], vcc
	s_andn2_b64 vcc, s[86:87], exec
	s_and_b64 s[4:5], s[4:5], exec
	s_or_b64 s[86:87], vcc, s[4:5]
.LBB14_4356:
	s_or_b64 exec, exec, s[92:93]
	v_readlane_b32 s4, v43, 46
	v_readlane_b32 s5, v43, 47
	s_andn2_b64 s[4:5], s[4:5], exec
	s_and_b64 vcc, s[84:85], exec
	s_or_b64 vcc, s[4:5], vcc
	s_and_b64 s[4:5], s[86:87], exec
                                        ; implicit-def: $vgpr4
                                        ; implicit-def: $vgpr2_vgpr3
.LBB14_4357:
	s_andn2_saveexec_b64 s[82:83], s[76:77]
	s_cbranch_execz .LBB14_4361
; %bb.4358:
	v_mov_b32_e32 v5, 29
	v_cmp_eq_u16_sdwa s[74:75], v11, v5 src0_sel:BYTE_0 src1_sel:DWORD
	s_mov_b64 s[86:87], -1
	s_mov_b64 s[84:85], s[4:5]
	s_and_saveexec_b64 s[80:81], s[74:75]
	s_cbranch_execz .LBB14_4360
; %bb.4359:
	v_trunc_f32_e32 v4, v4
	v_mul_f32_e32 v5, 0x2f800000, v4
	v_floor_f32_e32 v16, v5
	v_fmac_f32_e32 v4, 0xcf800000, v16
	v_cvt_u32_f32_e32 v5, v16
	v_cvt_u32_f32_e32 v4, v4
	s_xor_b64 s[86:87], exec, -1
	s_or_b64 s[84:85], s[4:5], exec
	flat_store_dwordx2 v[2:3], v[4:5]
.LBB14_4360:
	s_or_b64 exec, exec, s[80:81]
	s_andn2_b64 vcc, vcc, exec
	s_and_b64 s[74:75], s[86:87], exec
	s_or_b64 vcc, vcc, s[74:75]
	s_andn2_b64 s[4:5], s[4:5], exec
	s_and_b64 s[74:75], s[84:85], exec
	s_or_b64 s[4:5], s[4:5], s[74:75]
.LBB14_4361:
	s_or_b64 exec, exec, s[82:83]
	v_readlane_b32 s74, v43, 46
	v_readlane_b32 s75, v43, 47
	s_andn2_b64 s[74:75], s[74:75], exec
	s_and_b64 vcc, vcc, exec
	s_or_b64 s[92:93], s[74:75], vcc
	s_and_b64 s[4:5], s[4:5], exec
                                        ; implicit-def: $vgpr2_vgpr3
                                        ; implicit-def: $vgpr4
.LBB14_4362:
	s_andn2_saveexec_b64 s[88:89], s[88:89]
	s_cbranch_execz .LBB14_4378
; %bb.4363:
	v_mov_b32_e32 v5, 26
	v_cmp_gt_i16_sdwa vcc, v11, v5 src0_sel:BYTE_0 src1_sel:DWORD
	s_and_saveexec_b64 s[74:75], vcc
	s_xor_b64 vcc, exec, s[74:75]
	s_cbranch_execz .LBB14_4369
; %bb.4364:
	v_cvt_u32_f32_e32 v4, v4
	v_mov_b32_e32 v5, 27
	v_cmp_gt_i16_sdwa s[74:75], v11, v5 src0_sel:BYTE_0 src1_sel:DWORD
	s_and_saveexec_b64 s[76:77], s[74:75]
	s_xor_b64 s[76:77], exec, s[76:77]
	s_cbranch_execz .LBB14_4366
; %bb.4365:
	flat_store_dword v[2:3], v4
                                        ; implicit-def: $vgpr2_vgpr3
                                        ; implicit-def: $vgpr4
.LBB14_4366:
	s_andn2_saveexec_b64 s[76:77], s[76:77]
	s_cbranch_execz .LBB14_4368
; %bb.4367:
	flat_store_short v[2:3], v4
.LBB14_4368:
	s_or_b64 exec, exec, s[76:77]
                                        ; implicit-def: $vgpr2_vgpr3
                                        ; implicit-def: $vgpr4
.LBB14_4369:
	s_andn2_saveexec_b64 s[86:87], vcc
	s_cbranch_execz .LBB14_4377
; %bb.4370:
	v_and_b32_e32 v5, 0x7fffffff, v4
	s_mov_b32 vcc_lo, 0x43800000
	v_cmp_gt_u32_e32 vcc, vcc_lo, v5
	v_mov_b32_e32 v16, 0x80
	s_and_saveexec_b64 s[84:85], vcc
	s_cbranch_execz .LBB14_4376
; %bb.4371:
	s_mov_b32 vcc_lo, 0x3bffffff
	v_cmp_lt_u32_e32 vcc, vcc_lo, v5
	s_mov_b64 s[82:83], 0
                                        ; implicit-def: $vgpr5
	s_and_saveexec_b64 s[74:75], vcc
	s_xor_b64 vcc, exec, s[74:75]
	s_cbranch_execnz .LBB14_7929
; %bb.4372:
	s_or_saveexec_b64 s[80:81], vcc
                                        ; implicit-def: $sgpr76
	s_xor_b64 exec, exec, s[80:81]
	s_cbranch_execnz .LBB14_7930
.LBB14_4373:
	s_or_b64 exec, exec, s[80:81]
	v_mov_b32_e32 v16, s76
	s_and_saveexec_b64 vcc, s[82:83]
.LBB14_4374:
	v_lshrrev_b32_e32 v4, 24, v4
	s_movk_i32 s74, 0x80
	v_and_or_b32 v16, v4, s74, v5
.LBB14_4375:
	s_or_b64 exec, exec, vcc
.LBB14_4376:
	s_or_b64 exec, exec, s[84:85]
	flat_store_byte v[2:3], v16
.LBB14_4377:
	s_or_b64 exec, exec, s[86:87]
	s_or_b64 s[4:5], s[4:5], exec
.LBB14_4378:
	s_or_b64 exec, exec, s[88:89]
	v_readlane_b32 vcc_lo, v43, 46
	v_readlane_b32 vcc_hi, v43, 47
	s_andn2_b64 vcc, vcc, exec
	s_and_b64 s[74:75], s[92:93], exec
	s_or_b64 s[92:93], vcc, s[74:75]
	s_and_b64 s[88:89], s[4:5], exec
                                        ; implicit-def: $vgpr4
                                        ; implicit-def: $vgpr2_vgpr3
.LBB14_4379:
	s_andn2_saveexec_b64 s[90:91], s[90:91]
	s_cbranch_execz .LBB14_4423
; %bb.4380:
	v_mov_b32_e32 v5, 22
	v_cmp_gt_i16_sdwa vcc, v11, v5 src0_sel:BYTE_0 src1_sel:DWORD
	s_mov_b64 s[4:5], s[88:89]
	s_and_saveexec_b64 s[74:75], vcc
	s_xor_b64 s[86:87], exec, s[74:75]
	s_cbranch_execz .LBB14_4412
; %bb.4381:
	v_mov_b32_e32 v5, 23
	v_cmp_gt_i16_sdwa s[4:5], v11, v5 src0_sel:BYTE_0 src1_sel:DWORD
	s_and_saveexec_b64 vcc, s[4:5]
	s_xor_b64 vcc, exec, vcc
	v_writelane_b32 v43, vcc_lo, 60
	v_writelane_b32 v43, vcc_hi, 61
	s_cbranch_execz .LBB14_4401
; %bb.4382:
	v_mov_b32_e32 v5, 24
	v_cmp_gt_i16_sdwa s[4:5], v11, v5 src0_sel:BYTE_0 src1_sel:DWORD
	s_and_saveexec_b64 vcc, s[4:5]
	s_xor_b64 s[4:5], exec, vcc
	s_cbranch_execz .LBB14_4390
; %bb.4383:
	v_and_b32_e32 v5, 0x7fffffff, v4
	s_mov_b32 vcc_lo, 0x47800000
	v_cmp_gt_u32_e32 vcc, vcc_lo, v5
	v_mov_b32_e32 v16, 0x80
	s_and_saveexec_b64 s[84:85], vcc
	s_cbranch_execz .LBB14_4389
; %bb.4384:
	s_mov_b32 vcc_lo, 0x37ffffff
	v_cmp_lt_u32_e32 vcc, vcc_lo, v5
	s_mov_b64 s[82:83], 0
                                        ; implicit-def: $vgpr5
	s_and_saveexec_b64 s[74:75], vcc
	s_xor_b64 vcc, exec, s[74:75]
	s_cbranch_execnz .LBB14_7931
; %bb.4385:
	s_or_saveexec_b64 s[80:81], vcc
                                        ; implicit-def: $sgpr76
	s_xor_b64 exec, exec, s[80:81]
	s_cbranch_execnz .LBB14_7932
.LBB14_4386:
	s_or_b64 exec, exec, s[80:81]
	v_mov_b32_e32 v16, s76
	s_and_saveexec_b64 vcc, s[82:83]
.LBB14_4387:
	v_lshrrev_b32_e32 v4, 24, v4
	s_movk_i32 s74, 0x80
	v_and_or_b32 v16, v4, s74, v5
.LBB14_4388:
	s_or_b64 exec, exec, vcc
.LBB14_4389:
	s_or_b64 exec, exec, s[84:85]
	flat_store_byte v[2:3], v16
                                        ; implicit-def: $vgpr4
                                        ; implicit-def: $vgpr2_vgpr3
.LBB14_4390:
	s_andn2_saveexec_b64 s[4:5], s[4:5]
	s_cbranch_execz .LBB14_4400
; %bb.4391:
	v_and_b32_e32 v16, 0x7fffffff, v4
	s_mov_b32 vcc_lo, 0x43f00000
	v_cmp_gt_u32_e32 vcc, vcc_lo, v16
                                        ; implicit-def: $vgpr5
	s_and_saveexec_b64 s[74:75], vcc
	s_xor_b64 s[80:81], exec, s[74:75]
	s_cbranch_execz .LBB14_4397
; %bb.4392:
	s_mov_b32 vcc_lo, 0x3c7fffff
	v_cmp_lt_u32_e32 vcc, vcc_lo, v16
                                        ; implicit-def: $vgpr5
	s_and_saveexec_b64 s[74:75], vcc
	s_xor_b64 s[78:79], exec, s[74:75]
; %bb.4393:
	v_bfe_u32 v5, v4, 20, 1
	s_mov_b32 vcc_lo, 0x407ffff
	v_add3_u32 v5, v4, v5, vcc_lo
	v_lshrrev_b32_e32 v16, 20, v5
	v_and_b32_e32 v5, 0xff00000, v5
	s_mov_b32 vcc_lo, 0x7f00000
	v_mov_b32_e32 v17, 0x7e
	v_cmp_ne_u32_e32 vcc, vcc_lo, v5
	v_cndmask_b32_e32 v5, v17, v16, vcc
; %bb.4394:
	s_andn2_saveexec_b64 vcc, s[78:79]
; %bb.4395:
	s_mov_b32 s74, 0x46800000
	v_add_f32_e64 v5, |v4|, s74
; %bb.4396:
	s_or_b64 exec, exec, vcc
                                        ; implicit-def: $vgpr16
.LBB14_4397:
	s_andn2_saveexec_b64 s[80:81], s[80:81]
; %bb.4398:
	s_mov_b32 vcc_lo, 0x7f800000
	v_mov_b32_e32 v5, 0x7e
	v_mov_b32_e32 v17, 0x7f
	v_cmp_lt_u32_e32 vcc, vcc_lo, v16
	v_cndmask_b32_e32 v5, v5, v17, vcc
; %bb.4399:
	s_or_b64 exec, exec, s[80:81]
	v_lshrrev_b32_e32 v4, 24, v4
	s_movk_i32 vcc_lo, 0x80
	v_and_or_b32 v4, v4, vcc_lo, v5
	flat_store_byte v[2:3], v4
.LBB14_4400:
	s_or_b64 exec, exec, s[4:5]
                                        ; implicit-def: $vgpr4
                                        ; implicit-def: $vgpr2_vgpr3
.LBB14_4401:
	v_readlane_b32 s4, v43, 60
	v_readlane_b32 s5, v43, 61
	s_andn2_saveexec_b64 s[4:5], s[4:5]
	s_cbranch_execz .LBB14_4411
; %bb.4402:
	v_and_b32_e32 v16, 0x7fffffff, v4
	s_mov_b32 vcc_lo, 0x47800000
	v_cmp_gt_u32_e32 vcc, vcc_lo, v16
                                        ; implicit-def: $vgpr5
	s_and_saveexec_b64 s[74:75], vcc
	s_xor_b64 s[80:81], exec, s[74:75]
	s_cbranch_execz .LBB14_4408
; %bb.4403:
	s_mov_b32 vcc_lo, 0x387fffff
	v_cmp_lt_u32_e32 vcc, vcc_lo, v16
                                        ; implicit-def: $vgpr5
	s_and_saveexec_b64 s[74:75], vcc
	s_xor_b64 vcc, exec, s[74:75]
; %bb.4404:
	v_bfe_u32 v5, v4, 21, 1
	s_mov_b32 s74, 0x80fffff
	v_add3_u32 v5, v4, v5, s74
	v_lshrrev_b32_e32 v5, 21, v5
; %bb.4405:
	s_andn2_saveexec_b64 vcc, vcc
; %bb.4406:
	s_mov_b32 s74, 0x43000000
	v_add_f32_e64 v5, |v4|, s74
; %bb.4407:
	s_or_b64 exec, exec, vcc
                                        ; implicit-def: $vgpr16
.LBB14_4408:
	s_andn2_saveexec_b64 s[80:81], s[80:81]
; %bb.4409:
	s_mov_b32 vcc_lo, 0x7f800000
	v_mov_b32_e32 v5, 0x7c
	v_mov_b32_e32 v17, 0x7f
	v_cmp_lt_u32_e32 vcc, vcc_lo, v16
	v_cndmask_b32_e32 v5, v5, v17, vcc
; %bb.4410:
	s_or_b64 exec, exec, s[80:81]
	v_lshrrev_b32_e32 v4, 24, v4
	s_movk_i32 vcc_lo, 0x80
	v_and_or_b32 v4, v4, vcc_lo, v5
	flat_store_byte v[2:3], v4
.LBB14_4411:
	s_or_b64 exec, exec, s[4:5]
	s_or_b64 s[4:5], s[88:89], exec
                                        ; implicit-def: $vgpr4
                                        ; implicit-def: $vgpr2_vgpr3
.LBB14_4412:
	s_or_saveexec_b64 s[86:87], s[86:87]
	s_mov_b64 vcc, s[92:93]
	s_xor_b64 exec, exec, s[86:87]
	s_cbranch_execz .LBB14_4422
; %bb.4413:
	v_mov_b32_e32 v5, 14
	v_cmp_gt_i16_sdwa vcc, v11, v5 src0_sel:BYTE_0 src1_sel:DWORD
	s_mov_b64 s[84:85], s[4:5]
	s_mov_b64 s[82:83], s[92:93]
	s_and_saveexec_b64 s[74:75], vcc
	s_xor_b64 s[80:81], exec, s[74:75]
	s_cbranch_execz .LBB14_4417
; %bb.4414:
	v_mov_b32_e32 v5, 15
	v_cmp_eq_u16_sdwa s[74:75], v11, v5 src0_sel:BYTE_0 src1_sel:DWORD
	s_mov_b64 s[78:79], -1
	s_mov_b64 vcc, s[4:5]
	s_and_saveexec_b64 s[82:83], s[74:75]
	s_cbranch_execz .LBB14_4416
; %bb.4415:
	v_bfe_u32 v5, v4, 16, 1
	s_movk_i32 vcc_lo, 0x7fff
	v_add3_u32 v5, v4, v5, vcc_lo
	v_lshrrev_b32_e32 v5, 16, v5
	v_mov_b32_e32 v16, 0x7fc0
	v_cmp_o_f32_e32 vcc, v4, v4
	v_cndmask_b32_e32 v4, v16, v5, vcc
	flat_store_short v[2:3], v4
	s_xor_b64 s[78:79], exec, -1
	s_or_b64 vcc, s[4:5], exec
.LBB14_4416:
	s_or_b64 exec, exec, s[82:83]
	s_andn2_b64 s[74:75], s[92:93], exec
	s_and_b64 s[76:77], s[78:79], exec
	s_or_b64 s[82:83], s[74:75], s[76:77]
	s_andn2_b64 s[74:75], s[4:5], exec
	s_and_b64 vcc, vcc, exec
	s_or_b64 s[84:85], s[74:75], vcc
                                        ; implicit-def: $vgpr4
                                        ; implicit-def: $vgpr2_vgpr3
.LBB14_4417:
	s_andn2_saveexec_b64 s[80:81], s[80:81]
	s_cbranch_execz .LBB14_4421
; %bb.4418:
	v_mov_b32_e32 v5, 11
	v_cmp_eq_u16_sdwa s[74:75], v11, v5 src0_sel:BYTE_0 src1_sel:DWORD
	s_mov_b64 s[78:79], -1
	s_mov_b64 vcc, s[84:85]
	s_and_saveexec_b64 s[76:77], s[74:75]
	s_cbranch_execz .LBB14_4420
; %bb.4419:
	v_cmp_neq_f32_e32 vcc, 0, v4
	v_cndmask_b32_e64 v4, 0, 1, vcc
	flat_store_byte v[2:3], v4
	s_xor_b64 s[78:79], exec, -1
	s_or_b64 vcc, s[84:85], exec
.LBB14_4420:
	s_or_b64 exec, exec, s[76:77]
	s_andn2_b64 s[74:75], s[82:83], exec
	s_and_b64 s[76:77], s[78:79], exec
	s_or_b64 s[82:83], s[74:75], s[76:77]
	s_andn2_b64 s[74:75], s[84:85], exec
	s_and_b64 vcc, vcc, exec
	s_or_b64 s[84:85], s[74:75], vcc
.LBB14_4421:
	s_or_b64 exec, exec, s[80:81]
	s_andn2_b64 vcc, s[92:93], exec
	s_and_b64 s[74:75], s[82:83], exec
	s_or_b64 vcc, vcc, s[74:75]
	s_andn2_b64 s[4:5], s[4:5], exec
	s_and_b64 s[74:75], s[84:85], exec
	s_or_b64 s[4:5], s[4:5], s[74:75]
.LBB14_4422:
	s_or_b64 exec, exec, s[86:87]
	s_andn2_b64 s[74:75], s[92:93], exec
	s_and_b64 vcc, vcc, exec
	s_or_b64 s[92:93], s[74:75], vcc
	s_andn2_b64 vcc, s[88:89], exec
	s_and_b64 s[4:5], s[4:5], exec
	s_or_b64 s[88:89], vcc, s[4:5]
.LBB14_4423:
	s_or_b64 exec, exec, s[90:91]
	v_readlane_b32 s4, v43, 46
	v_readlane_b32 s5, v43, 47
	s_andn2_b64 s[4:5], s[4:5], exec
	s_and_b64 vcc, s[92:93], exec
	s_or_b64 s[90:91], s[4:5], vcc
	s_and_b64 s[4:5], s[88:89], exec
                                        ; implicit-def: $vgpr4
                                        ; implicit-def: $vgpr2_vgpr3
.LBB14_4424:
	v_readlane_b32 vcc_lo, v43, 58
	v_readlane_b32 vcc_hi, v43, 59
	s_andn2_saveexec_b64 s[92:93], vcc
	s_cbranch_execz .LBB14_4466
; %bb.4425:
	v_mov_b32_e32 v5, 4
	v_cmp_gt_i16_sdwa vcc, v11, v5 src0_sel:BYTE_0 src1_sel:DWORD
	s_and_saveexec_b64 s[74:75], vcc
	s_xor_b64 vcc, exec, s[74:75]
	s_cbranch_execz .LBB14_4447
; %bb.4426:
	v_mov_b32_e32 v5, 7
	v_cmp_gt_i16_sdwa s[74:75], v11, v5 src0_sel:BYTE_0 src1_sel:DWORD
	s_and_saveexec_b64 s[76:77], s[74:75]
	s_xor_b64 s[84:85], exec, s[76:77]
	s_cbranch_execz .LBB14_4436
; %bb.4427:
	v_mov_b32_e32 v5, 8
	v_cmp_gt_i16_sdwa s[74:75], v11, v5 src0_sel:BYTE_0 src1_sel:DWORD
	s_and_saveexec_b64 s[76:77], s[74:75]
	s_xor_b64 s[82:83], exec, s[76:77]
	;; [unrolled: 6-line block ×3, first 2 shown]
	s_cbranch_execz .LBB14_4430
; %bb.4429:
	v_mov_b32_e32 v18, 0
	v_cvt_f64_f32_e32 v[16:17], v4
	v_mov_b32_e32 v19, v18
	flat_store_dwordx4 v[2:3], v[16:19]
                                        ; implicit-def: $vgpr4
                                        ; implicit-def: $vgpr2_vgpr3
.LBB14_4430:
	s_andn2_saveexec_b64 s[76:77], s[78:79]
	s_cbranch_execz .LBB14_4432
; %bb.4431:
	v_mov_b32_e32 v5, 0
	flat_store_dwordx2 v[2:3], v[4:5]
.LBB14_4432:
	s_or_b64 exec, exec, s[76:77]
                                        ; implicit-def: $vgpr4
                                        ; implicit-def: $vgpr2_vgpr3
.LBB14_4433:
	s_andn2_saveexec_b64 s[76:77], s[82:83]
	s_cbranch_execz .LBB14_4435
; %bb.4434:
	v_cvt_f16_f32_e32 v4, v4
	flat_store_dword v[2:3], v4
.LBB14_4435:
	s_or_b64 exec, exec, s[76:77]
                                        ; implicit-def: $vgpr4
                                        ; implicit-def: $vgpr2_vgpr3
.LBB14_4436:
	s_andn2_saveexec_b64 s[82:83], s[84:85]
	s_cbranch_execz .LBB14_4446
; %bb.4437:
	v_mov_b32_e32 v5, 5
	v_cmp_gt_i16_sdwa s[74:75], v11, v5 src0_sel:BYTE_0 src1_sel:DWORD
	s_and_saveexec_b64 s[76:77], s[74:75]
	s_xor_b64 s[80:81], exec, s[76:77]
	s_cbranch_execz .LBB14_4443
; %bb.4438:
	v_mov_b32_e32 v5, 6
	v_cmp_gt_i16_sdwa s[74:75], v11, v5 src0_sel:BYTE_0 src1_sel:DWORD
	s_and_saveexec_b64 s[76:77], s[74:75]
	s_xor_b64 s[76:77], exec, s[76:77]
	s_cbranch_execz .LBB14_4440
; %bb.4439:
	v_cvt_f64_f32_e32 v[4:5], v4
	flat_store_dwordx2 v[2:3], v[4:5]
                                        ; implicit-def: $vgpr2_vgpr3
                                        ; implicit-def: $vgpr4
.LBB14_4440:
	s_andn2_saveexec_b64 s[76:77], s[76:77]
	s_cbranch_execz .LBB14_4442
; %bb.4441:
	flat_store_dword v[2:3], v4
.LBB14_4442:
	s_or_b64 exec, exec, s[76:77]
                                        ; implicit-def: $vgpr4
                                        ; implicit-def: $vgpr2_vgpr3
.LBB14_4443:
	s_andn2_saveexec_b64 s[76:77], s[80:81]
	s_cbranch_execz .LBB14_4445
; %bb.4444:
	v_cvt_f16_f32_e32 v4, v4
	flat_store_short v[2:3], v4
.LBB14_4445:
	s_or_b64 exec, exec, s[76:77]
.LBB14_4446:
	s_or_b64 exec, exec, s[82:83]
                                        ; implicit-def: $vgpr4
                                        ; implicit-def: $vgpr2_vgpr3
.LBB14_4447:
	s_andn2_saveexec_b64 s[88:89], vcc
	s_cbranch_execz .LBB14_4465
; %bb.4448:
	v_mov_b32_e32 v5, 1
	v_cmp_gt_i16_sdwa vcc, v11, v5 src0_sel:BYTE_0 src1_sel:DWORD
	s_and_saveexec_b64 s[74:75], vcc
	s_xor_b64 s[84:85], exec, s[74:75]
	s_cbranch_execz .LBB14_4458
; %bb.4449:
	v_mov_b32_e32 v5, 2
	v_cmp_gt_i16_sdwa vcc, v11, v5 src0_sel:BYTE_0 src1_sel:DWORD
	s_and_saveexec_b64 s[74:75], vcc
	s_xor_b64 s[82:83], exec, s[74:75]
	;; [unrolled: 6-line block ×3, first 2 shown]
	s_cbranch_execz .LBB14_4452
; %bb.4451:
	v_trunc_f32_e32 v4, v4
	s_mov_b32 s74, 0x2f800000
	v_mul_f32_e64 v5, |v4|, s74
	v_floor_f32_e32 v5, v5
	s_mov_b32 s74, 0xcf800000
	v_cvt_u32_f32_e32 v16, v5
	v_fma_f32 v5, v5, s74, |v4|
	v_cvt_u32_f32_e32 v5, v5
	v_ashrrev_i32_e32 v17, 31, v4
	v_xor_b32_e32 v16, v16, v17
	v_xor_b32_e32 v4, v5, v17
	v_sub_co_u32_e32 v4, vcc, v4, v17
	v_subb_co_u32_e32 v5, vcc, v16, v17, vcc
	flat_store_dwordx2 v[2:3], v[4:5]
                                        ; implicit-def: $vgpr4
                                        ; implicit-def: $vgpr2_vgpr3
.LBB14_4452:
	s_andn2_saveexec_b64 vcc, s[80:81]
	s_cbranch_execz .LBB14_4454
; %bb.4453:
	v_cvt_i32_f32_e32 v4, v4
	flat_store_dword v[2:3], v4
.LBB14_4454:
	s_or_b64 exec, exec, vcc
                                        ; implicit-def: $vgpr4
                                        ; implicit-def: $vgpr2_vgpr3
.LBB14_4455:
	s_andn2_saveexec_b64 vcc, s[82:83]
	s_cbranch_execz .LBB14_4457
; %bb.4456:
	v_cvt_i32_f32_e32 v4, v4
	flat_store_short v[2:3], v4
.LBB14_4457:
	s_or_b64 exec, exec, vcc
                                        ; implicit-def: $vgpr4
                                        ; implicit-def: $vgpr2_vgpr3
.LBB14_4458:
	s_andn2_saveexec_b64 vcc, s[84:85]
	s_cbranch_execz .LBB14_4464
; %bb.4459:
	v_mov_b32_e32 v5, 0
	v_cmp_gt_i16_sdwa s[74:75], v11, v5 src0_sel:BYTE_0 src1_sel:DWORD
	s_and_saveexec_b64 s[76:77], s[74:75]
	s_xor_b64 s[76:77], exec, s[76:77]
	s_cbranch_execz .LBB14_4461
; %bb.4460:
	v_cvt_i32_f32_e32 v4, v4
	flat_store_byte v[2:3], v4
                                        ; implicit-def: $vgpr4
                                        ; implicit-def: $vgpr2_vgpr3
.LBB14_4461:
	s_andn2_saveexec_b64 s[80:81], s[76:77]
	s_cbranch_execz .LBB14_4463
; %bb.4462:
	v_trunc_f32_e32 v4, v4
	s_mov_b32 s74, 0x2f800000
	v_mul_f32_e64 v5, |v4|, s74
	v_floor_f32_e32 v5, v5
	s_mov_b32 s74, 0xcf800000
	v_fma_f32 v5, v5, s74, |v4|
	v_cvt_u32_f32_e32 v5, v5
	v_ashrrev_i32_e32 v4, 31, v4
	v_xor_b32_e32 v5, v5, v4
	v_sub_u32_e32 v4, v5, v4
	flat_store_byte v[2:3], v4
.LBB14_4463:
	s_or_b64 exec, exec, s[80:81]
.LBB14_4464:
	s_or_b64 exec, exec, vcc
.LBB14_4465:
	s_or_b64 exec, exec, s[88:89]
	s_or_b64 s[4:5], s[4:5], exec
.LBB14_4466:
	s_or_b64 exec, exec, s[92:93]
	s_mov_b64 vcc, 0
	s_and_saveexec_b64 s[76:77], s[4:5]
; %bb.4467:
	s_mov_b64 vcc, exec
	v_add_u32_e32 v13, 0x200, v13
; %bb.4468:
	s_or_b64 exec, exec, s[76:77]
	v_readlane_b32 s4, v43, 46
	v_readlane_b32 s5, v43, 47
	s_andn2_b64 s[4:5], s[4:5], exec
	s_and_b64 s[74:75], s[90:91], exec
	s_or_b64 s[4:5], s[4:5], s[74:75]
	v_writelane_b32 v43, s4, 54
	v_writelane_b32 v43, s5, 55
	s_orn2_b64 s[82:83], vcc, exec
.LBB14_4469:
	s_or_b64 exec, exec, s[96:97]
	s_mov_b64 s[4:5], 0
	s_mov_b64 vcc, 0
	s_mov_b64 s[80:81], 0
                                        ; implicit-def: $vgpr2
                                        ; implicit-def: $vgpr102
                                        ; implicit-def: $vgpr4_vgpr5
	s_mov_b64 s[74:75], exec
	v_writelane_b32 v43, s74, 56
	v_writelane_b32 v43, s75, 57
	s_and_b64 s[74:75], s[74:75], s[82:83]
	s_mov_b64 exec, s[74:75]
	s_cbranch_execz .LBB14_4691
; %bb.4470:
	v_readlane_b32 s4, v43, 54
	v_readlane_b32 s5, v43, 55
	v_cmp_lt_i32_e32 vcc, v13, v6
	s_mov_b64 s[82:83], -1
	v_writelane_b32 v43, s4, 62
	v_writelane_b32 v43, s5, 63
	s_and_saveexec_b64 s[96:97], vcc
                                        ; implicit-def: $vgpr42 : SGPR spill to VGPR lane
	s_cbranch_execz .LBB14_4598
; %bb.4471:
	v_readlane_b32 s4, v44, 1
	v_add_u32_e32 v2, s4, v13
	v_mul_lo_u32 v2, v2, v12
	v_add_co_u32_e32 v2, vcc, v0, v2
	v_addc_co_u32_e32 v3, vcc, 0, v1, vcc
	s_waitcnt vmcnt(0)
	v_mul_f32_e32 v4, v15, v14
	v_cmp_lt_f32_e32 vcc, 0, v14
	v_mov_b32_e32 v5, 10
	v_readlane_b32 s90, v43, 54
	v_cndmask_b32_e32 v4, v4, v14, vcc
	v_cmp_gt_i16_sdwa vcc, v11, v5 src0_sel:BYTE_0 src1_sel:DWORD
	s_mov_b64 s[4:5], 0
	v_readlane_b32 s91, v43, 55
	s_and_saveexec_b64 s[74:75], vcc
	s_xor_b64 s[74:75], exec, s[74:75]
	v_writelane_b32 v42, s74, 2
	v_writelane_b32 v42, s75, 3
	s_cbranch_execz .LBB14_4553
; %bb.4472:
	v_mov_b32_e32 v5, 25
	v_readlane_b32 s92, v43, 54
	v_cmp_gt_i16_sdwa s[4:5], v11, v5 src0_sel:BYTE_0 src1_sel:DWORD
	s_mov_b64 s[88:89], 0
	v_readlane_b32 s93, v43, 55
	s_and_saveexec_b64 vcc, s[4:5]
	s_xor_b64 s[90:91], exec, vcc
	s_cbranch_execz .LBB14_4508
; %bb.4473:
	v_mov_b32_e32 v5, 28
	v_readlane_b32 s92, v43, 54
	v_cmp_gt_i16_sdwa vcc, v11, v5 src0_sel:BYTE_0 src1_sel:DWORD
	s_mov_b64 s[4:5], 0
	v_readlane_b32 s93, v43, 55
	s_and_saveexec_b64 s[74:75], vcc
	s_xor_b64 s[88:89], exec, s[74:75]
	s_cbranch_execz .LBB14_4491
; %bb.4474:
	v_mov_b32_e32 v5, 43
	v_readlane_b32 vcc_lo, v43, 54
	v_cmp_gt_i16_sdwa s[74:75], v11, v5 src0_sel:BYTE_0 src1_sel:DWORD
	v_readlane_b32 vcc_hi, v43, 55
	s_and_saveexec_b64 s[76:77], s[74:75]
	s_xor_b64 s[76:77], exec, s[76:77]
	s_cbranch_execz .LBB14_4486
; %bb.4475:
	v_mov_b32_e32 v5, 45
	v_readlane_b32 s84, v43, 54
	v_cmp_gt_i16_sdwa s[4:5], v11, v5 src0_sel:BYTE_0 src1_sel:DWORD
	s_mov_b64 s[86:87], 0
	v_readlane_b32 s85, v43, 55
	s_and_saveexec_b64 vcc, s[4:5]
	s_xor_b64 s[4:5], exec, vcc
	s_cbranch_execz .LBB14_4479
; %bb.4476:
	v_mov_b32_e32 v5, 46
	v_cmp_eq_u16_sdwa s[74:75], v11, v5 src0_sel:BYTE_0 src1_sel:DWORD
	s_mov_b64 vcc, -1
	s_and_saveexec_b64 s[82:83], s[74:75]
	s_cbranch_execz .LBB14_4478
; %bb.4477:
	v_bfe_u32 v5, v4, 16, 1
	s_movk_i32 vcc_lo, 0x7fff
	v_add3_u32 v5, v4, v5, vcc_lo
	v_lshrrev_b32_e32 v5, 16, v5
	v_mov_b32_e32 v14, 0x7fc0
	v_cmp_o_f32_e32 vcc, v4, v4
	v_cndmask_b32_e32 v4, v14, v5, vcc
	s_mov_b64 s[80:81], exec
	flat_store_dword v[2:3], v4
	s_xor_b64 vcc, exec, -1
.LBB14_4478:
	s_or_b64 exec, exec, s[82:83]
	v_readlane_b32 s74, v43, 54
	v_readlane_b32 s75, v43, 55
	s_andn2_b64 s[74:75], s[74:75], exec
	s_and_b64 vcc, vcc, exec
	s_or_b64 s[84:85], s[74:75], vcc
	s_and_b64 s[86:87], s[80:81], exec
                                        ; implicit-def: $vgpr2_vgpr3
                                        ; implicit-def: $vgpr4
.LBB14_4479:
	s_andn2_saveexec_b64 s[92:93], s[4:5]
	s_cbranch_execz .LBB14_4485
; %bb.4480:
	v_mov_b32_e32 v5, 44
	v_cmp_eq_u16_sdwa s[74:75], v11, v5 src0_sel:BYTE_0 src1_sel:DWORD
	s_mov_b64 vcc, -1
	s_mov_b64 s[4:5], s[86:87]
	s_and_saveexec_b64 s[80:81], s[74:75]
	s_cbranch_execz .LBB14_4484
; %bb.4481:
	v_bfe_u32 v5, v4, 23, 8
	s_movk_i32 s4, 0xff
	v_cmp_ne_u32_e32 vcc, s4, v5
	v_mov_b32_e32 v14, 0xff
	s_and_saveexec_b64 s[82:83], vcc
; %bb.4482:
	s_mov_b32 s4, 0x3fffff
	v_lshrrev_b32_e32 v14, 23, v4
	v_and_b32_e32 v15, 0x400000, v4
	v_and_or_b32 v4, v4, s4, v5
	v_cmp_ne_u32_e32 vcc, 0, v15
	v_cmp_ne_u32_e64 s[4:5], 0, v4
	s_and_b64 s[4:5], vcc, s[4:5]
	v_cndmask_b32_e64 v4, 0, 1, s[4:5]
	v_add_u32_e32 v14, v14, v4
; %bb.4483:
	s_or_b64 exec, exec, s[82:83]
	s_xor_b64 vcc, exec, -1
	s_or_b64 s[4:5], s[86:87], exec
	flat_store_byte v[2:3], v14
.LBB14_4484:
	s_or_b64 exec, exec, s[80:81]
	s_andn2_b64 s[74:75], s[84:85], exec
	s_and_b64 vcc, vcc, exec
	s_or_b64 s[84:85], s[74:75], vcc
	s_andn2_b64 vcc, s[86:87], exec
	s_and_b64 s[4:5], s[4:5], exec
	s_or_b64 s[86:87], vcc, s[4:5]
.LBB14_4485:
	s_or_b64 exec, exec, s[92:93]
	v_readlane_b32 s4, v43, 54
	v_readlane_b32 s5, v43, 55
	s_andn2_b64 s[4:5], s[4:5], exec
	s_and_b64 vcc, s[84:85], exec
	s_or_b64 vcc, s[4:5], vcc
	s_and_b64 s[4:5], s[86:87], exec
                                        ; implicit-def: $vgpr4
                                        ; implicit-def: $vgpr2_vgpr3
.LBB14_4486:
	s_andn2_saveexec_b64 s[82:83], s[76:77]
	s_cbranch_execz .LBB14_4490
; %bb.4487:
	v_mov_b32_e32 v5, 29
	v_cmp_eq_u16_sdwa s[74:75], v11, v5 src0_sel:BYTE_0 src1_sel:DWORD
	s_mov_b64 s[86:87], -1
	s_mov_b64 s[84:85], s[4:5]
	s_and_saveexec_b64 s[80:81], s[74:75]
	s_cbranch_execz .LBB14_4489
; %bb.4488:
	v_trunc_f32_e32 v4, v4
	v_mul_f32_e32 v5, 0x2f800000, v4
	v_floor_f32_e32 v14, v5
	v_fmac_f32_e32 v4, 0xcf800000, v14
	v_cvt_u32_f32_e32 v5, v14
	v_cvt_u32_f32_e32 v4, v4
	s_xor_b64 s[86:87], exec, -1
	s_or_b64 s[84:85], s[4:5], exec
	flat_store_dwordx2 v[2:3], v[4:5]
.LBB14_4489:
	s_or_b64 exec, exec, s[80:81]
	s_andn2_b64 vcc, vcc, exec
	s_and_b64 s[74:75], s[86:87], exec
	s_or_b64 vcc, vcc, s[74:75]
	s_andn2_b64 s[4:5], s[4:5], exec
	s_and_b64 s[74:75], s[84:85], exec
	s_or_b64 s[4:5], s[4:5], s[74:75]
.LBB14_4490:
	s_or_b64 exec, exec, s[82:83]
	v_readlane_b32 s74, v43, 54
	v_readlane_b32 s75, v43, 55
	s_andn2_b64 s[74:75], s[74:75], exec
	s_and_b64 vcc, vcc, exec
	s_or_b64 s[92:93], s[74:75], vcc
	s_and_b64 s[4:5], s[4:5], exec
                                        ; implicit-def: $vgpr2_vgpr3
                                        ; implicit-def: $vgpr4
.LBB14_4491:
	s_andn2_saveexec_b64 s[88:89], s[88:89]
	s_cbranch_execz .LBB14_4507
; %bb.4492:
	v_mov_b32_e32 v5, 26
	v_cmp_gt_i16_sdwa vcc, v11, v5 src0_sel:BYTE_0 src1_sel:DWORD
	s_and_saveexec_b64 s[74:75], vcc
	s_xor_b64 vcc, exec, s[74:75]
	s_cbranch_execz .LBB14_4498
; %bb.4493:
	v_cvt_u32_f32_e32 v4, v4
	v_mov_b32_e32 v5, 27
	v_cmp_gt_i16_sdwa s[74:75], v11, v5 src0_sel:BYTE_0 src1_sel:DWORD
	s_and_saveexec_b64 s[76:77], s[74:75]
	s_xor_b64 s[76:77], exec, s[76:77]
	s_cbranch_execz .LBB14_4495
; %bb.4494:
	flat_store_dword v[2:3], v4
                                        ; implicit-def: $vgpr2_vgpr3
                                        ; implicit-def: $vgpr4
.LBB14_4495:
	s_andn2_saveexec_b64 s[76:77], s[76:77]
	s_cbranch_execz .LBB14_4497
; %bb.4496:
	flat_store_short v[2:3], v4
.LBB14_4497:
	s_or_b64 exec, exec, s[76:77]
                                        ; implicit-def: $vgpr2_vgpr3
                                        ; implicit-def: $vgpr4
.LBB14_4498:
	s_andn2_saveexec_b64 s[86:87], vcc
	s_cbranch_execz .LBB14_4506
; %bb.4499:
	v_and_b32_e32 v5, 0x7fffffff, v4
	s_mov_b32 vcc_lo, 0x43800000
	v_cmp_gt_u32_e32 vcc, vcc_lo, v5
	v_mov_b32_e32 v14, 0x80
	s_and_saveexec_b64 s[84:85], vcc
	s_cbranch_execz .LBB14_4505
; %bb.4500:
	s_mov_b32 vcc_lo, 0x3bffffff
	v_cmp_lt_u32_e32 vcc, vcc_lo, v5
	s_mov_b64 s[82:83], 0
                                        ; implicit-def: $vgpr5
	s_and_saveexec_b64 s[74:75], vcc
	s_xor_b64 vcc, exec, s[74:75]
	s_cbranch_execnz .LBB14_7933
; %bb.4501:
	s_or_saveexec_b64 s[80:81], vcc
                                        ; implicit-def: $sgpr76
	s_xor_b64 exec, exec, s[80:81]
	s_cbranch_execnz .LBB14_7934
.LBB14_4502:
	s_or_b64 exec, exec, s[80:81]
	v_mov_b32_e32 v14, s76
	s_and_saveexec_b64 vcc, s[82:83]
.LBB14_4503:
	v_lshrrev_b32_e32 v4, 24, v4
	s_movk_i32 s74, 0x80
	v_and_or_b32 v14, v4, s74, v5
.LBB14_4504:
	s_or_b64 exec, exec, vcc
.LBB14_4505:
	s_or_b64 exec, exec, s[84:85]
	flat_store_byte v[2:3], v14
.LBB14_4506:
	s_or_b64 exec, exec, s[86:87]
	s_or_b64 s[4:5], s[4:5], exec
.LBB14_4507:
	s_or_b64 exec, exec, s[88:89]
	v_readlane_b32 vcc_lo, v43, 54
	v_readlane_b32 vcc_hi, v43, 55
	s_andn2_b64 vcc, vcc, exec
	s_and_b64 s[74:75], s[92:93], exec
	s_or_b64 s[92:93], vcc, s[74:75]
	s_and_b64 s[88:89], s[4:5], exec
                                        ; implicit-def: $vgpr4
                                        ; implicit-def: $vgpr2_vgpr3
.LBB14_4508:
	s_andn2_saveexec_b64 s[90:91], s[90:91]
	s_cbranch_execz .LBB14_4552
; %bb.4509:
	v_mov_b32_e32 v5, 22
	v_cmp_gt_i16_sdwa vcc, v11, v5 src0_sel:BYTE_0 src1_sel:DWORD
	s_mov_b64 s[4:5], s[88:89]
	s_and_saveexec_b64 s[74:75], vcc
	s_xor_b64 s[86:87], exec, s[74:75]
	s_cbranch_execz .LBB14_4541
; %bb.4510:
	v_mov_b32_e32 v5, 23
	v_cmp_gt_i16_sdwa s[4:5], v11, v5 src0_sel:BYTE_0 src1_sel:DWORD
	s_and_saveexec_b64 vcc, s[4:5]
	s_xor_b64 vcc, exec, vcc
	v_writelane_b32 v42, vcc_lo, 4
	v_writelane_b32 v42, vcc_hi, 5
	s_cbranch_execz .LBB14_4530
; %bb.4511:
	v_mov_b32_e32 v5, 24
	v_cmp_gt_i16_sdwa s[4:5], v11, v5 src0_sel:BYTE_0 src1_sel:DWORD
	s_and_saveexec_b64 vcc, s[4:5]
	s_xor_b64 s[4:5], exec, vcc
	s_cbranch_execz .LBB14_4519
; %bb.4512:
	v_and_b32_e32 v5, 0x7fffffff, v4
	s_mov_b32 vcc_lo, 0x47800000
	v_cmp_gt_u32_e32 vcc, vcc_lo, v5
	v_mov_b32_e32 v14, 0x80
	s_and_saveexec_b64 s[84:85], vcc
	s_cbranch_execz .LBB14_4518
; %bb.4513:
	s_mov_b32 vcc_lo, 0x37ffffff
	v_cmp_lt_u32_e32 vcc, vcc_lo, v5
	s_mov_b64 s[82:83], 0
                                        ; implicit-def: $vgpr5
	s_and_saveexec_b64 s[74:75], vcc
	s_xor_b64 vcc, exec, s[74:75]
	s_cbranch_execnz .LBB14_7935
; %bb.4514:
	s_or_saveexec_b64 s[80:81], vcc
                                        ; implicit-def: $sgpr76
	s_xor_b64 exec, exec, s[80:81]
	s_cbranch_execnz .LBB14_7936
.LBB14_4515:
	s_or_b64 exec, exec, s[80:81]
	v_mov_b32_e32 v14, s76
	s_and_saveexec_b64 vcc, s[82:83]
.LBB14_4516:
	v_lshrrev_b32_e32 v4, 24, v4
	s_movk_i32 s74, 0x80
	v_and_or_b32 v14, v4, s74, v5
.LBB14_4517:
	s_or_b64 exec, exec, vcc
.LBB14_4518:
	s_or_b64 exec, exec, s[84:85]
	flat_store_byte v[2:3], v14
                                        ; implicit-def: $vgpr4
                                        ; implicit-def: $vgpr2_vgpr3
.LBB14_4519:
	s_andn2_saveexec_b64 s[4:5], s[4:5]
	s_cbranch_execz .LBB14_4529
; %bb.4520:
	v_and_b32_e32 v14, 0x7fffffff, v4
	s_mov_b32 vcc_lo, 0x43f00000
	v_cmp_gt_u32_e32 vcc, vcc_lo, v14
                                        ; implicit-def: $vgpr5
	s_and_saveexec_b64 s[74:75], vcc
	s_xor_b64 s[80:81], exec, s[74:75]
	s_cbranch_execz .LBB14_4526
; %bb.4521:
	s_mov_b32 vcc_lo, 0x3c7fffff
	v_cmp_lt_u32_e32 vcc, vcc_lo, v14
                                        ; implicit-def: $vgpr5
	s_and_saveexec_b64 s[74:75], vcc
	s_xor_b64 s[78:79], exec, s[74:75]
; %bb.4522:
	v_bfe_u32 v5, v4, 20, 1
	s_mov_b32 vcc_lo, 0x407ffff
	v_add3_u32 v5, v4, v5, vcc_lo
	v_lshrrev_b32_e32 v14, 20, v5
	v_and_b32_e32 v5, 0xff00000, v5
	s_mov_b32 vcc_lo, 0x7f00000
	v_mov_b32_e32 v15, 0x7e
	v_cmp_ne_u32_e32 vcc, vcc_lo, v5
	v_cndmask_b32_e32 v5, v15, v14, vcc
; %bb.4523:
	s_andn2_saveexec_b64 vcc, s[78:79]
; %bb.4524:
	s_mov_b32 s74, 0x46800000
	v_add_f32_e64 v5, |v4|, s74
; %bb.4525:
	s_or_b64 exec, exec, vcc
                                        ; implicit-def: $vgpr14
.LBB14_4526:
	s_andn2_saveexec_b64 s[80:81], s[80:81]
; %bb.4527:
	s_mov_b32 vcc_lo, 0x7f800000
	v_mov_b32_e32 v5, 0x7e
	v_mov_b32_e32 v15, 0x7f
	v_cmp_lt_u32_e32 vcc, vcc_lo, v14
	v_cndmask_b32_e32 v5, v5, v15, vcc
; %bb.4528:
	s_or_b64 exec, exec, s[80:81]
	v_lshrrev_b32_e32 v4, 24, v4
	s_movk_i32 vcc_lo, 0x80
	v_and_or_b32 v4, v4, vcc_lo, v5
	flat_store_byte v[2:3], v4
.LBB14_4529:
	s_or_b64 exec, exec, s[4:5]
                                        ; implicit-def: $vgpr4
                                        ; implicit-def: $vgpr2_vgpr3
.LBB14_4530:
	v_readlane_b32 s4, v42, 4
	v_readlane_b32 s5, v42, 5
	s_andn2_saveexec_b64 s[4:5], s[4:5]
	s_cbranch_execz .LBB14_4540
; %bb.4531:
	v_and_b32_e32 v14, 0x7fffffff, v4
	s_mov_b32 vcc_lo, 0x47800000
	v_cmp_gt_u32_e32 vcc, vcc_lo, v14
                                        ; implicit-def: $vgpr5
	s_and_saveexec_b64 s[74:75], vcc
	s_xor_b64 s[80:81], exec, s[74:75]
	s_cbranch_execz .LBB14_4537
; %bb.4532:
	s_mov_b32 vcc_lo, 0x387fffff
	v_cmp_lt_u32_e32 vcc, vcc_lo, v14
                                        ; implicit-def: $vgpr5
	s_and_saveexec_b64 s[74:75], vcc
	s_xor_b64 vcc, exec, s[74:75]
; %bb.4533:
	v_bfe_u32 v5, v4, 21, 1
	s_mov_b32 s74, 0x80fffff
	v_add3_u32 v5, v4, v5, s74
	v_lshrrev_b32_e32 v5, 21, v5
; %bb.4534:
	s_andn2_saveexec_b64 vcc, vcc
; %bb.4535:
	s_mov_b32 s74, 0x43000000
	v_add_f32_e64 v5, |v4|, s74
; %bb.4536:
	s_or_b64 exec, exec, vcc
                                        ; implicit-def: $vgpr14
.LBB14_4537:
	s_andn2_saveexec_b64 s[80:81], s[80:81]
; %bb.4538:
	s_mov_b32 vcc_lo, 0x7f800000
	v_mov_b32_e32 v5, 0x7c
	v_mov_b32_e32 v15, 0x7f
	v_cmp_lt_u32_e32 vcc, vcc_lo, v14
	v_cndmask_b32_e32 v5, v5, v15, vcc
; %bb.4539:
	s_or_b64 exec, exec, s[80:81]
	v_lshrrev_b32_e32 v4, 24, v4
	s_movk_i32 vcc_lo, 0x80
	v_and_or_b32 v4, v4, vcc_lo, v5
	flat_store_byte v[2:3], v4
.LBB14_4540:
	s_or_b64 exec, exec, s[4:5]
	s_or_b64 s[4:5], s[88:89], exec
                                        ; implicit-def: $vgpr4
                                        ; implicit-def: $vgpr2_vgpr3
.LBB14_4541:
	s_or_saveexec_b64 s[86:87], s[86:87]
	s_mov_b64 vcc, s[92:93]
	s_xor_b64 exec, exec, s[86:87]
	s_cbranch_execz .LBB14_4551
; %bb.4542:
	v_mov_b32_e32 v5, 14
	v_cmp_gt_i16_sdwa vcc, v11, v5 src0_sel:BYTE_0 src1_sel:DWORD
	s_mov_b64 s[84:85], s[4:5]
	s_mov_b64 s[82:83], s[92:93]
	s_and_saveexec_b64 s[74:75], vcc
	s_xor_b64 s[80:81], exec, s[74:75]
	s_cbranch_execz .LBB14_4546
; %bb.4543:
	v_mov_b32_e32 v5, 15
	v_cmp_eq_u16_sdwa s[74:75], v11, v5 src0_sel:BYTE_0 src1_sel:DWORD
	s_mov_b64 s[78:79], -1
	s_mov_b64 vcc, s[4:5]
	s_and_saveexec_b64 s[82:83], s[74:75]
	s_cbranch_execz .LBB14_4545
; %bb.4544:
	v_bfe_u32 v5, v4, 16, 1
	s_movk_i32 vcc_lo, 0x7fff
	v_add3_u32 v5, v4, v5, vcc_lo
	v_lshrrev_b32_e32 v5, 16, v5
	v_mov_b32_e32 v14, 0x7fc0
	v_cmp_o_f32_e32 vcc, v4, v4
	v_cndmask_b32_e32 v4, v14, v5, vcc
	flat_store_short v[2:3], v4
	s_xor_b64 s[78:79], exec, -1
	s_or_b64 vcc, s[4:5], exec
.LBB14_4545:
	s_or_b64 exec, exec, s[82:83]
	s_andn2_b64 s[74:75], s[92:93], exec
	s_and_b64 s[76:77], s[78:79], exec
	s_or_b64 s[82:83], s[74:75], s[76:77]
	s_andn2_b64 s[74:75], s[4:5], exec
	s_and_b64 vcc, vcc, exec
	s_or_b64 s[84:85], s[74:75], vcc
                                        ; implicit-def: $vgpr4
                                        ; implicit-def: $vgpr2_vgpr3
.LBB14_4546:
	s_andn2_saveexec_b64 s[80:81], s[80:81]
	s_cbranch_execz .LBB14_4550
; %bb.4547:
	v_mov_b32_e32 v5, 11
	v_cmp_eq_u16_sdwa s[74:75], v11, v5 src0_sel:BYTE_0 src1_sel:DWORD
	s_mov_b64 s[78:79], -1
	s_mov_b64 vcc, s[84:85]
	s_and_saveexec_b64 s[76:77], s[74:75]
	s_cbranch_execz .LBB14_4549
; %bb.4548:
	v_cmp_neq_f32_e32 vcc, 0, v4
	v_cndmask_b32_e64 v4, 0, 1, vcc
	flat_store_byte v[2:3], v4
	s_xor_b64 s[78:79], exec, -1
	s_or_b64 vcc, s[84:85], exec
.LBB14_4549:
	s_or_b64 exec, exec, s[76:77]
	s_andn2_b64 s[74:75], s[82:83], exec
	s_and_b64 s[76:77], s[78:79], exec
	s_or_b64 s[82:83], s[74:75], s[76:77]
	s_andn2_b64 s[74:75], s[84:85], exec
	s_and_b64 vcc, vcc, exec
	s_or_b64 s[84:85], s[74:75], vcc
.LBB14_4550:
	s_or_b64 exec, exec, s[80:81]
	s_andn2_b64 vcc, s[92:93], exec
	s_and_b64 s[74:75], s[82:83], exec
	s_or_b64 vcc, vcc, s[74:75]
	s_andn2_b64 s[4:5], s[4:5], exec
	s_and_b64 s[74:75], s[84:85], exec
	s_or_b64 s[4:5], s[4:5], s[74:75]
.LBB14_4551:
	s_or_b64 exec, exec, s[86:87]
	s_andn2_b64 s[74:75], s[92:93], exec
	s_and_b64 vcc, vcc, exec
	s_or_b64 s[92:93], s[74:75], vcc
	s_andn2_b64 vcc, s[88:89], exec
	s_and_b64 s[4:5], s[4:5], exec
	s_or_b64 s[88:89], vcc, s[4:5]
.LBB14_4552:
	s_or_b64 exec, exec, s[90:91]
	v_readlane_b32 s4, v43, 54
	v_readlane_b32 s5, v43, 55
	s_andn2_b64 s[4:5], s[4:5], exec
	s_and_b64 vcc, s[92:93], exec
	s_or_b64 s[90:91], s[4:5], vcc
	s_and_b64 s[4:5], s[88:89], exec
                                        ; implicit-def: $vgpr4
                                        ; implicit-def: $vgpr2_vgpr3
.LBB14_4553:
	v_readlane_b32 vcc_lo, v42, 2
	v_readlane_b32 vcc_hi, v42, 3
	s_andn2_saveexec_b64 s[92:93], vcc
	s_cbranch_execz .LBB14_4595
; %bb.4554:
	v_mov_b32_e32 v5, 4
	v_cmp_gt_i16_sdwa vcc, v11, v5 src0_sel:BYTE_0 src1_sel:DWORD
	s_and_saveexec_b64 s[74:75], vcc
	s_xor_b64 vcc, exec, s[74:75]
	s_cbranch_execz .LBB14_4576
; %bb.4555:
	v_mov_b32_e32 v5, 7
	v_cmp_gt_i16_sdwa s[74:75], v11, v5 src0_sel:BYTE_0 src1_sel:DWORD
	s_and_saveexec_b64 s[76:77], s[74:75]
	s_xor_b64 s[84:85], exec, s[76:77]
	s_cbranch_execz .LBB14_4565
; %bb.4556:
	v_mov_b32_e32 v5, 8
	v_cmp_gt_i16_sdwa s[74:75], v11, v5 src0_sel:BYTE_0 src1_sel:DWORD
	s_and_saveexec_b64 s[76:77], s[74:75]
	s_xor_b64 s[82:83], exec, s[76:77]
	;; [unrolled: 6-line block ×3, first 2 shown]
	s_cbranch_execz .LBB14_4559
; %bb.4558:
	v_mov_b32_e32 v16, 0
	v_cvt_f64_f32_e32 v[14:15], v4
	v_mov_b32_e32 v17, v16
	flat_store_dwordx4 v[2:3], v[14:17]
                                        ; implicit-def: $vgpr4
                                        ; implicit-def: $vgpr2_vgpr3
.LBB14_4559:
	s_andn2_saveexec_b64 s[76:77], s[78:79]
	s_cbranch_execz .LBB14_4561
; %bb.4560:
	v_mov_b32_e32 v5, 0
	flat_store_dwordx2 v[2:3], v[4:5]
.LBB14_4561:
	s_or_b64 exec, exec, s[76:77]
                                        ; implicit-def: $vgpr4
                                        ; implicit-def: $vgpr2_vgpr3
.LBB14_4562:
	s_andn2_saveexec_b64 s[76:77], s[82:83]
	s_cbranch_execz .LBB14_4564
; %bb.4563:
	v_cvt_f16_f32_e32 v4, v4
	flat_store_dword v[2:3], v4
.LBB14_4564:
	s_or_b64 exec, exec, s[76:77]
                                        ; implicit-def: $vgpr4
                                        ; implicit-def: $vgpr2_vgpr3
.LBB14_4565:
	s_andn2_saveexec_b64 s[82:83], s[84:85]
	s_cbranch_execz .LBB14_4575
; %bb.4566:
	v_mov_b32_e32 v5, 5
	v_cmp_gt_i16_sdwa s[74:75], v11, v5 src0_sel:BYTE_0 src1_sel:DWORD
	s_and_saveexec_b64 s[76:77], s[74:75]
	s_xor_b64 s[80:81], exec, s[76:77]
	s_cbranch_execz .LBB14_4572
; %bb.4567:
	v_mov_b32_e32 v5, 6
	v_cmp_gt_i16_sdwa s[74:75], v11, v5 src0_sel:BYTE_0 src1_sel:DWORD
	s_and_saveexec_b64 s[76:77], s[74:75]
	s_xor_b64 s[76:77], exec, s[76:77]
	s_cbranch_execz .LBB14_4569
; %bb.4568:
	v_cvt_f64_f32_e32 v[4:5], v4
	flat_store_dwordx2 v[2:3], v[4:5]
                                        ; implicit-def: $vgpr2_vgpr3
                                        ; implicit-def: $vgpr4
.LBB14_4569:
	s_andn2_saveexec_b64 s[76:77], s[76:77]
	s_cbranch_execz .LBB14_4571
; %bb.4570:
	flat_store_dword v[2:3], v4
.LBB14_4571:
	s_or_b64 exec, exec, s[76:77]
                                        ; implicit-def: $vgpr4
                                        ; implicit-def: $vgpr2_vgpr3
.LBB14_4572:
	s_andn2_saveexec_b64 s[76:77], s[80:81]
	s_cbranch_execz .LBB14_4574
; %bb.4573:
	v_cvt_f16_f32_e32 v4, v4
	flat_store_short v[2:3], v4
.LBB14_4574:
	s_or_b64 exec, exec, s[76:77]
.LBB14_4575:
	s_or_b64 exec, exec, s[82:83]
                                        ; implicit-def: $vgpr4
                                        ; implicit-def: $vgpr2_vgpr3
.LBB14_4576:
	s_andn2_saveexec_b64 s[88:89], vcc
	s_cbranch_execz .LBB14_4594
; %bb.4577:
	v_mov_b32_e32 v5, 1
	v_cmp_gt_i16_sdwa vcc, v11, v5 src0_sel:BYTE_0 src1_sel:DWORD
	s_and_saveexec_b64 s[74:75], vcc
	s_xor_b64 s[84:85], exec, s[74:75]
	s_cbranch_execz .LBB14_4587
; %bb.4578:
	v_mov_b32_e32 v5, 2
	v_cmp_gt_i16_sdwa vcc, v11, v5 src0_sel:BYTE_0 src1_sel:DWORD
	s_and_saveexec_b64 s[74:75], vcc
	s_xor_b64 s[82:83], exec, s[74:75]
	;; [unrolled: 6-line block ×3, first 2 shown]
	s_cbranch_execz .LBB14_4581
; %bb.4580:
	v_trunc_f32_e32 v4, v4
	s_mov_b32 s74, 0x2f800000
	v_mul_f32_e64 v5, |v4|, s74
	v_floor_f32_e32 v5, v5
	s_mov_b32 s74, 0xcf800000
	v_cvt_u32_f32_e32 v14, v5
	v_fma_f32 v5, v5, s74, |v4|
	v_cvt_u32_f32_e32 v5, v5
	v_ashrrev_i32_e32 v15, 31, v4
	v_xor_b32_e32 v14, v14, v15
	v_xor_b32_e32 v4, v5, v15
	v_sub_co_u32_e32 v4, vcc, v4, v15
	v_subb_co_u32_e32 v5, vcc, v14, v15, vcc
	flat_store_dwordx2 v[2:3], v[4:5]
                                        ; implicit-def: $vgpr4
                                        ; implicit-def: $vgpr2_vgpr3
.LBB14_4581:
	s_andn2_saveexec_b64 vcc, s[80:81]
	s_cbranch_execz .LBB14_4583
; %bb.4582:
	v_cvt_i32_f32_e32 v4, v4
	flat_store_dword v[2:3], v4
.LBB14_4583:
	s_or_b64 exec, exec, vcc
                                        ; implicit-def: $vgpr4
                                        ; implicit-def: $vgpr2_vgpr3
.LBB14_4584:
	s_andn2_saveexec_b64 vcc, s[82:83]
	s_cbranch_execz .LBB14_4586
; %bb.4585:
	v_cvt_i32_f32_e32 v4, v4
	flat_store_short v[2:3], v4
.LBB14_4586:
	s_or_b64 exec, exec, vcc
                                        ; implicit-def: $vgpr4
                                        ; implicit-def: $vgpr2_vgpr3
.LBB14_4587:
	s_andn2_saveexec_b64 vcc, s[84:85]
	s_cbranch_execz .LBB14_4593
; %bb.4588:
	v_mov_b32_e32 v5, 0
	v_cmp_gt_i16_sdwa s[74:75], v11, v5 src0_sel:BYTE_0 src1_sel:DWORD
	s_and_saveexec_b64 s[76:77], s[74:75]
	s_xor_b64 s[76:77], exec, s[76:77]
	s_cbranch_execz .LBB14_4590
; %bb.4589:
	v_cvt_i32_f32_e32 v4, v4
	flat_store_byte v[2:3], v4
                                        ; implicit-def: $vgpr4
                                        ; implicit-def: $vgpr2_vgpr3
.LBB14_4590:
	s_andn2_saveexec_b64 s[80:81], s[76:77]
	s_cbranch_execz .LBB14_4592
; %bb.4591:
	v_trunc_f32_e32 v4, v4
	s_mov_b32 s74, 0x2f800000
	v_mul_f32_e64 v5, |v4|, s74
	v_floor_f32_e32 v5, v5
	s_mov_b32 s74, 0xcf800000
	v_fma_f32 v5, v5, s74, |v4|
	v_cvt_u32_f32_e32 v5, v5
	v_ashrrev_i32_e32 v4, 31, v4
	v_xor_b32_e32 v5, v5, v4
	v_sub_u32_e32 v4, v5, v4
	flat_store_byte v[2:3], v4
.LBB14_4592:
	s_or_b64 exec, exec, s[80:81]
.LBB14_4593:
	s_or_b64 exec, exec, vcc
.LBB14_4594:
	s_or_b64 exec, exec, s[88:89]
	s_or_b64 s[4:5], s[4:5], exec
.LBB14_4595:
	s_or_b64 exec, exec, s[92:93]
	s_mov_b64 vcc, 0
	s_and_saveexec_b64 s[76:77], s[4:5]
; %bb.4596:
	s_mov_b64 vcc, exec
	v_add_u32_e32 v13, 0x200, v13
; %bb.4597:
	s_or_b64 exec, exec, s[76:77]
	v_readlane_b32 s4, v43, 54
	v_readlane_b32 s5, v43, 55
	s_andn2_b64 s[4:5], s[4:5], exec
	s_and_b64 s[74:75], s[90:91], exec
	s_or_b64 s[4:5], s[4:5], s[74:75]
	v_writelane_b32 v43, s4, 62
	v_writelane_b32 v43, s5, 63
	s_orn2_b64 s[82:83], vcc, exec
.LBB14_4598:
	s_or_b64 exec, exec, s[96:97]
	s_mov_b64 s[4:5], 0
	s_mov_b64 vcc, 0
	s_mov_b64 s[80:81], 0
                                        ; implicit-def: $vgpr2
                                        ; implicit-def: $vgpr102
                                        ; implicit-def: $vgpr4_vgpr5
	s_mov_b64 s[74:75], exec
	v_writelane_b32 v42, s74, 0
	v_writelane_b32 v42, s75, 1
	s_and_b64 s[74:75], s[74:75], s[82:83]
	s_mov_b64 exec, s[74:75]
	s_cbranch_execz .LBB14_4690
; %bb.4599:
	v_readlane_b32 s96, v43, 62
	s_mov_b64 s[82:83], -1
	v_readlane_b32 s97, v43, 63
	v_cmp_lt_i32_e32 vcc, v13, v6
	s_mov_b64 s[4:5], exec
	v_writelane_b32 v42, s4, 6
	v_writelane_b32 v42, s5, 7
	s_and_b64 s[4:5], s[4:5], vcc
	s_mov_b64 exec, s[4:5]
	s_cbranch_execz .LBB14_4605
; %bb.4600:
	v_readlane_b32 s4, v44, 1
	v_add_u32_e32 v2, s4, v13
	v_mul_lo_u32 v2, v2, v12
	v_add_co_u32_e32 v2, vcc, v0, v2
	v_addc_co_u32_e32 v3, vcc, 0, v1, vcc
	s_waitcnt vmcnt(0)
	v_mul_f32_e32 v4, v10, v9
	v_cmp_lt_f32_e32 vcc, 0, v9
	v_mov_b32_e32 v5, 10
	v_readlane_b32 s90, v43, 62
	v_cndmask_b32_e32 v4, v4, v9, vcc
	v_cmp_gt_i16_sdwa vcc, v11, v5 src0_sel:BYTE_0 src1_sel:DWORD
	s_mov_b64 s[4:5], 0
	v_readlane_b32 s91, v43, 63
	s_and_saveexec_b64 s[74:75], vcc
	s_xor_b64 s[96:97], exec, s[74:75]
	s_cbranch_execnz .LBB14_7795
; %bb.4601:
	s_andn2_saveexec_b64 s[92:93], s[96:97]
	s_cbranch_execnz .LBB14_7876
.LBB14_4602:
	s_or_b64 exec, exec, s[92:93]
	s_mov_b64 vcc, 0
	s_and_saveexec_b64 s[76:77], s[4:5]
.LBB14_4603:
	s_mov_b64 vcc, exec
	v_add_u32_e32 v13, 0x200, v13
.LBB14_4604:
	s_or_b64 exec, exec, s[76:77]
	v_readlane_b32 s4, v43, 62
	v_readlane_b32 s5, v43, 63
	s_andn2_b64 s[4:5], s[4:5], exec
	s_and_b64 s[74:75], s[90:91], exec
	s_or_b64 s[96:97], s[4:5], s[74:75]
	s_orn2_b64 s[82:83], vcc, exec
.LBB14_4605:
	v_readlane_b32 s4, v42, 6
	v_readlane_b32 s5, v42, 7
	s_or_b64 exec, exec, s[4:5]
	s_mov_b64 s[4:5], 0
	s_mov_b64 vcc, 0
	s_mov_b64 s[80:81], 0
                                        ; implicit-def: $vgpr2
                                        ; implicit-def: $vgpr102
                                        ; implicit-def: $vgpr4_vgpr5
	s_mov_b64 s[74:75], exec
	s_mov_b64 s[90:91], s[74:75]
	s_and_b64 s[74:75], s[74:75], s[82:83]
	s_mov_b64 exec, s[74:75]
	s_cbranch_execz .LBB14_4689
; %bb.4606:
	s_mov_b64 s[80:81], -1
	s_mov_b64 s[82:83], s[96:97]
	s_mov_b64 s[84:85], 0
	v_cmp_lt_i32_e32 vcc, v13, v6
                                        ; implicit-def: $vgpr2
                                        ; implicit-def: $vgpr102
                                        ; implicit-def: $vgpr4_vgpr5
	s_mov_b64 s[74:75], exec
	v_writelane_b32 v42, s74, 10
	s_and_b64 vcc, s[74:75], vcc
	v_writelane_b32 v42, s75, 11
	s_mov_b64 exec, vcc
	s_cbranch_execz .LBB14_4688
; %bb.4607:
	v_readlane_b32 s4, v44, 1
	v_add_u32_e32 v2, s4, v13
	v_mul_lo_u32 v2, v2, v12
	v_add_co_u32_e32 v4, vcc, v0, v2
	v_addc_co_u32_e32 v5, vcc, 0, v1, vcc
	s_waitcnt vmcnt(0)
	v_mul_f32_e32 v0, v8, v7
	v_cmp_lt_f32_e32 vcc, 0, v7
	v_and_b32_e32 v102, 0xff, v11
	v_cndmask_b32_e32 v2, v0, v7, vcc
	s_mov_b64 s[84:85], -1
	s_mov_b64 s[82:83], 0
	s_mov_b64 s[86:87], s[96:97]
	;; [unrolled: 1-line block ×3, first 2 shown]
	v_cmp_lt_i16_e32 vcc, 10, v102
	s_mov_b64 s[4:5], exec
	v_writelane_b32 v42, s4, 12
	v_writelane_b32 v42, s5, 13
	s_and_b64 s[4:5], s[4:5], vcc
	s_mov_b64 exec, s[4:5]
	s_cbranch_execz .LBB14_4687
; %bb.4608:
	s_mov_b64 s[4:5], 0
	v_writelane_b32 v42, s4, 14
	v_writelane_b32 v42, s5, 15
	s_mov_b64 s[74:75], 0
	v_cmp_lt_i16_e32 vcc, 25, v102
	s_mov_b64 s[4:5], s[96:97]
	v_writelane_b32 v42, s74, 16
	v_writelane_b32 v42, s75, 17
	s_and_saveexec_b64 s[74:75], vcc
	s_xor_b64 s[92:93], exec, s[74:75]
	s_cbranch_execz .LBB14_4644
; %bb.4609:
	v_cmp_lt_i16_e32 vcc, 28, v102
	s_mov_b64 s[4:5], 0
	s_mov_b64 s[88:89], s[96:97]
	s_and_saveexec_b64 s[74:75], vcc
	s_xor_b64 s[76:77], exec, s[74:75]
	s_cbranch_execz .LBB14_4627
; %bb.4610:
	v_cmp_lt_i16_e32 vcc, 43, v102
	s_mov_b64 s[84:85], s[96:97]
	s_and_saveexec_b64 s[74:75], vcc
	s_xor_b64 s[74:75], exec, s[74:75]
	v_writelane_b32 v42, s74, 20
	v_writelane_b32 v42, s75, 21
	s_cbranch_execz .LBB14_4622
; %bb.4611:
	v_cmp_lt_i16_e32 vcc, 45, v102
	s_mov_b64 s[84:85], 0
	s_mov_b64 s[86:87], s[96:97]
	s_and_saveexec_b64 s[4:5], vcc
	s_xor_b64 s[4:5], exec, s[4:5]
	s_cbranch_execz .LBB14_4615
; %bb.4612:
	v_cmp_eq_u16_e32 vcc, 46, v102
	s_mov_b64 s[86:87], -1
	s_and_saveexec_b64 s[82:83], vcc
	s_cbranch_execz .LBB14_4614
; %bb.4613:
	v_bfe_u32 v0, v2, 16, 1
	s_movk_i32 vcc_lo, 0x7fff
	v_add3_u32 v0, v2, v0, vcc_lo
	v_lshrrev_b32_e32 v0, 16, v0
	v_mov_b32_e32 v1, 0x7fc0
	v_cmp_o_f32_e32 vcc, v2, v2
	v_cndmask_b32_e32 v0, v1, v0, vcc
	s_mov_b64 s[80:81], exec
	flat_store_dword v[4:5], v0
	s_xor_b64 s[86:87], exec, -1
.LBB14_4614:
	s_or_b64 exec, exec, s[82:83]
	s_andn2_b64 vcc, s[96:97], exec
	s_and_b64 s[74:75], s[86:87], exec
	s_and_b64 s[84:85], s[80:81], exec
	s_or_b64 s[86:87], vcc, s[74:75]
.LBB14_4615:
	s_andn2_saveexec_b64 s[88:89], s[4:5]
	s_cbranch_execz .LBB14_4621
; %bb.4616:
	v_cmp_eq_u16_e32 vcc, 44, v102
	s_mov_b64 s[4:5], -1
	s_mov_b64 s[78:79], s[84:85]
	s_and_saveexec_b64 s[80:81], vcc
	s_cbranch_execz .LBB14_4620
; %bb.4617:
	v_bfe_u32 v0, v2, 23, 8
	s_movk_i32 s4, 0xff
	v_cmp_ne_u32_e32 vcc, s4, v0
	v_mov_b32_e32 v1, 0xff
	s_and_saveexec_b64 s[82:83], vcc
; %bb.4618:
	s_mov_b32 s4, 0x3fffff
	v_and_b32_e32 v3, 0x400000, v2
	v_and_or_b32 v0, v2, s4, v0
	v_cmp_ne_u32_e32 vcc, 0, v3
	v_cmp_ne_u32_e64 s[4:5], 0, v0
	s_and_b64 s[4:5], vcc, s[4:5]
	v_lshrrev_b32_e32 v1, 23, v2
	v_cndmask_b32_e64 v0, 0, 1, s[4:5]
	v_add_u32_e32 v1, v1, v0
; %bb.4619:
	s_or_b64 exec, exec, s[82:83]
	s_or_b64 s[78:79], s[84:85], exec
	s_xor_b64 s[4:5], exec, -1
	flat_store_byte v[4:5], v1
.LBB14_4620:
	s_or_b64 exec, exec, s[80:81]
	s_andn2_b64 vcc, s[84:85], exec
	s_and_b64 s[74:75], s[78:79], exec
	s_or_b64 s[84:85], vcc, s[74:75]
	s_andn2_b64 vcc, s[86:87], exec
	s_and_b64 s[4:5], s[4:5], exec
	s_or_b64 s[86:87], vcc, s[4:5]
.LBB14_4621:
	s_or_b64 exec, exec, s[88:89]
	s_andn2_b64 vcc, s[96:97], exec
	s_and_b64 s[74:75], s[86:87], exec
	s_and_b64 s[4:5], s[84:85], exec
	s_or_b64 s[84:85], vcc, s[74:75]
.LBB14_4622:
	v_readlane_b32 vcc_lo, v42, 20
	v_readlane_b32 vcc_hi, v42, 21
	s_andn2_saveexec_b64 s[82:83], vcc
	s_cbranch_execz .LBB14_4626
; %bb.4623:
	v_cmp_eq_u16_e32 vcc, 29, v102
	s_mov_b64 s[86:87], -1
	s_mov_b64 s[78:79], s[4:5]
	s_and_saveexec_b64 s[80:81], vcc
	s_cbranch_execz .LBB14_4625
; %bb.4624:
	v_trunc_f32_e32 v0, v2
	v_mul_f32_e32 v1, 0x2f800000, v0
	v_floor_f32_e32 v3, v1
	v_fmac_f32_e32 v0, 0xcf800000, v3
	v_cvt_u32_f32_e32 v1, v3
	v_cvt_u32_f32_e32 v0, v0
	s_or_b64 s[78:79], s[4:5], exec
	s_xor_b64 s[86:87], exec, -1
	flat_store_dwordx2 v[4:5], v[0:1]
.LBB14_4625:
	s_or_b64 exec, exec, s[80:81]
	s_andn2_b64 s[4:5], s[4:5], exec
	s_and_b64 vcc, s[78:79], exec
	s_or_b64 s[4:5], s[4:5], vcc
	s_andn2_b64 vcc, s[84:85], exec
	s_and_b64 s[74:75], s[86:87], exec
	s_or_b64 s[84:85], vcc, s[74:75]
.LBB14_4626:
	s_or_b64 exec, exec, s[82:83]
	s_andn2_b64 vcc, s[96:97], exec
	s_and_b64 s[74:75], s[84:85], exec
	s_and_b64 s[4:5], s[4:5], exec
	s_or_b64 s[88:89], vcc, s[74:75]
.LBB14_4627:
	s_andn2_saveexec_b64 s[78:79], s[76:77]
	s_cbranch_execz .LBB14_4643
; %bb.4628:
	v_cmp_lt_i16_e32 vcc, 26, v102
	s_and_saveexec_b64 s[74:75], vcc
	s_xor_b64 s[80:81], exec, s[74:75]
	s_cbranch_execz .LBB14_4634
; %bb.4629:
	v_cvt_u32_f32_e32 v0, v2
	v_cmp_lt_i16_e32 vcc, 27, v102
	s_and_saveexec_b64 s[74:75], vcc
	s_xor_b64 vcc, exec, s[74:75]
	s_cbranch_execz .LBB14_4631
; %bb.4630:
	flat_store_dword v[4:5], v0
                                        ; implicit-def: $vgpr0
.LBB14_4631:
	s_andn2_saveexec_b64 vcc, vcc
	s_cbranch_execz .LBB14_4633
; %bb.4632:
	flat_store_short v[4:5], v0
.LBB14_4633:
	s_or_b64 exec, exec, vcc
.LBB14_4634:
	s_andn2_saveexec_b64 s[84:85], s[80:81]
	s_cbranch_execz .LBB14_4642
; %bb.4635:
	v_and_b32_e32 v0, 0x7fffffff, v2
	s_mov_b32 vcc_lo, 0x43800000
	v_cmp_gt_u32_e32 vcc, vcc_lo, v0
	v_mov_b32_e32 v1, 0x80
	s_and_saveexec_b64 s[86:87], vcc
	s_cbranch_execz .LBB14_4641
; %bb.4636:
	s_mov_b32 vcc_lo, 0x3bffffff
	v_cmp_lt_u32_e32 vcc, vcc_lo, v0
	s_mov_b64 s[82:83], 0
                                        ; implicit-def: $vgpr0
	s_and_saveexec_b64 s[74:75], vcc
	s_xor_b64 vcc, exec, s[74:75]
	s_cbranch_execnz .LBB14_7939
; %bb.4637:
	s_or_saveexec_b64 s[80:81], vcc
                                        ; implicit-def: $sgpr76
	s_xor_b64 exec, exec, s[80:81]
	s_cbranch_execnz .LBB14_7940
.LBB14_4638:
	s_or_b64 exec, exec, s[80:81]
	v_mov_b32_e32 v1, s76
	s_and_saveexec_b64 vcc, s[82:83]
.LBB14_4639:
	v_lshrrev_b32_e32 v1, 24, v2
	s_movk_i32 s74, 0x80
	v_and_or_b32 v1, v1, s74, v0
.LBB14_4640:
	s_or_b64 exec, exec, vcc
.LBB14_4641:
	s_or_b64 exec, exec, s[86:87]
	flat_store_byte v[4:5], v1
.LBB14_4642:
	s_or_b64 exec, exec, s[84:85]
	s_or_b64 s[4:5], s[4:5], exec
.LBB14_4643:
	s_or_b64 exec, exec, s[78:79]
	s_and_b64 s[4:5], s[4:5], exec
	v_writelane_b32 v42, s4, 16
	v_writelane_b32 v42, s5, 17
	s_andn2_b64 s[4:5], s[96:97], exec
	s_and_b64 vcc, s[88:89], exec
	s_or_b64 s[4:5], s[4:5], vcc
.LBB14_4644:
	s_or_saveexec_b64 vcc, s[92:93]
	v_writelane_b32 v42, vcc_lo, 18
	v_writelane_b32 v42, vcc_hi, 19
	s_xor_b64 exec, exec, vcc
	s_cbranch_execz .LBB14_4686
; %bb.4645:
	v_readlane_b32 s86, v42, 16
	v_cmp_lt_i16_e32 vcc, 22, v102
	v_readlane_b32 s87, v42, 17
	s_and_saveexec_b64 s[74:75], vcc
	s_xor_b64 s[88:89], exec, s[74:75]
	s_cbranch_execz .LBB14_4677
; %bb.4646:
	v_cmp_lt_i16_e32 vcc, 23, v102
	s_and_saveexec_b64 s[74:75], vcc
	s_xor_b64 s[92:93], exec, s[74:75]
	s_cbranch_execz .LBB14_4666
; %bb.4647:
	v_cmp_lt_i16_e32 vcc, 24, v102
	s_and_saveexec_b64 s[74:75], vcc
	s_xor_b64 s[84:85], exec, s[74:75]
	s_cbranch_execz .LBB14_4655
; %bb.4648:
	v_and_b32_e32 v0, 0x7fffffff, v2
	s_mov_b32 vcc_lo, 0x47800000
	v_cmp_gt_u32_e32 vcc, vcc_lo, v0
	v_mov_b32_e32 v1, 0x80
	s_and_saveexec_b64 s[86:87], vcc
	s_cbranch_execz .LBB14_4654
; %bb.4649:
	s_mov_b32 vcc_lo, 0x37ffffff
	v_cmp_lt_u32_e32 vcc, vcc_lo, v0
	s_mov_b64 s[82:83], 0
                                        ; implicit-def: $vgpr0
	s_and_saveexec_b64 s[74:75], vcc
	s_xor_b64 vcc, exec, s[74:75]
	s_cbranch_execnz .LBB14_7943
; %bb.4650:
	s_or_saveexec_b64 s[80:81], vcc
                                        ; implicit-def: $sgpr76
	s_xor_b64 exec, exec, s[80:81]
	s_cbranch_execnz .LBB14_7944
.LBB14_4651:
	s_or_b64 exec, exec, s[80:81]
	v_mov_b32_e32 v1, s76
	s_and_saveexec_b64 vcc, s[82:83]
.LBB14_4652:
	v_lshrrev_b32_e32 v1, 24, v2
	s_movk_i32 s74, 0x80
	v_and_or_b32 v1, v1, s74, v0
.LBB14_4653:
	s_or_b64 exec, exec, vcc
.LBB14_4654:
	s_or_b64 exec, exec, s[86:87]
	flat_store_byte v[4:5], v1
.LBB14_4655:
	s_andn2_saveexec_b64 s[84:85], s[84:85]
	s_cbranch_execz .LBB14_4665
; %bb.4656:
	v_and_b32_e32 v1, 0x7fffffff, v2
	s_mov_b32 vcc_lo, 0x43f00000
	v_cmp_gt_u32_e32 vcc, vcc_lo, v1
                                        ; implicit-def: $vgpr0
	s_and_saveexec_b64 s[74:75], vcc
	s_xor_b64 s[80:81], exec, s[74:75]
	s_cbranch_execz .LBB14_4662
; %bb.4657:
	s_mov_b32 vcc_lo, 0x3c7fffff
	v_cmp_lt_u32_e32 vcc, vcc_lo, v1
                                        ; implicit-def: $vgpr0
	s_and_saveexec_b64 s[74:75], vcc
	s_xor_b64 s[78:79], exec, s[74:75]
; %bb.4658:
	v_bfe_u32 v0, v2, 20, 1
	s_mov_b32 vcc_lo, 0x407ffff
	v_add3_u32 v0, v2, v0, vcc_lo
	v_lshrrev_b32_e32 v1, 20, v0
	v_and_b32_e32 v0, 0xff00000, v0
	s_mov_b32 vcc_lo, 0x7f00000
	v_mov_b32_e32 v3, 0x7e
	v_cmp_ne_u32_e32 vcc, vcc_lo, v0
	v_cndmask_b32_e32 v0, v3, v1, vcc
; %bb.4659:
	s_andn2_saveexec_b64 vcc, s[78:79]
; %bb.4660:
	s_mov_b32 s74, 0x46800000
	v_add_f32_e64 v0, |v2|, s74
; %bb.4661:
	s_or_b64 exec, exec, vcc
                                        ; implicit-def: $vgpr1
.LBB14_4662:
	s_andn2_saveexec_b64 s[80:81], s[80:81]
; %bb.4663:
	s_mov_b32 vcc_lo, 0x7f800000
	v_mov_b32_e32 v0, 0x7e
	v_mov_b32_e32 v3, 0x7f
	v_cmp_lt_u32_e32 vcc, vcc_lo, v1
	v_cndmask_b32_e32 v0, v0, v3, vcc
; %bb.4664:
	s_or_b64 exec, exec, s[80:81]
	v_lshrrev_b32_e32 v1, 24, v2
	s_movk_i32 vcc_lo, 0x80
	v_and_or_b32 v0, v1, vcc_lo, v0
	flat_store_byte v[4:5], v0
.LBB14_4665:
	s_or_b64 exec, exec, s[84:85]
.LBB14_4666:
	s_andn2_saveexec_b64 s[84:85], s[92:93]
	s_cbranch_execz .LBB14_4676
; %bb.4667:
	v_and_b32_e32 v1, 0x7fffffff, v2
	s_mov_b32 vcc_lo, 0x47800000
	v_cmp_gt_u32_e32 vcc, vcc_lo, v1
                                        ; implicit-def: $vgpr0
	s_and_saveexec_b64 s[74:75], vcc
	s_xor_b64 s[80:81], exec, s[74:75]
	s_cbranch_execz .LBB14_4673
; %bb.4668:
	s_mov_b32 vcc_lo, 0x387fffff
	v_cmp_lt_u32_e32 vcc, vcc_lo, v1
                                        ; implicit-def: $vgpr0
	s_and_saveexec_b64 s[74:75], vcc
	s_xor_b64 vcc, exec, s[74:75]
; %bb.4669:
	v_bfe_u32 v0, v2, 21, 1
	s_mov_b32 s74, 0x80fffff
	v_add3_u32 v0, v2, v0, s74
	v_lshrrev_b32_e32 v0, 21, v0
; %bb.4670:
	s_andn2_saveexec_b64 vcc, vcc
; %bb.4671:
	s_mov_b32 s74, 0x43000000
	v_add_f32_e64 v0, |v2|, s74
; %bb.4672:
	s_or_b64 exec, exec, vcc
                                        ; implicit-def: $vgpr1
.LBB14_4673:
	s_andn2_saveexec_b64 s[80:81], s[80:81]
; %bb.4674:
	s_mov_b32 vcc_lo, 0x7f800000
	v_mov_b32_e32 v0, 0x7c
	v_mov_b32_e32 v3, 0x7f
	v_cmp_lt_u32_e32 vcc, vcc_lo, v1
	v_cndmask_b32_e32 v0, v0, v3, vcc
; %bb.4675:
	s_or_b64 exec, exec, s[80:81]
	v_lshrrev_b32_e32 v1, 24, v2
	s_movk_i32 vcc_lo, 0x80
	v_and_or_b32 v0, v1, vcc_lo, v0
	flat_store_byte v[4:5], v0
.LBB14_4676:
	s_or_b64 exec, exec, s[84:85]
	v_readlane_b32 vcc_lo, v42, 16
	v_readlane_b32 vcc_hi, v42, 17
	s_or_b64 s[86:87], vcc, exec
.LBB14_4677:
	s_or_saveexec_b64 s[88:89], s[88:89]
	s_mov_b64 vcc, 0
	s_mov_b64 s[80:81], s[4:5]
	s_xor_b64 exec, exec, s[88:89]
	s_cbranch_execz .LBB14_4685
; %bb.4678:
	v_cmp_lt_i16_e32 vcc, 14, v102
	s_mov_b64 s[82:83], s[4:5]
	s_mov_b64 s[84:85], s[86:87]
	s_and_saveexec_b64 s[74:75], vcc
	s_xor_b64 s[80:81], exec, s[74:75]
	s_cbranch_execz .LBB14_4682
; %bb.4679:
	v_cmp_eq_u16_e32 vcc, 15, v102
	s_mov_b64 s[92:93], -1
	s_mov_b64 s[78:79], s[86:87]
	s_and_saveexec_b64 s[82:83], vcc
	s_cbranch_execz .LBB14_4681
; %bb.4680:
	v_bfe_u32 v0, v2, 16, 1
	s_movk_i32 vcc_lo, 0x7fff
	v_add3_u32 v0, v2, v0, vcc_lo
	v_lshrrev_b32_e32 v0, 16, v0
	v_mov_b32_e32 v1, 0x7fc0
	v_cmp_o_f32_e32 vcc, v2, v2
	v_cndmask_b32_e32 v0, v1, v0, vcc
	flat_store_short v[4:5], v0
	s_or_b64 s[78:79], s[86:87], exec
	s_xor_b64 s[92:93], exec, -1
.LBB14_4681:
	s_or_b64 exec, exec, s[82:83]
	s_andn2_b64 vcc, s[86:87], exec
	s_and_b64 s[74:75], s[78:79], exec
	s_or_b64 s[84:85], vcc, s[74:75]
	s_andn2_b64 vcc, s[4:5], exec
	s_and_b64 s[74:75], s[92:93], exec
	s_or_b64 s[82:83], vcc, s[74:75]
.LBB14_4682:
	s_or_saveexec_b64 s[80:81], s[80:81]
	s_mov_b64 s[92:93], 0
	s_xor_b64 exec, exec, s[80:81]
; %bb.4683:
	v_cmp_ne_u16_e32 vcc, 11, v102
	s_andn2_b64 s[74:75], s[82:83], exec
	s_and_b64 vcc, vcc, exec
	s_mov_b64 s[92:93], exec
	s_or_b64 s[82:83], s[74:75], vcc
; %bb.4684:
	s_or_b64 exec, exec, s[80:81]
	s_andn2_b64 vcc, s[86:87], exec
	s_and_b64 s[76:77], s[84:85], exec
	s_or_b64 s[86:87], vcc, s[76:77]
	s_andn2_b64 s[76:77], s[4:5], exec
	s_and_b64 s[78:79], s[82:83], exec
	s_and_b64 vcc, s[92:93], exec
	s_or_b64 s[80:81], s[76:77], s[78:79]
.LBB14_4685:
	s_or_b64 exec, exec, s[88:89]
	v_readlane_b32 s74, v42, 16
	v_readlane_b32 s75, v42, 17
	s_andn2_b64 s[74:75], s[74:75], exec
	s_and_b64 s[76:77], s[86:87], exec
	s_or_b64 s[74:75], s[74:75], s[76:77]
	v_writelane_b32 v42, s74, 16
	v_writelane_b32 v42, s75, 17
	s_and_b64 vcc, vcc, exec
	v_writelane_b32 v42, vcc_lo, 14
	v_writelane_b32 v42, vcc_hi, 15
	s_andn2_b64 s[4:5], s[4:5], exec
	s_and_b64 vcc, s[80:81], exec
	s_or_b64 s[4:5], s[4:5], vcc
.LBB14_4686:
	v_readlane_b32 vcc_lo, v42, 18
	v_readlane_b32 vcc_hi, v42, 19
	s_or_b64 exec, exec, vcc
	v_readlane_b32 vcc_lo, v42, 16
	v_readlane_b32 vcc_hi, v42, 17
	s_and_b64 s[80:81], vcc, exec
	v_readlane_b32 vcc_lo, v42, 14
	v_readlane_b32 vcc_hi, v42, 15
	s_and_b64 s[82:83], vcc, exec
	s_andn2_b64 vcc, s[96:97], exec
	s_and_b64 s[4:5], s[4:5], exec
	s_xor_b64 s[84:85], exec, -1
	s_or_b64 s[86:87], vcc, s[4:5]
.LBB14_4687:
	v_readlane_b32 s4, v42, 12
	v_readlane_b32 s5, v42, 13
	s_or_b64 exec, exec, s[4:5]
	s_andn2_b64 vcc, s[96:97], exec
	s_and_b64 s[74:75], s[86:87], exec
	s_orn2_b64 s[80:81], s[80:81], exec
	s_and_b64 s[84:85], s[84:85], exec
	s_and_b64 s[4:5], s[82:83], exec
	s_or_b64 s[82:83], vcc, s[74:75]
.LBB14_4688:
	v_readlane_b32 vcc_lo, v42, 10
	v_readlane_b32 vcc_hi, v42, 11
	s_or_b64 exec, exec, vcc
	s_andn2_b64 s[74:75], s[96:97], exec
	s_and_b64 s[76:77], s[82:83], exec
	s_and_b64 s[80:81], s[80:81], exec
	s_and_b64 vcc, s[84:85], exec
	s_and_b64 s[4:5], s[4:5], exec
	s_or_b64 s[96:97], s[74:75], s[76:77]
.LBB14_4689:
	s_or_b64 exec, exec, s[90:91]
	v_readlane_b32 s74, v43, 62
	v_readlane_b32 s75, v43, 63
	s_andn2_b64 s[74:75], s[74:75], exec
	s_and_b64 s[76:77], s[96:97], exec
	s_or_b64 s[74:75], s[74:75], s[76:77]
	s_and_b64 s[80:81], s[80:81], exec
	s_and_b64 vcc, vcc, exec
	s_and_b64 s[4:5], s[4:5], exec
	v_writelane_b32 v43, s74, 62
	v_writelane_b32 v43, s75, 63
.LBB14_4690:
	v_readlane_b32 s74, v42, 0
	v_readlane_b32 s75, v42, 1
	s_or_b64 exec, exec, s[74:75]
	v_readlane_b32 s74, v43, 54
	v_readlane_b32 s76, v43, 62
	;; [unrolled: 1-line block ×4, first 2 shown]
	s_andn2_b64 s[74:75], s[74:75], exec
	s_and_b64 s[76:77], s[76:77], exec
	s_or_b64 s[74:75], s[74:75], s[76:77]
	s_and_b64 s[80:81], s[80:81], exec
	s_and_b64 vcc, vcc, exec
	s_and_b64 s[4:5], s[4:5], exec
	v_writelane_b32 v43, s74, 54
	v_writelane_b32 v43, s75, 55
.LBB14_4691:
	v_readlane_b32 s74, v43, 56
	v_readlane_b32 s75, v43, 57
	s_or_b64 exec, exec, s[74:75]
	v_readlane_b32 s74, v43, 46
	v_readlane_b32 s76, v43, 54
	;; [unrolled: 1-line block ×4, first 2 shown]
	s_andn2_b64 s[74:75], s[74:75], exec
	s_and_b64 s[76:77], s[76:77], exec
	s_or_b64 s[74:75], s[74:75], s[76:77]
	s_and_b64 s[80:81], s[80:81], exec
	s_and_b64 vcc, vcc, exec
	s_and_b64 s[4:5], s[4:5], exec
	v_writelane_b32 v43, s74, 46
	v_writelane_b32 v43, s75, 47
.LBB14_4692:
	v_readlane_b32 s74, v43, 48
	v_readlane_b32 s75, v43, 49
	s_or_b64 exec, exec, s[74:75]
	v_readlane_b32 s74, v43, 38
	v_readlane_b32 s76, v43, 46
	;; [unrolled: 1-line block ×4, first 2 shown]
	s_andn2_b64 s[74:75], s[74:75], exec
	s_and_b64 s[76:77], s[76:77], exec
	s_or_b64 s[74:75], s[74:75], s[76:77]
	s_and_b64 s[80:81], s[80:81], exec
	s_and_b64 vcc, vcc, exec
	s_and_b64 s[4:5], s[4:5], exec
	v_writelane_b32 v43, s74, 38
	v_writelane_b32 v43, s75, 39
.LBB14_4693:
	v_readlane_b32 s74, v43, 40
	v_readlane_b32 s75, v43, 41
	s_or_b64 exec, exec, s[74:75]
	v_readlane_b32 s74, v43, 30
	v_readlane_b32 s76, v43, 38
	;; [unrolled: 1-line block ×4, first 2 shown]
	s_andn2_b64 s[74:75], s[74:75], exec
	s_and_b64 s[76:77], s[76:77], exec
	s_or_b64 s[74:75], s[74:75], s[76:77]
	s_and_b64 s[80:81], s[80:81], exec
	s_and_b64 vcc, vcc, exec
	s_and_b64 s[4:5], s[4:5], exec
	v_writelane_b32 v43, s74, 30
	v_writelane_b32 v43, s75, 31
.LBB14_4694:
	v_readlane_b32 s74, v43, 32
	v_readlane_b32 s75, v43, 33
	s_or_b64 exec, exec, s[74:75]
	v_readlane_b32 s76, v43, 30
	v_readlane_b32 s77, v43, 31
	s_andn2_b64 s[74:75], s[94:95], exec
	s_and_b64 s[76:77], s[76:77], exec
	s_and_b64 s[80:81], s[80:81], exec
	s_and_b64 vcc, vcc, exec
	s_and_b64 s[4:5], s[4:5], exec
	s_or_b64 s[94:95], s[74:75], s[76:77]
.LBB14_4695:
	v_readlane_b32 s74, v43, 26
	v_readlane_b32 s75, v43, 27
	s_or_b64 exec, exec, s[74:75]
	v_readlane_b32 s74, v43, 22
	v_readlane_b32 s75, v43, 23
	s_andn2_b64 s[74:75], s[74:75], exec
	s_and_b64 s[76:77], s[94:95], exec
	s_or_b64 s[74:75], s[74:75], s[76:77]
	s_and_b64 s[80:81], s[80:81], exec
	s_and_b64 vcc, vcc, exec
	s_and_b64 s[4:5], s[4:5], exec
	v_writelane_b32 v43, s74, 22
	v_writelane_b32 v43, s75, 23
.LBB14_4696:
	v_readlane_b32 s74, v43, 24
	v_readlane_b32 s75, v43, 25
	s_or_b64 exec, exec, s[74:75]
	v_readlane_b32 s74, v43, 18
	v_readlane_b32 s76, v43, 22
	;; [unrolled: 1-line block ×4, first 2 shown]
	s_andn2_b64 s[74:75], s[74:75], exec
	s_and_b64 s[76:77], s[76:77], exec
	s_or_b64 s[74:75], s[74:75], s[76:77]
	s_and_b64 s[80:81], s[80:81], exec
	s_and_b64 vcc, vcc, exec
	s_and_b64 s[4:5], s[4:5], exec
	v_writelane_b32 v43, s74, 18
	v_writelane_b32 v43, s75, 19
.LBB14_4697:
	v_readlane_b32 s74, v43, 20
	v_readlane_b32 s75, v43, 21
	s_or_b64 exec, exec, s[74:75]
	v_readlane_b32 s74, v43, 14
	v_readlane_b32 s76, v43, 18
	;; [unrolled: 1-line block ×4, first 2 shown]
	s_andn2_b64 s[74:75], s[74:75], exec
	s_and_b64 s[76:77], s[76:77], exec
	s_or_b64 s[74:75], s[74:75], s[76:77]
	s_and_b64 s[80:81], s[80:81], exec
	s_and_b64 vcc, vcc, exec
	s_and_b64 s[4:5], s[4:5], exec
	v_writelane_b32 v43, s74, 14
	v_writelane_b32 v43, s75, 15
.LBB14_4698:
	v_readlane_b32 s74, v43, 16
	v_readlane_b32 s75, v43, 17
	s_or_b64 exec, exec, s[74:75]
	v_readlane_b32 s74, v43, 10
	v_readlane_b32 s76, v43, 14
	;; [unrolled: 1-line block ×4, first 2 shown]
	s_andn2_b64 s[74:75], s[74:75], exec
	s_and_b64 s[76:77], s[76:77], exec
	s_or_b64 s[74:75], s[74:75], s[76:77]
	s_and_b64 s[80:81], s[80:81], exec
	s_and_b64 vcc, vcc, exec
	s_and_b64 s[4:5], s[4:5], exec
	v_writelane_b32 v43, s74, 10
	v_writelane_b32 v43, s75, 11
.LBB14_4699:
	v_readlane_b32 s74, v43, 12
	v_readlane_b32 s75, v43, 13
	s_or_b64 exec, exec, s[74:75]
	v_readlane_b32 s74, v43, 10
	v_readlane_b32 s75, v43, 11
	s_andn2_b64 s[70:71], s[70:71], exec
	s_and_b64 s[74:75], s[74:75], exec
	s_and_b64 s[76:77], s[80:81], exec
	s_and_b64 vcc, vcc, exec
	s_and_b64 s[4:5], s[4:5], exec
	s_or_b64 s[70:71], s[70:71], s[74:75]
.LBB14_4700:
	s_or_b64 exec, exec, s[72:73]
	s_andn2_b64 s[66:67], s[66:67], exec
	s_and_b64 s[70:71], s[70:71], exec
	s_and_b64 s[72:73], s[76:77], exec
	s_and_b64 vcc, vcc, exec
	s_and_b64 s[4:5], s[4:5], exec
	s_or_b64 s[66:67], s[66:67], s[70:71]
.LBB14_4701:
	s_or_b64 exec, exec, s[68:69]
	s_andn2_b64 s[62:63], s[62:63], exec
	s_and_b64 s[66:67], s[66:67], exec
	s_and_b64 s[68:69], s[72:73], exec
	s_and_b64 vcc, vcc, exec
	s_and_b64 s[4:5], s[4:5], exec
	s_or_b64 s[62:63], s[62:63], s[66:67]
.LBB14_4702:
	s_or_b64 exec, exec, s[64:65]
	s_andn2_b64 s[58:59], s[58:59], exec
	s_and_b64 s[62:63], s[62:63], exec
	s_and_b64 s[64:65], s[68:69], exec
	s_and_b64 vcc, vcc, exec
	s_and_b64 s[4:5], s[4:5], exec
	s_or_b64 s[58:59], s[58:59], s[62:63]
.LBB14_4703:
	s_or_b64 exec, exec, s[60:61]
	s_andn2_b64 s[54:55], s[54:55], exec
	s_and_b64 s[58:59], s[58:59], exec
	s_and_b64 s[60:61], s[64:65], exec
	s_and_b64 vcc, vcc, exec
	s_and_b64 s[4:5], s[4:5], exec
	s_or_b64 s[54:55], s[54:55], s[58:59]
.LBB14_4704:
	s_or_b64 exec, exec, s[56:57]
	s_andn2_b64 s[50:51], s[50:51], exec
	s_and_b64 s[54:55], s[54:55], exec
	s_and_b64 s[56:57], s[60:61], exec
	s_and_b64 vcc, vcc, exec
	s_and_b64 s[4:5], s[4:5], exec
	s_or_b64 s[50:51], s[50:51], s[54:55]
.LBB14_4705:
	s_or_b64 exec, exec, s[52:53]
	s_andn2_b64 s[46:47], s[46:47], exec
	s_and_b64 s[50:51], s[50:51], exec
	s_and_b64 s[52:53], s[56:57], exec
	s_and_b64 vcc, vcc, exec
	s_and_b64 s[4:5], s[4:5], exec
	s_or_b64 s[46:47], s[46:47], s[50:51]
.LBB14_4706:
	s_or_b64 exec, exec, s[48:49]
	s_and_b64 s[48:49], vcc, exec
	s_and_b64 vcc, s[4:5], exec
	s_andn2_b64 s[4:5], s[44:45], exec
	s_and_b64 s[44:45], s[46:47], exec
	s_and_b64 s[50:51], s[52:53], exec
	s_or_b64 s[4:5], s[4:5], s[44:45]
.LBB14_4707:
	s_or_b64 exec, exec, s[42:43]
	s_andn2_b64 s[40:41], s[40:41], exec
	s_and_b64 s[4:5], s[4:5], exec
	s_and_b64 s[42:43], s[48:49], exec
	s_or_b64 s[40:41], s[40:41], s[4:5]
	v_readlane_b32 s4, v43, 8
	v_readlane_b32 s48, v43, 6
	s_and_b64 s[44:45], s[50:51], exec
	s_and_b64 vcc, vcc, exec
	v_readlane_b32 s5, v43, 9
	v_readlane_b32 s49, v43, 7
.LBB14_4708:
	s_or_b64 exec, exec, s[48:49]
	s_and_b64 s[48:49], s[44:45], exec
	s_and_b64 s[44:45], s[42:43], exec
	s_and_b64 s[42:43], vcc, exec
	v_readlane_b32 vcc_lo, v43, 2
	v_readlane_b32 vcc_hi, v43, 3
	s_andn2_b64 vcc, vcc, exec
	s_and_b64 s[40:41], s[40:41], exec
	s_or_b64 vcc, vcc, s[40:41]
	v_writelane_b32 v43, vcc_lo, 2
	v_writelane_b32 v43, vcc_hi, 3
	v_readlane_b32 vcc_lo, v44, 56
	v_readlane_b32 s40, v44, 60
	v_readlane_b32 s46, v43, 0
	;; [unrolled: 1-line block ×3, first 2 shown]
	v_readlane_b32 vcc_hi, v44, 57
	v_readlane_b32 s41, v44, 61
	v_readlane_b32 s47, v43, 1
	;; [unrolled: 1-line block ×3, first 2 shown]
.LBB14_4709:
	s_or_b64 exec, exec, s[50:51]
	v_readlane_b32 s50, v44, 62
	v_readlane_b32 s51, v44, 63
	s_andn2_b64 s[52:53], s[50:51], exec
	v_readlane_b32 s50, v43, 2
	v_readlane_b32 s51, v43, 3
	s_and_b64 s[50:51], s[50:51], exec
	s_or_b64 s[50:51], s[52:53], s[50:51]
	s_and_b64 s[48:49], s[48:49], exec
	s_and_b64 s[44:45], s[44:45], exec
	;; [unrolled: 1-line block ×3, first 2 shown]
	v_writelane_b32 v44, s50, 62
	v_writelane_b32 v44, s51, 63
.LBB14_4710:
	s_or_b64 exec, exec, s[46:47]
	s_and_b64 s[46:47], s[48:49], exec
	v_readlane_b32 s48, v44, 58
	v_readlane_b32 s49, v44, 59
	s_andn2_b64 s[50:51], s[48:49], exec
	v_readlane_b32 s48, v44, 62
	v_readlane_b32 s49, v44, 63
	s_and_b64 s[48:49], s[48:49], exec
	s_or_b64 s[48:49], s[50:51], s[48:49]
	s_and_b64 s[44:45], s[44:45], exec
	s_and_b64 s[42:43], s[42:43], exec
	v_writelane_b32 v44, s48, 58
	v_writelane_b32 v44, s49, 59
.LBB14_4711:
	s_or_b64 exec, exec, s[40:41]
	s_and_b64 s[40:41], s[42:43], exec
	s_andn2_b64 s[42:43], s[38:39], exec
	v_readlane_b32 s38, v44, 58
	v_readlane_b32 s39, v44, 59
	s_and_b64 s[38:39], s[38:39], exec
	s_and_b64 s[46:47], s[46:47], exec
	;; [unrolled: 1-line block ×3, first 2 shown]
	s_or_b64 s[38:39], s[42:43], s[38:39]
.LBB14_4712:
	s_or_b64 exec, exec, vcc
	s_andn2_b64 s[34:35], s[34:35], exec
	s_and_b64 s[38:39], s[38:39], exec
	s_and_b64 s[46:47], s[46:47], exec
	s_and_b64 s[42:43], s[44:45], exec
	s_and_b64 vcc, s[40:41], exec
	s_or_b64 s[34:35], s[34:35], s[38:39]
.LBB14_4713:
	s_or_b64 exec, exec, s[36:37]
	s_andn2_b64 s[4:5], s[4:5], exec
	s_and_b64 s[34:35], s[34:35], exec
	s_and_b64 s[38:39], s[46:47], exec
	;; [unrolled: 1-line block ×3, first 2 shown]
	s_and_b64 vcc, vcc, exec
	s_or_b64 s[4:5], s[4:5], s[34:35]
.LBB14_4714:
	s_or_b64 exec, exec, s[30:31]
	s_andn2_b64 s[26:27], s[26:27], exec
	s_and_b64 s[4:5], s[4:5], exec
	s_and_b64 s[34:35], s[38:39], exec
	;; [unrolled: 1-line block ×3, first 2 shown]
	s_and_b64 vcc, vcc, exec
	s_or_b64 s[26:27], s[26:27], s[4:5]
.LBB14_4715:
	s_or_b64 exec, exec, s[28:29]
	s_andn2_b64 s[22:23], s[22:23], exec
	s_and_b64 s[26:27], s[26:27], exec
	s_and_b64 s[34:35], s[34:35], exec
	;; [unrolled: 1-line block ×3, first 2 shown]
	s_and_b64 s[4:5], vcc, exec
	s_or_b64 s[22:23], s[22:23], s[26:27]
.LBB14_4716:
	s_or_b64 exec, exec, s[24:25]
	s_andn2_b64 s[18:19], s[18:19], exec
	s_and_b64 s[22:23], s[22:23], exec
	s_and_b64 s[26:27], s[34:35], exec
	;; [unrolled: 1-line block ×4, first 2 shown]
	s_or_b64 s[18:19], s[18:19], s[22:23]
.LBB14_4717:
	s_or_b64 exec, exec, s[20:21]
	s_and_b64 s[20:21], s[4:5], exec
	s_andn2_b64 s[4:5], s[14:15], exec
	s_and_b64 s[14:15], s[18:19], exec
	s_and_b64 s[26:27], s[26:27], exec
	;; [unrolled: 1-line block ×3, first 2 shown]
	s_or_b64 s[14:15], s[4:5], s[14:15]
.LBB14_4718:
	s_or_b64 exec, exec, s[16:17]
	s_andn2_b64 s[10:11], s[10:11], exec
	s_and_b64 s[14:15], s[14:15], exec
	s_and_b64 s[4:5], s[26:27], exec
	;; [unrolled: 1-line block ×4, first 2 shown]
	s_or_b64 s[10:11], s[10:11], s[14:15]
	s_or_b64 exec, exec, s[12:13]
	s_mov_b64 s[12:13], 0
	s_and_saveexec_b64 s[14:15], s[10:11]
	s_cbranch_execz .LBB14_3784
.LBB14_4719:
	s_mov_b64 s[12:13], exec
	s_andn2_b64 s[16:17], s[16:17], exec
	s_trap 2
	s_or_b64 exec, exec, s[14:15]
	s_and_saveexec_b64 s[10:11], s[16:17]
	s_xor_b64 s[10:11], exec, s[10:11]
	s_cbranch_execz .LBB14_3785
.LBB14_4720:
	v_cmp_neq_f32_e32 vcc, 0, v2
	v_cndmask_b32_e64 v0, 0, 1, vcc
	s_or_b64 s[4:5], s[4:5], exec
	flat_store_byte v[4:5], v0
	s_or_b64 exec, exec, s[10:11]
	s_and_saveexec_b64 s[10:11], s[18:19]
	s_cbranch_execz .LBB14_4762
.LBB14_4721:
	v_cmp_lt_i16_e32 vcc, 4, v102
	s_and_saveexec_b64 s[14:15], vcc
	s_xor_b64 s[14:15], exec, s[14:15]
	s_cbranch_execz .LBB14_4743
; %bb.4722:
	v_cmp_lt_i16_e32 vcc, 7, v102
	s_and_saveexec_b64 s[16:17], vcc
	s_xor_b64 s[16:17], exec, s[16:17]
	s_cbranch_execz .LBB14_4732
; %bb.4723:
	;; [unrolled: 5-line block ×4, first 2 shown]
	s_waitcnt vmcnt(0)
	v_mov_b32_e32 v8, 0
	v_cvt_f64_f32_e32 v[6:7], v2
	v_mov_b32_e32 v9, v8
	flat_store_dwordx4 v[4:5], v[6:9]
.LBB14_4726:
	s_andn2_saveexec_b64 s[20:21], s[20:21]
	s_cbranch_execz .LBB14_4728
; %bb.4727:
	v_mov_b32_e32 v3, 0
	flat_store_dwordx2 v[4:5], v[2:3]
.LBB14_4728:
	s_or_b64 exec, exec, s[20:21]
.LBB14_4729:
	s_andn2_saveexec_b64 s[18:19], s[18:19]
	s_cbranch_execz .LBB14_4731
; %bb.4730:
	v_cvt_f16_f32_e32 v0, v2
	flat_store_dword v[4:5], v0
.LBB14_4731:
	s_or_b64 exec, exec, s[18:19]
.LBB14_4732:
	s_andn2_saveexec_b64 s[16:17], s[16:17]
	s_cbranch_execz .LBB14_4742
; %bb.4733:
	v_cmp_lt_i16_e32 vcc, 5, v102
	s_and_saveexec_b64 s[18:19], vcc
	s_xor_b64 s[18:19], exec, s[18:19]
	s_cbranch_execz .LBB14_4739
; %bb.4734:
	v_cmp_lt_i16_e32 vcc, 6, v102
	s_and_saveexec_b64 s[20:21], vcc
	s_xor_b64 s[20:21], exec, s[20:21]
	s_cbranch_execz .LBB14_4736
; %bb.4735:
	v_cvt_f64_f32_e32 v[0:1], v2
	flat_store_dwordx2 v[4:5], v[0:1]
.LBB14_4736:
	s_andn2_saveexec_b64 s[20:21], s[20:21]
	s_cbranch_execz .LBB14_4738
; %bb.4737:
	flat_store_dword v[4:5], v2
.LBB14_4738:
	s_or_b64 exec, exec, s[20:21]
.LBB14_4739:
	s_andn2_saveexec_b64 s[18:19], s[18:19]
	s_cbranch_execz .LBB14_4741
; %bb.4740:
	v_cvt_f16_f32_e32 v0, v2
	flat_store_short v[4:5], v0
.LBB14_4741:
	s_or_b64 exec, exec, s[18:19]
.LBB14_4742:
	s_or_b64 exec, exec, s[16:17]
.LBB14_4743:
	s_andn2_saveexec_b64 s[14:15], s[14:15]
	s_cbranch_execz .LBB14_4761
; %bb.4744:
	v_cmp_lt_i16_e32 vcc, 1, v102
	s_and_saveexec_b64 s[16:17], vcc
	s_xor_b64 s[16:17], exec, s[16:17]
	s_cbranch_execz .LBB14_4754
; %bb.4745:
	v_cmp_lt_i16_e32 vcc, 2, v102
	s_and_saveexec_b64 s[18:19], vcc
	s_xor_b64 s[18:19], exec, s[18:19]
	;; [unrolled: 5-line block ×3, first 2 shown]
	s_cbranch_execz .LBB14_4748
; %bb.4747:
	v_trunc_f32_e32 v0, v2
	s_mov_b32 s22, 0x2f800000
	v_mul_f32_e64 v1, |v0|, s22
	v_floor_f32_e32 v1, v1
	s_mov_b32 s22, 0xcf800000
	v_cvt_u32_f32_e32 v3, v1
	v_fma_f32 v1, v1, s22, |v0|
	v_cvt_u32_f32_e32 v1, v1
	v_ashrrev_i32_e32 v6, 31, v0
	v_xor_b32_e32 v3, v3, v6
	v_xor_b32_e32 v0, v1, v6
	v_sub_co_u32_e32 v0, vcc, v0, v6
	v_subb_co_u32_e32 v1, vcc, v3, v6, vcc
	flat_store_dwordx2 v[4:5], v[0:1]
                                        ; implicit-def: $vgpr4_vgpr5
.LBB14_4748:
	s_andn2_saveexec_b64 s[20:21], s[20:21]
	s_cbranch_execz .LBB14_4750
; %bb.4749:
	v_cvt_i32_f32_e32 v0, v2
	flat_store_dword v[4:5], v0
.LBB14_4750:
	s_or_b64 exec, exec, s[20:21]
                                        ; implicit-def: $vgpr4_vgpr5
.LBB14_4751:
	s_andn2_saveexec_b64 s[18:19], s[18:19]
	s_cbranch_execz .LBB14_4753
; %bb.4752:
	v_cvt_i32_f32_e32 v0, v2
	flat_store_short v[4:5], v0
.LBB14_4753:
	s_or_b64 exec, exec, s[18:19]
                                        ; implicit-def: $vgpr4_vgpr5
.LBB14_4754:
	s_andn2_saveexec_b64 s[16:17], s[16:17]
	s_cbranch_execz .LBB14_4760
; %bb.4755:
	v_cmp_lt_i16_e32 vcc, 0, v102
	s_and_saveexec_b64 s[18:19], vcc
	s_xor_b64 s[18:19], exec, s[18:19]
	s_cbranch_execz .LBB14_4757
; %bb.4756:
	v_cvt_i32_f32_e32 v0, v2
                                        ; implicit-def: $vgpr2
	flat_store_byte v[4:5], v0
                                        ; implicit-def: $vgpr4_vgpr5
.LBB14_4757:
	s_andn2_saveexec_b64 s[18:19], s[18:19]
	s_cbranch_execz .LBB14_4759
; %bb.4758:
	v_trunc_f32_e32 v0, v2
	s_mov_b32 s20, 0x2f800000
	v_mul_f32_e64 v1, |v0|, s20
	v_floor_f32_e32 v1, v1
	s_mov_b32 s20, 0xcf800000
	v_fma_f32 v1, v1, s20, |v0|
	v_cvt_u32_f32_e32 v1, v1
	v_ashrrev_i32_e32 v0, 31, v0
	v_xor_b32_e32 v1, v1, v0
	v_sub_u32_e32 v0, v1, v0
	flat_store_byte v[4:5], v0
.LBB14_4759:
	s_or_b64 exec, exec, s[18:19]
.LBB14_4760:
	s_or_b64 exec, exec, s[16:17]
.LBB14_4761:
	s_or_b64 exec, exec, s[14:15]
	s_or_b64 s[4:5], s[4:5], exec
.LBB14_4762:
	s_or_b64 exec, exec, s[10:11]
	s_and_saveexec_b64 s[10:11], s[4:5]
	s_xor_b64 s[4:5], exec, s[10:11]
	s_or_b64 exec, exec, s[4:5]
	s_and_b64 s[4:5], s[12:13], exec
.LBB14_4763:
	s_andn2_saveexec_b64 s[8:9], s[8:9]
	s_cbranch_execnz .LBB14_4888
.LBB14_4764:
	s_or_b64 exec, exec, s[8:9]
	s_and_b64 s[4:5], s[4:5], exec
	s_andn2_saveexec_b64 s[6:7], s[6:7]
	s_cbranch_execz .LBB14_3652
.LBB14_4765:
	s_or_b64 s[4:5], s[4:5], exec
	s_trap 2
	s_or_b64 exec, exec, s[6:7]
	s_and_saveexec_b64 s[6:7], s[4:5]
	s_cbranch_execnz .LBB14_3653
	s_branch .LBB14_3654
.LBB14_4766:
	v_mov_b32_e32 v5, 25
	v_cmp_gt_i16_sdwa s[20:21], v11, v5 src0_sel:BYTE_0 src1_sel:DWORD
	s_mov_b64 s[18:19], s[10:11]
	s_and_saveexec_b64 s[22:23], s[20:21]
	s_xor_b64 s[20:21], exec, s[22:23]
	s_cbranch_execz .LBB14_4802
; %bb.4767:
	v_mov_b32_e32 v5, 28
	v_cmp_gt_i16_sdwa s[18:19], v11, v5 src0_sel:BYTE_0 src1_sel:DWORD
	s_mov_b64 s[22:23], s[10:11]
	s_and_saveexec_b64 s[24:25], s[18:19]
	s_xor_b64 s[18:19], exec, s[24:25]
	s_cbranch_execz .LBB14_4785
; %bb.4768:
	;; [unrolled: 7-line block ×3, first 2 shown]
	v_mov_b32_e32 v5, 45
	v_cmp_gt_i16_sdwa s[4:5], v11, v5 src0_sel:BYTE_0 src1_sel:DWORD
	s_mov_b64 s[24:25], 0
	s_mov_b64 s[26:27], s[10:11]
	s_and_saveexec_b64 s[28:29], s[4:5]
	s_xor_b64 s[4:5], exec, s[28:29]
	s_cbranch_execz .LBB14_4773
; %bb.4770:
	v_mov_b32_e32 v5, 46
	v_cmp_eq_u16_sdwa vcc, v11, v5 src0_sel:BYTE_0 src1_sel:DWORD
	s_mov_b64 s[28:29], -1
	s_and_saveexec_b64 s[26:27], vcc
	s_cbranch_execz .LBB14_4772
; %bb.4771:
	v_bfe_u32 v5, v4, 16, 1
	s_movk_i32 s28, 0x7fff
	v_add3_u32 v5, v4, v5, s28
	v_lshrrev_b32_e32 v5, 16, v5
	v_mov_b32_e32 v102, 0x7fc0
	v_cmp_o_f32_e32 vcc, v4, v4
	v_cndmask_b32_e32 v4, v102, v5, vcc
	s_mov_b64 s[24:25], exec
	flat_store_dword v[2:3], v4
	s_xor_b64 s[28:29], exec, -1
.LBB14_4772:
	s_or_b64 exec, exec, s[26:27]
	s_andn2_b64 s[26:27], s[10:11], exec
	s_and_b64 s[28:29], s[28:29], exec
	s_or_b64 s[26:27], s[26:27], s[28:29]
	s_and_b64 s[24:25], s[24:25], exec
                                        ; implicit-def: $vgpr2_vgpr3
                                        ; implicit-def: $vgpr4
.LBB14_4773:
	s_andn2_saveexec_b64 s[28:29], s[4:5]
	s_cbranch_execz .LBB14_4779
; %bb.4774:
	v_mov_b32_e32 v5, 44
	v_cmp_eq_u16_sdwa s[34:35], v11, v5 src0_sel:BYTE_0 src1_sel:DWORD
	s_mov_b64 vcc, -1
	s_mov_b64 s[4:5], s[24:25]
	s_and_saveexec_b64 s[30:31], s[34:35]
	s_cbranch_execz .LBB14_4778
; %bb.4775:
	v_bfe_u32 v5, v4, 23, 8
	s_movk_i32 s4, 0xff
	v_cmp_ne_u32_e32 vcc, s4, v5
	v_mov_b32_e32 v102, 0xff
	s_and_saveexec_b64 s[34:35], vcc
; %bb.4776:
	s_mov_b32 s4, 0x3fffff
	v_lshrrev_b32_e32 v102, 23, v4
	v_and_b32_e32 v103, 0x400000, v4
	v_and_or_b32 v4, v4, s4, v5
	v_cmp_ne_u32_e32 vcc, 0, v103
	v_cmp_ne_u32_e64 s[4:5], 0, v4
	s_and_b64 s[4:5], vcc, s[4:5]
	v_cndmask_b32_e64 v4, 0, 1, s[4:5]
	v_add_u32_e32 v102, v102, v4
; %bb.4777:
	s_or_b64 exec, exec, s[34:35]
	s_xor_b64 vcc, exec, -1
	s_or_b64 s[4:5], s[24:25], exec
	flat_store_byte v[2:3], v102
.LBB14_4778:
	s_or_b64 exec, exec, s[30:31]
	s_andn2_b64 s[26:27], s[26:27], exec
	s_and_b64 vcc, vcc, exec
	s_andn2_b64 s[24:25], s[24:25], exec
	s_and_b64 s[4:5], s[4:5], exec
	s_or_b64 s[26:27], s[26:27], vcc
	s_or_b64 s[24:25], s[24:25], s[4:5]
.LBB14_4779:
	s_or_b64 exec, exec, s[28:29]
	s_andn2_b64 s[4:5], s[10:11], exec
	s_and_b64 s[26:27], s[26:27], exec
	s_or_b64 s[26:27], s[4:5], s[26:27]
	s_and_b64 s[4:5], s[24:25], exec
                                        ; implicit-def: $vgpr4
                                        ; implicit-def: $vgpr2_vgpr3
.LBB14_4780:
	s_andn2_saveexec_b64 s[22:23], s[22:23]
	s_cbranch_execz .LBB14_4784
; %bb.4781:
	v_mov_b32_e32 v5, 29
	v_cmp_eq_u16_sdwa s[30:31], v11, v5 src0_sel:BYTE_0 src1_sel:DWORD
	s_mov_b64 vcc, -1
	s_mov_b64 s[28:29], s[4:5]
	s_and_saveexec_b64 s[24:25], s[30:31]
	s_cbranch_execz .LBB14_4783
; %bb.4782:
	v_trunc_f32_e32 v4, v4
	v_mul_f32_e32 v5, 0x2f800000, v4
	v_floor_f32_e32 v102, v5
	v_fmac_f32_e32 v4, 0xcf800000, v102
	v_cvt_u32_f32_e32 v5, v102
	v_cvt_u32_f32_e32 v4, v4
	s_xor_b64 vcc, exec, -1
	s_or_b64 s[28:29], s[4:5], exec
	flat_store_dwordx2 v[2:3], v[4:5]
.LBB14_4783:
	s_or_b64 exec, exec, s[24:25]
	s_andn2_b64 s[24:25], s[26:27], exec
	s_and_b64 s[26:27], vcc, exec
	s_or_b64 s[26:27], s[24:25], s[26:27]
	s_andn2_b64 s[4:5], s[4:5], exec
	s_and_b64 s[24:25], s[28:29], exec
	s_or_b64 s[4:5], s[4:5], s[24:25]
.LBB14_4784:
	s_or_b64 exec, exec, s[22:23]
	s_andn2_b64 s[22:23], s[10:11], exec
	s_and_b64 s[24:25], s[26:27], exec
	s_or_b64 s[22:23], s[22:23], s[24:25]
	s_and_b64 s[4:5], s[4:5], exec
                                        ; implicit-def: $vgpr2_vgpr3
                                        ; implicit-def: $vgpr4
.LBB14_4785:
	s_andn2_saveexec_b64 s[18:19], s[18:19]
	s_cbranch_execz .LBB14_4801
; %bb.4786:
	v_mov_b32_e32 v5, 26
	v_cmp_gt_i16_sdwa s[24:25], v11, v5 src0_sel:BYTE_0 src1_sel:DWORD
	s_and_saveexec_b64 s[26:27], s[24:25]
	s_xor_b64 s[24:25], exec, s[26:27]
	s_cbranch_execz .LBB14_4792
; %bb.4787:
	v_cvt_u32_f32_e32 v4, v4
	v_mov_b32_e32 v5, 27
	v_cmp_gt_i16_sdwa s[26:27], v11, v5 src0_sel:BYTE_0 src1_sel:DWORD
	s_and_saveexec_b64 s[28:29], s[26:27]
	s_xor_b64 s[26:27], exec, s[28:29]
	s_cbranch_execz .LBB14_4789
; %bb.4788:
	flat_store_dword v[2:3], v4
                                        ; implicit-def: $vgpr2_vgpr3
                                        ; implicit-def: $vgpr4
.LBB14_4789:
	s_andn2_saveexec_b64 s[26:27], s[26:27]
	s_cbranch_execz .LBB14_4791
; %bb.4790:
	flat_store_short v[2:3], v4
.LBB14_4791:
	s_or_b64 exec, exec, s[26:27]
                                        ; implicit-def: $vgpr2_vgpr3
                                        ; implicit-def: $vgpr4
.LBB14_4792:
	s_andn2_saveexec_b64 s[24:25], s[24:25]
	s_cbranch_execz .LBB14_4800
; %bb.4793:
	v_and_b32_e32 v5, 0x7fffffff, v4
	s_mov_b32 s26, 0x43800000
	v_cmp_gt_u32_e32 vcc, s26, v5
	v_mov_b32_e32 v102, 0x80
	s_and_saveexec_b64 s[26:27], vcc
	s_cbranch_execz .LBB14_4799
; %bb.4794:
	s_mov_b32 s28, 0x3bffffff
	v_cmp_lt_u32_e32 vcc, s28, v5
	s_mov_b64 s[28:29], 0
                                        ; implicit-def: $vgpr5
	s_and_saveexec_b64 s[30:31], vcc
	s_xor_b64 vcc, exec, s[30:31]
	s_cbranch_execnz .LBB14_5503
; %bb.4795:
	s_or_saveexec_b64 s[30:31], vcc
                                        ; implicit-def: $sgpr34
	s_xor_b64 exec, exec, s[30:31]
	s_cbranch_execnz .LBB14_5504
.LBB14_4796:
	s_or_b64 exec, exec, s[30:31]
	v_mov_b32_e32 v102, s34
	s_and_saveexec_b64 vcc, s[28:29]
.LBB14_4797:
	v_lshrrev_b32_e32 v4, 24, v4
	s_movk_i32 s28, 0x80
	v_and_or_b32 v102, v4, s28, v5
.LBB14_4798:
	s_or_b64 exec, exec, vcc
.LBB14_4799:
	s_or_b64 exec, exec, s[26:27]
	flat_store_byte v[2:3], v102
.LBB14_4800:
	s_or_b64 exec, exec, s[24:25]
	s_or_b64 s[4:5], s[4:5], exec
.LBB14_4801:
	s_or_b64 exec, exec, s[18:19]
	s_andn2_b64 s[18:19], s[10:11], exec
	s_and_b64 s[22:23], s[22:23], exec
	s_or_b64 s[18:19], s[18:19], s[22:23]
	s_and_b64 s[4:5], s[4:5], exec
                                        ; implicit-def: $vgpr4
                                        ; implicit-def: $vgpr2_vgpr3
.LBB14_4802:
	s_andn2_saveexec_b64 s[20:21], s[20:21]
	s_cbranch_execz .LBB14_4846
; %bb.4803:
	v_mov_b32_e32 v5, 22
	v_cmp_gt_i16_sdwa s[22:23], v11, v5 src0_sel:BYTE_0 src1_sel:DWORD
	s_mov_b64 s[24:25], s[4:5]
	s_and_saveexec_b64 s[26:27], s[22:23]
	s_xor_b64 s[22:23], exec, s[26:27]
	s_cbranch_execz .LBB14_4835
; %bb.4804:
	v_mov_b32_e32 v5, 23
	v_cmp_gt_i16_sdwa s[24:25], v11, v5 src0_sel:BYTE_0 src1_sel:DWORD
	s_and_saveexec_b64 s[26:27], s[24:25]
	s_xor_b64 s[24:25], exec, s[26:27]
	s_cbranch_execz .LBB14_4824
; %bb.4805:
	v_mov_b32_e32 v5, 24
	v_cmp_gt_i16_sdwa s[26:27], v11, v5 src0_sel:BYTE_0 src1_sel:DWORD
	s_and_saveexec_b64 s[28:29], s[26:27]
	s_xor_b64 s[26:27], exec, s[28:29]
	s_cbranch_execz .LBB14_4813
; %bb.4806:
	v_and_b32_e32 v5, 0x7fffffff, v4
	s_mov_b32 s28, 0x47800000
	v_cmp_gt_u32_e32 vcc, s28, v5
	v_mov_b32_e32 v102, 0x80
	s_and_saveexec_b64 s[28:29], vcc
	s_cbranch_execz .LBB14_4812
; %bb.4807:
	s_mov_b32 vcc_lo, 0x37ffffff
	v_cmp_lt_u32_e32 vcc, vcc_lo, v5
	s_mov_b64 s[30:31], 0
                                        ; implicit-def: $vgpr5
	s_and_saveexec_b64 s[34:35], vcc
	s_xor_b64 vcc, exec, s[34:35]
	s_cbranch_execnz .LBB14_5627
; %bb.4808:
	s_or_saveexec_b64 s[34:35], vcc
                                        ; implicit-def: $sgpr36
	s_xor_b64 exec, exec, s[34:35]
	s_cbranch_execnz .LBB14_5628
.LBB14_4809:
	s_or_b64 exec, exec, s[34:35]
	v_mov_b32_e32 v102, s36
	s_and_saveexec_b64 vcc, s[30:31]
.LBB14_4810:
	v_lshrrev_b32_e32 v4, 24, v4
	s_movk_i32 s30, 0x80
	v_and_or_b32 v102, v4, s30, v5
.LBB14_4811:
	s_or_b64 exec, exec, vcc
.LBB14_4812:
	s_or_b64 exec, exec, s[28:29]
	flat_store_byte v[2:3], v102
                                        ; implicit-def: $vgpr4
                                        ; implicit-def: $vgpr2_vgpr3
.LBB14_4813:
	s_andn2_saveexec_b64 s[26:27], s[26:27]
	s_cbranch_execz .LBB14_4823
; %bb.4814:
	v_and_b32_e32 v102, 0x7fffffff, v4
	s_mov_b32 s28, 0x43f00000
	v_cmp_gt_u32_e32 vcc, s28, v102
                                        ; implicit-def: $vgpr5
	s_and_saveexec_b64 s[28:29], vcc
	s_xor_b64 s[28:29], exec, s[28:29]
	s_cbranch_execz .LBB14_4820
; %bb.4815:
	s_mov_b32 vcc_lo, 0x3c7fffff
	v_cmp_lt_u32_e32 vcc, vcc_lo, v102
                                        ; implicit-def: $vgpr5
	s_and_saveexec_b64 s[30:31], vcc
	s_xor_b64 s[30:31], exec, s[30:31]
; %bb.4816:
	v_bfe_u32 v5, v4, 20, 1
	s_mov_b32 vcc_lo, 0x407ffff
	v_add3_u32 v5, v4, v5, vcc_lo
	v_lshrrev_b32_e32 v102, 20, v5
	v_and_b32_e32 v5, 0xff00000, v5
	s_mov_b32 vcc_lo, 0x7f00000
	v_mov_b32_e32 v103, 0x7e
	v_cmp_ne_u32_e32 vcc, vcc_lo, v5
	v_cndmask_b32_e32 v5, v103, v102, vcc
; %bb.4817:
	s_andn2_saveexec_b64 vcc, s[30:31]
; %bb.4818:
	s_mov_b32 s30, 0x46800000
	v_add_f32_e64 v5, |v4|, s30
; %bb.4819:
	s_or_b64 exec, exec, vcc
                                        ; implicit-def: $vgpr102
.LBB14_4820:
	s_andn2_saveexec_b64 s[28:29], s[28:29]
; %bb.4821:
	s_mov_b32 vcc_lo, 0x7f800000
	v_mov_b32_e32 v5, 0x7e
	v_mov_b32_e32 v103, 0x7f
	v_cmp_lt_u32_e32 vcc, vcc_lo, v102
	v_cndmask_b32_e32 v5, v5, v103, vcc
; %bb.4822:
	s_or_b64 exec, exec, s[28:29]
	v_lshrrev_b32_e32 v4, 24, v4
	s_movk_i32 s28, 0x80
	v_and_or_b32 v4, v4, s28, v5
	flat_store_byte v[2:3], v4
.LBB14_4823:
	s_or_b64 exec, exec, s[26:27]
                                        ; implicit-def: $vgpr4
                                        ; implicit-def: $vgpr2_vgpr3
.LBB14_4824:
	s_andn2_saveexec_b64 s[24:25], s[24:25]
	s_cbranch_execz .LBB14_4834
; %bb.4825:
	v_and_b32_e32 v102, 0x7fffffff, v4
	s_mov_b32 s26, 0x47800000
	v_cmp_gt_u32_e32 vcc, s26, v102
                                        ; implicit-def: $vgpr5
	s_and_saveexec_b64 s[26:27], vcc
	s_xor_b64 s[26:27], exec, s[26:27]
	s_cbranch_execz .LBB14_4831
; %bb.4826:
	s_mov_b32 s28, 0x387fffff
	v_cmp_lt_u32_e32 vcc, s28, v102
                                        ; implicit-def: $vgpr5
	s_and_saveexec_b64 s[28:29], vcc
	s_xor_b64 s[28:29], exec, s[28:29]
; %bb.4827:
	v_bfe_u32 v5, v4, 21, 1
	s_mov_b32 vcc_lo, 0x80fffff
	v_add3_u32 v5, v4, v5, vcc_lo
	v_lshrrev_b32_e32 v5, 21, v5
; %bb.4828:
	s_andn2_saveexec_b64 s[28:29], s[28:29]
; %bb.4829:
	s_mov_b32 s30, 0x43000000
	v_add_f32_e64 v5, |v4|, s30
; %bb.4830:
	s_or_b64 exec, exec, s[28:29]
                                        ; implicit-def: $vgpr102
.LBB14_4831:
	s_andn2_saveexec_b64 s[26:27], s[26:27]
; %bb.4832:
	s_mov_b32 s28, 0x7f800000
	v_mov_b32_e32 v5, 0x7c
	v_mov_b32_e32 v103, 0x7f
	v_cmp_lt_u32_e32 vcc, s28, v102
	v_cndmask_b32_e32 v5, v5, v103, vcc
; %bb.4833:
	s_or_b64 exec, exec, s[26:27]
	v_lshrrev_b32_e32 v4, 24, v4
	s_movk_i32 s26, 0x80
	v_and_or_b32 v4, v4, s26, v5
	flat_store_byte v[2:3], v4
.LBB14_4834:
	s_or_b64 exec, exec, s[24:25]
	s_or_b64 s[24:25], s[4:5], exec
                                        ; implicit-def: $vgpr4
                                        ; implicit-def: $vgpr2_vgpr3
.LBB14_4835:
	s_or_saveexec_b64 s[22:23], s[22:23]
	s_mov_b64 s[28:29], s[18:19]
	s_xor_b64 exec, exec, s[22:23]
	s_cbranch_execz .LBB14_4845
; %bb.4836:
	v_mov_b32_e32 v5, 14
	v_cmp_gt_i16_sdwa vcc, v11, v5 src0_sel:BYTE_0 src1_sel:DWORD
	s_mov_b64 s[26:27], s[24:25]
	s_mov_b64 s[28:29], s[18:19]
	s_and_saveexec_b64 s[30:31], vcc
	s_xor_b64 s[30:31], exec, s[30:31]
	s_cbranch_execz .LBB14_4840
; %bb.4837:
	v_mov_b32_e32 v5, 15
	v_cmp_eq_u16_sdwa s[34:35], v11, v5 src0_sel:BYTE_0 src1_sel:DWORD
	s_mov_b64 s[28:29], -1
	s_mov_b64 vcc, s[24:25]
	s_and_saveexec_b64 s[26:27], s[34:35]
	s_cbranch_execz .LBB14_4839
; %bb.4838:
	v_bfe_u32 v5, v4, 16, 1
	s_movk_i32 s28, 0x7fff
	v_add3_u32 v5, v4, v5, s28
	v_lshrrev_b32_e32 v5, 16, v5
	v_mov_b32_e32 v102, 0x7fc0
	v_cmp_o_f32_e32 vcc, v4, v4
	v_cndmask_b32_e32 v4, v102, v5, vcc
	flat_store_short v[2:3], v4
	s_xor_b64 s[28:29], exec, -1
	s_or_b64 vcc, s[24:25], exec
.LBB14_4839:
	s_or_b64 exec, exec, s[26:27]
	s_andn2_b64 s[26:27], s[18:19], exec
	s_and_b64 s[28:29], s[28:29], exec
	s_or_b64 s[28:29], s[26:27], s[28:29]
	s_andn2_b64 s[26:27], s[24:25], exec
	s_and_b64 vcc, vcc, exec
	s_or_b64 s[26:27], s[26:27], vcc
                                        ; implicit-def: $vgpr4
                                        ; implicit-def: $vgpr2_vgpr3
.LBB14_4840:
	s_andn2_saveexec_b64 s[30:31], s[30:31]
	s_cbranch_execz .LBB14_4844
; %bb.4841:
	v_mov_b32_e32 v5, 11
	v_cmp_eq_u16_sdwa s[38:39], v11, v5 src0_sel:BYTE_0 src1_sel:DWORD
	s_mov_b64 s[34:35], -1
	s_mov_b64 vcc, s[26:27]
	s_and_saveexec_b64 s[36:37], s[38:39]
	s_cbranch_execz .LBB14_4843
; %bb.4842:
	v_cmp_neq_f32_e32 vcc, 0, v4
	v_cndmask_b32_e64 v4, 0, 1, vcc
	flat_store_byte v[2:3], v4
	s_xor_b64 s[34:35], exec, -1
	s_or_b64 vcc, s[26:27], exec
.LBB14_4843:
	s_or_b64 exec, exec, s[36:37]
	s_andn2_b64 s[28:29], s[28:29], exec
	s_and_b64 s[34:35], s[34:35], exec
	s_andn2_b64 s[26:27], s[26:27], exec
	s_and_b64 vcc, vcc, exec
	s_or_b64 s[28:29], s[28:29], s[34:35]
	s_or_b64 s[26:27], s[26:27], vcc
.LBB14_4844:
	s_or_b64 exec, exec, s[30:31]
	s_andn2_b64 vcc, s[18:19], exec
	s_and_b64 s[28:29], s[28:29], exec
	s_andn2_b64 s[24:25], s[24:25], exec
	s_and_b64 s[26:27], s[26:27], exec
	s_or_b64 s[28:29], vcc, s[28:29]
	s_or_b64 s[24:25], s[24:25], s[26:27]
.LBB14_4845:
	s_or_b64 exec, exec, s[22:23]
	s_andn2_b64 s[18:19], s[18:19], exec
	s_and_b64 s[22:23], s[28:29], exec
	s_or_b64 s[18:19], s[18:19], s[22:23]
	s_andn2_b64 s[4:5], s[4:5], exec
	s_and_b64 s[22:23], s[24:25], exec
	s_or_b64 s[4:5], s[4:5], s[22:23]
.LBB14_4846:
	s_or_b64 exec, exec, s[20:21]
	s_andn2_b64 s[20:21], s[10:11], exec
	s_and_b64 s[18:19], s[18:19], exec
	s_or_b64 s[18:19], s[20:21], s[18:19]
	s_and_b64 s[4:5], s[4:5], exec
                                        ; implicit-def: $vgpr4
                                        ; implicit-def: $vgpr2_vgpr3
	s_andn2_saveexec_b64 s[14:15], s[14:15]
	s_cbranch_execz .LBB14_3789
.LBB14_4847:
	v_mov_b32_e32 v5, 4
	v_cmp_gt_i16_sdwa s[20:21], v11, v5 src0_sel:BYTE_0 src1_sel:DWORD
	s_and_saveexec_b64 s[22:23], s[20:21]
	s_xor_b64 s[20:21], exec, s[22:23]
	s_cbranch_execz .LBB14_4869
; %bb.4848:
	v_mov_b32_e32 v5, 7
	v_cmp_gt_i16_sdwa s[22:23], v11, v5 src0_sel:BYTE_0 src1_sel:DWORD
	s_and_saveexec_b64 s[24:25], s[22:23]
	s_xor_b64 s[22:23], exec, s[24:25]
	s_cbranch_execz .LBB14_4858
; %bb.4849:
	;; [unrolled: 6-line block ×4, first 2 shown]
	v_mov_b32_e32 v114, 0
	v_cvt_f64_f32_e32 v[112:113], v4
	v_mov_b32_e32 v115, v114
	flat_store_dwordx4 v[2:3], v[112:115]
                                        ; implicit-def: $vgpr4
                                        ; implicit-def: $vgpr2_vgpr3
.LBB14_4852:
	s_andn2_saveexec_b64 s[26:27], s[26:27]
	s_cbranch_execz .LBB14_4854
; %bb.4853:
	v_mov_b32_e32 v5, 0
	flat_store_dwordx2 v[2:3], v[4:5]
.LBB14_4854:
	s_or_b64 exec, exec, s[26:27]
                                        ; implicit-def: $vgpr4
                                        ; implicit-def: $vgpr2_vgpr3
.LBB14_4855:
	s_andn2_saveexec_b64 s[24:25], s[24:25]
	s_cbranch_execz .LBB14_4857
; %bb.4856:
	v_cvt_f16_f32_e32 v4, v4
	flat_store_dword v[2:3], v4
.LBB14_4857:
	s_or_b64 exec, exec, s[24:25]
                                        ; implicit-def: $vgpr4
                                        ; implicit-def: $vgpr2_vgpr3
.LBB14_4858:
	s_andn2_saveexec_b64 s[22:23], s[22:23]
	s_cbranch_execz .LBB14_4868
; %bb.4859:
	v_mov_b32_e32 v5, 5
	v_cmp_gt_i16_sdwa s[24:25], v11, v5 src0_sel:BYTE_0 src1_sel:DWORD
	s_and_saveexec_b64 s[26:27], s[24:25]
	s_xor_b64 s[24:25], exec, s[26:27]
	s_cbranch_execz .LBB14_4865
; %bb.4860:
	v_mov_b32_e32 v5, 6
	v_cmp_gt_i16_sdwa s[26:27], v11, v5 src0_sel:BYTE_0 src1_sel:DWORD
	s_and_saveexec_b64 s[28:29], s[26:27]
	s_xor_b64 s[26:27], exec, s[28:29]
	s_cbranch_execz .LBB14_4862
; %bb.4861:
	v_cvt_f64_f32_e32 v[4:5], v4
	flat_store_dwordx2 v[2:3], v[4:5]
                                        ; implicit-def: $vgpr2_vgpr3
                                        ; implicit-def: $vgpr4
.LBB14_4862:
	s_andn2_saveexec_b64 s[26:27], s[26:27]
	s_cbranch_execz .LBB14_4864
; %bb.4863:
	flat_store_dword v[2:3], v4
.LBB14_4864:
	s_or_b64 exec, exec, s[26:27]
                                        ; implicit-def: $vgpr4
                                        ; implicit-def: $vgpr2_vgpr3
.LBB14_4865:
	s_andn2_saveexec_b64 s[24:25], s[24:25]
	s_cbranch_execz .LBB14_4867
; %bb.4866:
	v_cvt_f16_f32_e32 v4, v4
	flat_store_short v[2:3], v4
.LBB14_4867:
	s_or_b64 exec, exec, s[24:25]
.LBB14_4868:
	s_or_b64 exec, exec, s[22:23]
                                        ; implicit-def: $vgpr4
                                        ; implicit-def: $vgpr2_vgpr3
.LBB14_4869:
	s_andn2_saveexec_b64 s[20:21], s[20:21]
	s_cbranch_execz .LBB14_4887
; %bb.4870:
	v_mov_b32_e32 v5, 1
	v_cmp_gt_i16_sdwa s[22:23], v11, v5 src0_sel:BYTE_0 src1_sel:DWORD
	s_and_saveexec_b64 s[24:25], s[22:23]
	s_xor_b64 s[22:23], exec, s[24:25]
	s_cbranch_execz .LBB14_4880
; %bb.4871:
	v_mov_b32_e32 v5, 2
	v_cmp_gt_i16_sdwa s[24:25], v11, v5 src0_sel:BYTE_0 src1_sel:DWORD
	s_and_saveexec_b64 s[26:27], s[24:25]
	s_xor_b64 s[24:25], exec, s[26:27]
	;; [unrolled: 6-line block ×3, first 2 shown]
	s_cbranch_execz .LBB14_4874
; %bb.4873:
	v_trunc_f32_e32 v4, v4
	s_mov_b32 s28, 0x2f800000
	v_mul_f32_e64 v5, |v4|, s28
	v_floor_f32_e32 v5, v5
	s_mov_b32 s28, 0xcf800000
	v_cvt_u32_f32_e32 v102, v5
	v_fma_f32 v5, v5, s28, |v4|
	v_cvt_u32_f32_e32 v5, v5
	v_ashrrev_i32_e32 v103, 31, v4
	v_xor_b32_e32 v102, v102, v103
	v_xor_b32_e32 v4, v5, v103
	v_sub_co_u32_e32 v4, vcc, v4, v103
	v_subb_co_u32_e32 v5, vcc, v102, v103, vcc
	flat_store_dwordx2 v[2:3], v[4:5]
                                        ; implicit-def: $vgpr4
                                        ; implicit-def: $vgpr2_vgpr3
.LBB14_4874:
	s_andn2_saveexec_b64 s[26:27], s[26:27]
	s_cbranch_execz .LBB14_4876
; %bb.4875:
	v_cvt_i32_f32_e32 v4, v4
	flat_store_dword v[2:3], v4
.LBB14_4876:
	s_or_b64 exec, exec, s[26:27]
                                        ; implicit-def: $vgpr4
                                        ; implicit-def: $vgpr2_vgpr3
.LBB14_4877:
	s_andn2_saveexec_b64 s[24:25], s[24:25]
	s_cbranch_execz .LBB14_4879
; %bb.4878:
	v_cvt_i32_f32_e32 v4, v4
	flat_store_short v[2:3], v4
.LBB14_4879:
	s_or_b64 exec, exec, s[24:25]
                                        ; implicit-def: $vgpr4
                                        ; implicit-def: $vgpr2_vgpr3
.LBB14_4880:
	s_andn2_saveexec_b64 s[22:23], s[22:23]
	s_cbranch_execz .LBB14_4886
; %bb.4881:
	v_mov_b32_e32 v5, 0
	v_cmp_gt_i16_sdwa s[24:25], v11, v5 src0_sel:BYTE_0 src1_sel:DWORD
	s_and_saveexec_b64 s[26:27], s[24:25]
	s_xor_b64 s[24:25], exec, s[26:27]
	s_cbranch_execz .LBB14_4883
; %bb.4882:
	v_cvt_i32_f32_e32 v4, v4
	flat_store_byte v[2:3], v4
                                        ; implicit-def: $vgpr4
                                        ; implicit-def: $vgpr2_vgpr3
.LBB14_4883:
	s_andn2_saveexec_b64 s[24:25], s[24:25]
	s_cbranch_execz .LBB14_4885
; %bb.4884:
	v_trunc_f32_e32 v4, v4
	s_mov_b32 s26, 0x2f800000
	v_mul_f32_e64 v5, |v4|, s26
	v_floor_f32_e32 v5, v5
	s_mov_b32 s26, 0xcf800000
	v_fma_f32 v5, v5, s26, |v4|
	v_cvt_u32_f32_e32 v5, v5
	v_ashrrev_i32_e32 v4, 31, v4
	v_xor_b32_e32 v5, v5, v4
	v_sub_u32_e32 v4, v5, v4
	flat_store_byte v[2:3], v4
.LBB14_4885:
	s_or_b64 exec, exec, s[24:25]
.LBB14_4886:
	s_or_b64 exec, exec, s[22:23]
.LBB14_4887:
	s_or_b64 exec, exec, s[20:21]
	s_or_b64 s[4:5], s[4:5], exec
	s_or_b64 exec, exec, s[14:15]
	s_mov_b64 s[20:21], 0
	s_and_saveexec_b64 s[14:15], s[4:5]
	s_cbranch_execnz .LBB14_3790
	s_branch .LBB14_3791
.LBB14_4888:
	s_or_b64 s[4:5], s[4:5], exec
	s_trap 2
	s_branch .LBB14_4764
.LBB14_4889:
	v_mov_b32_e32 v5, 25
	v_cmp_gt_i16_sdwa s[24:25], v11, v5 src0_sel:BYTE_0 src1_sel:DWORD
	s_mov_b64 s[22:23], s[14:15]
	s_and_saveexec_b64 s[26:27], s[24:25]
	s_xor_b64 s[24:25], exec, s[26:27]
	s_cbranch_execz .LBB14_4925
; %bb.4890:
	v_mov_b32_e32 v5, 28
	v_cmp_gt_i16_sdwa s[22:23], v11, v5 src0_sel:BYTE_0 src1_sel:DWORD
	s_mov_b64 s[26:27], s[14:15]
	s_and_saveexec_b64 s[28:29], s[22:23]
	s_xor_b64 s[22:23], exec, s[28:29]
	s_cbranch_execz .LBB14_4908
; %bb.4891:
	v_mov_b32_e32 v5, 43
	v_cmp_gt_i16_sdwa s[26:27], v11, v5 src0_sel:BYTE_0 src1_sel:DWORD
	s_mov_b64 vcc, s[14:15]
	s_and_saveexec_b64 s[28:29], s[26:27]
	s_xor_b64 s[26:27], exec, s[28:29]
	s_cbranch_execz .LBB14_4903
; %bb.4892:
	v_mov_b32_e32 v5, 45
	v_cmp_gt_i16_sdwa s[4:5], v11, v5 src0_sel:BYTE_0 src1_sel:DWORD
	s_mov_b64 s[28:29], 0
	s_mov_b64 s[30:31], s[14:15]
	s_and_saveexec_b64 vcc, s[4:5]
	s_xor_b64 s[4:5], exec, vcc
	s_cbranch_execz .LBB14_4896
; %bb.4893:
	v_mov_b32_e32 v5, 46
	v_cmp_eq_u16_sdwa s[34:35], v11, v5 src0_sel:BYTE_0 src1_sel:DWORD
	s_mov_b64 vcc, -1
	s_and_saveexec_b64 s[30:31], s[34:35]
	s_cbranch_execz .LBB14_4895
; %bb.4894:
	v_bfe_u32 v5, v4, 16, 1
	s_movk_i32 vcc_lo, 0x7fff
	v_add3_u32 v5, v4, v5, vcc_lo
	v_lshrrev_b32_e32 v5, 16, v5
	v_mov_b32_e32 v100, 0x7fc0
	v_cmp_o_f32_e32 vcc, v4, v4
	v_cndmask_b32_e32 v4, v100, v5, vcc
	s_mov_b64 s[28:29], exec
	flat_store_dword v[2:3], v4
	s_xor_b64 vcc, exec, -1
.LBB14_4895:
	s_or_b64 exec, exec, s[30:31]
	s_andn2_b64 s[30:31], s[14:15], exec
	s_and_b64 vcc, vcc, exec
	s_or_b64 s[30:31], s[30:31], vcc
	s_and_b64 s[28:29], s[28:29], exec
                                        ; implicit-def: $vgpr2_vgpr3
                                        ; implicit-def: $vgpr4
.LBB14_4896:
	s_andn2_saveexec_b64 s[34:35], s[4:5]
	s_cbranch_execz .LBB14_4902
; %bb.4897:
	v_mov_b32_e32 v5, 44
	v_cmp_eq_u16_sdwa s[38:39], v11, v5 src0_sel:BYTE_0 src1_sel:DWORD
	s_mov_b64 vcc, -1
	s_mov_b64 s[4:5], s[28:29]
	s_and_saveexec_b64 s[36:37], s[38:39]
	s_cbranch_execz .LBB14_4901
; %bb.4898:
	v_bfe_u32 v5, v4, 23, 8
	s_movk_i32 s4, 0xff
	v_cmp_ne_u32_e32 vcc, s4, v5
	v_mov_b32_e32 v100, 0xff
	s_and_saveexec_b64 s[38:39], vcc
; %bb.4899:
	s_mov_b32 s4, 0x3fffff
	v_lshrrev_b32_e32 v100, 23, v4
	v_and_b32_e32 v101, 0x400000, v4
	v_and_or_b32 v4, v4, s4, v5
	v_cmp_ne_u32_e32 vcc, 0, v101
	v_cmp_ne_u32_e64 s[4:5], 0, v4
	s_and_b64 s[4:5], vcc, s[4:5]
	v_cndmask_b32_e64 v4, 0, 1, s[4:5]
	v_add_u32_e32 v100, v100, v4
; %bb.4900:
	s_or_b64 exec, exec, s[38:39]
	s_xor_b64 vcc, exec, -1
	s_or_b64 s[4:5], s[28:29], exec
	flat_store_byte v[2:3], v100
.LBB14_4901:
	s_or_b64 exec, exec, s[36:37]
	s_andn2_b64 s[30:31], s[30:31], exec
	s_and_b64 vcc, vcc, exec
	s_andn2_b64 s[28:29], s[28:29], exec
	s_and_b64 s[4:5], s[4:5], exec
	s_or_b64 s[30:31], s[30:31], vcc
	s_or_b64 s[28:29], s[28:29], s[4:5]
.LBB14_4902:
	s_or_b64 exec, exec, s[34:35]
	s_andn2_b64 s[4:5], s[14:15], exec
	s_and_b64 vcc, s[30:31], exec
	s_or_b64 vcc, s[4:5], vcc
	s_and_b64 s[4:5], s[28:29], exec
                                        ; implicit-def: $vgpr4
                                        ; implicit-def: $vgpr2_vgpr3
.LBB14_4903:
	s_andn2_saveexec_b64 s[26:27], s[26:27]
	s_cbranch_execz .LBB14_4907
; %bb.4904:
	v_mov_b32_e32 v5, 29
	v_cmp_eq_u16_sdwa s[36:37], v11, v5 src0_sel:BYTE_0 src1_sel:DWORD
	s_mov_b64 s[34:35], -1
	s_mov_b64 s[30:31], s[4:5]
	s_and_saveexec_b64 s[28:29], s[36:37]
	s_cbranch_execz .LBB14_4906
; %bb.4905:
	v_trunc_f32_e32 v4, v4
	v_mul_f32_e32 v5, 0x2f800000, v4
	v_floor_f32_e32 v100, v5
	v_fmac_f32_e32 v4, 0xcf800000, v100
	v_cvt_u32_f32_e32 v5, v100
	v_cvt_u32_f32_e32 v4, v4
	s_xor_b64 s[34:35], exec, -1
	s_or_b64 s[30:31], s[4:5], exec
	flat_store_dwordx2 v[2:3], v[4:5]
.LBB14_4906:
	s_or_b64 exec, exec, s[28:29]
	s_andn2_b64 s[28:29], vcc, exec
	s_and_b64 vcc, s[34:35], exec
	s_or_b64 vcc, s[28:29], vcc
	s_andn2_b64 s[4:5], s[4:5], exec
	s_and_b64 s[28:29], s[30:31], exec
	s_or_b64 s[4:5], s[4:5], s[28:29]
.LBB14_4907:
	s_or_b64 exec, exec, s[26:27]
	s_andn2_b64 s[26:27], s[14:15], exec
	s_and_b64 s[28:29], vcc, exec
	s_or_b64 s[26:27], s[26:27], s[28:29]
	s_and_b64 s[4:5], s[4:5], exec
                                        ; implicit-def: $vgpr2_vgpr3
                                        ; implicit-def: $vgpr4
.LBB14_4908:
	s_andn2_saveexec_b64 s[22:23], s[22:23]
	s_cbranch_execz .LBB14_4924
; %bb.4909:
	v_mov_b32_e32 v5, 26
	v_cmp_gt_i16_sdwa s[28:29], v11, v5 src0_sel:BYTE_0 src1_sel:DWORD
	s_and_saveexec_b64 vcc, s[28:29]
	s_xor_b64 s[28:29], exec, vcc
	s_cbranch_execz .LBB14_4915
; %bb.4910:
	v_cvt_u32_f32_e32 v4, v4
	v_mov_b32_e32 v5, 27
	v_cmp_gt_i16_sdwa vcc, v11, v5 src0_sel:BYTE_0 src1_sel:DWORD
	s_and_saveexec_b64 s[30:31], vcc
	s_xor_b64 vcc, exec, s[30:31]
	s_cbranch_execz .LBB14_4912
; %bb.4911:
	flat_store_dword v[2:3], v4
                                        ; implicit-def: $vgpr2_vgpr3
                                        ; implicit-def: $vgpr4
.LBB14_4912:
	s_andn2_saveexec_b64 vcc, vcc
	s_cbranch_execz .LBB14_4914
; %bb.4913:
	flat_store_short v[2:3], v4
.LBB14_4914:
	s_or_b64 exec, exec, vcc
                                        ; implicit-def: $vgpr2_vgpr3
                                        ; implicit-def: $vgpr4
.LBB14_4915:
	s_andn2_saveexec_b64 s[28:29], s[28:29]
	s_cbranch_execz .LBB14_4923
; %bb.4916:
	v_and_b32_e32 v5, 0x7fffffff, v4
	s_mov_b32 vcc_lo, 0x43800000
	v_cmp_gt_u32_e32 vcc, vcc_lo, v5
	v_mov_b32_e32 v100, 0x80
	s_and_saveexec_b64 s[30:31], vcc
	s_cbranch_execz .LBB14_4922
; %bb.4917:
	s_mov_b32 vcc_lo, 0x3bffffff
	v_cmp_lt_u32_e32 vcc, vcc_lo, v5
	s_mov_b64 s[34:35], 0
                                        ; implicit-def: $vgpr5
	s_and_saveexec_b64 s[36:37], vcc
	s_xor_b64 vcc, exec, s[36:37]
	s_cbranch_execnz .LBB14_5629
; %bb.4918:
	s_or_saveexec_b64 s[36:37], vcc
                                        ; implicit-def: $sgpr38
	s_xor_b64 exec, exec, s[36:37]
	s_cbranch_execnz .LBB14_5630
.LBB14_4919:
	s_or_b64 exec, exec, s[36:37]
	v_mov_b32_e32 v100, s38
	s_and_saveexec_b64 vcc, s[34:35]
.LBB14_4920:
	v_lshrrev_b32_e32 v4, 24, v4
	s_movk_i32 s34, 0x80
	v_and_or_b32 v100, v4, s34, v5
.LBB14_4921:
	s_or_b64 exec, exec, vcc
.LBB14_4922:
	s_or_b64 exec, exec, s[30:31]
	flat_store_byte v[2:3], v100
.LBB14_4923:
	s_or_b64 exec, exec, s[28:29]
	s_or_b64 s[4:5], s[4:5], exec
.LBB14_4924:
	s_or_b64 exec, exec, s[22:23]
	s_andn2_b64 s[22:23], s[14:15], exec
	s_and_b64 s[26:27], s[26:27], exec
	s_or_b64 s[22:23], s[22:23], s[26:27]
	s_and_b64 s[4:5], s[4:5], exec
                                        ; implicit-def: $vgpr4
                                        ; implicit-def: $vgpr2_vgpr3
.LBB14_4925:
	s_andn2_saveexec_b64 s[24:25], s[24:25]
	s_cbranch_execz .LBB14_4969
; %bb.4926:
	v_mov_b32_e32 v5, 22
	v_cmp_gt_i16_sdwa s[26:27], v11, v5 src0_sel:BYTE_0 src1_sel:DWORD
	s_mov_b64 s[28:29], s[4:5]
	s_and_saveexec_b64 vcc, s[26:27]
	s_xor_b64 s[26:27], exec, vcc
	s_cbranch_execz .LBB14_4958
; %bb.4927:
	v_mov_b32_e32 v5, 23
	v_cmp_gt_i16_sdwa s[28:29], v11, v5 src0_sel:BYTE_0 src1_sel:DWORD
	s_and_saveexec_b64 vcc, s[28:29]
	s_xor_b64 s[28:29], exec, vcc
	s_cbranch_execz .LBB14_4947
; %bb.4928:
	v_mov_b32_e32 v5, 24
	v_cmp_gt_i16_sdwa vcc, v11, v5 src0_sel:BYTE_0 src1_sel:DWORD
	s_and_saveexec_b64 s[30:31], vcc
	s_xor_b64 s[30:31], exec, s[30:31]
	s_cbranch_execz .LBB14_4936
; %bb.4929:
	v_and_b32_e32 v5, 0x7fffffff, v4
	s_mov_b32 vcc_lo, 0x47800000
	v_cmp_gt_u32_e32 vcc, vcc_lo, v5
	v_mov_b32_e32 v100, 0x80
	s_and_saveexec_b64 s[34:35], vcc
	s_cbranch_execz .LBB14_4935
; %bb.4930:
	s_mov_b32 vcc_lo, 0x37ffffff
	v_cmp_lt_u32_e32 vcc, vcc_lo, v5
	s_mov_b64 s[36:37], 0
                                        ; implicit-def: $vgpr5
	s_and_saveexec_b64 s[38:39], vcc
	s_xor_b64 vcc, exec, s[38:39]
	s_cbranch_execnz .LBB14_5753
; %bb.4931:
	s_or_saveexec_b64 s[38:39], vcc
                                        ; implicit-def: $sgpr40
	s_xor_b64 exec, exec, s[38:39]
	s_cbranch_execnz .LBB14_5754
.LBB14_4932:
	s_or_b64 exec, exec, s[38:39]
	v_mov_b32_e32 v100, s40
	s_and_saveexec_b64 vcc, s[36:37]
.LBB14_4933:
	v_lshrrev_b32_e32 v4, 24, v4
	s_movk_i32 s36, 0x80
	v_and_or_b32 v100, v4, s36, v5
.LBB14_4934:
	s_or_b64 exec, exec, vcc
.LBB14_4935:
	s_or_b64 exec, exec, s[34:35]
	flat_store_byte v[2:3], v100
                                        ; implicit-def: $vgpr4
                                        ; implicit-def: $vgpr2_vgpr3
.LBB14_4936:
	s_andn2_saveexec_b64 s[30:31], s[30:31]
	s_cbranch_execz .LBB14_4946
; %bb.4937:
	v_and_b32_e32 v100, 0x7fffffff, v4
	s_mov_b32 vcc_lo, 0x43f00000
	v_cmp_gt_u32_e32 vcc, vcc_lo, v100
                                        ; implicit-def: $vgpr5
	s_and_saveexec_b64 s[34:35], vcc
	s_xor_b64 s[34:35], exec, s[34:35]
	s_cbranch_execz .LBB14_4943
; %bb.4938:
	s_mov_b32 vcc_lo, 0x3c7fffff
	v_cmp_lt_u32_e32 vcc, vcc_lo, v100
                                        ; implicit-def: $vgpr5
	s_and_saveexec_b64 s[36:37], vcc
	s_xor_b64 s[36:37], exec, s[36:37]
; %bb.4939:
	v_bfe_u32 v5, v4, 20, 1
	s_mov_b32 vcc_lo, 0x407ffff
	v_add3_u32 v5, v4, v5, vcc_lo
	v_lshrrev_b32_e32 v100, 20, v5
	v_and_b32_e32 v5, 0xff00000, v5
	s_mov_b32 vcc_lo, 0x7f00000
	v_mov_b32_e32 v101, 0x7e
	v_cmp_ne_u32_e32 vcc, vcc_lo, v5
	v_cndmask_b32_e32 v5, v101, v100, vcc
; %bb.4940:
	s_andn2_saveexec_b64 vcc, s[36:37]
; %bb.4941:
	s_mov_b32 s36, 0x46800000
	v_add_f32_e64 v5, |v4|, s36
; %bb.4942:
	s_or_b64 exec, exec, vcc
                                        ; implicit-def: $vgpr100
.LBB14_4943:
	s_andn2_saveexec_b64 s[34:35], s[34:35]
; %bb.4944:
	s_mov_b32 vcc_lo, 0x7f800000
	v_mov_b32_e32 v5, 0x7e
	v_mov_b32_e32 v101, 0x7f
	v_cmp_lt_u32_e32 vcc, vcc_lo, v100
	v_cndmask_b32_e32 v5, v5, v101, vcc
; %bb.4945:
	s_or_b64 exec, exec, s[34:35]
	v_lshrrev_b32_e32 v4, 24, v4
	s_movk_i32 vcc_lo, 0x80
	v_and_or_b32 v4, v4, vcc_lo, v5
	flat_store_byte v[2:3], v4
.LBB14_4946:
	s_or_b64 exec, exec, s[30:31]
                                        ; implicit-def: $vgpr4
                                        ; implicit-def: $vgpr2_vgpr3
.LBB14_4947:
	s_andn2_saveexec_b64 s[28:29], s[28:29]
	s_cbranch_execz .LBB14_4957
; %bb.4948:
	v_and_b32_e32 v100, 0x7fffffff, v4
	s_mov_b32 vcc_lo, 0x47800000
	v_cmp_gt_u32_e32 vcc, vcc_lo, v100
                                        ; implicit-def: $vgpr5
	s_and_saveexec_b64 s[30:31], vcc
	s_xor_b64 s[30:31], exec, s[30:31]
	s_cbranch_execz .LBB14_4954
; %bb.4949:
	s_mov_b32 vcc_lo, 0x387fffff
	v_cmp_lt_u32_e32 vcc, vcc_lo, v100
                                        ; implicit-def: $vgpr5
	s_and_saveexec_b64 s[34:35], vcc
	s_xor_b64 vcc, exec, s[34:35]
; %bb.4950:
	v_bfe_u32 v5, v4, 21, 1
	s_mov_b32 s34, 0x80fffff
	v_add3_u32 v5, v4, v5, s34
	v_lshrrev_b32_e32 v5, 21, v5
; %bb.4951:
	s_andn2_saveexec_b64 vcc, vcc
; %bb.4952:
	s_mov_b32 s34, 0x43000000
	v_add_f32_e64 v5, |v4|, s34
; %bb.4953:
	s_or_b64 exec, exec, vcc
                                        ; implicit-def: $vgpr100
.LBB14_4954:
	s_andn2_saveexec_b64 s[30:31], s[30:31]
; %bb.4955:
	s_mov_b32 vcc_lo, 0x7f800000
	v_mov_b32_e32 v5, 0x7c
	v_mov_b32_e32 v101, 0x7f
	v_cmp_lt_u32_e32 vcc, vcc_lo, v100
	v_cndmask_b32_e32 v5, v5, v101, vcc
; %bb.4956:
	s_or_b64 exec, exec, s[30:31]
	v_lshrrev_b32_e32 v4, 24, v4
	s_movk_i32 vcc_lo, 0x80
	v_and_or_b32 v4, v4, vcc_lo, v5
	flat_store_byte v[2:3], v4
.LBB14_4957:
	s_or_b64 exec, exec, s[28:29]
	s_or_b64 s[28:29], s[4:5], exec
                                        ; implicit-def: $vgpr4
                                        ; implicit-def: $vgpr2_vgpr3
.LBB14_4958:
	s_or_saveexec_b64 s[26:27], s[26:27]
	s_mov_b64 vcc, s[22:23]
	s_xor_b64 exec, exec, s[26:27]
	s_cbranch_execz .LBB14_4968
; %bb.4959:
	v_mov_b32_e32 v5, 14
	v_cmp_gt_i16_sdwa vcc, v11, v5 src0_sel:BYTE_0 src1_sel:DWORD
	s_mov_b64 s[30:31], s[28:29]
	s_mov_b64 s[34:35], s[22:23]
	s_and_saveexec_b64 s[36:37], vcc
	s_xor_b64 s[36:37], exec, s[36:37]
	s_cbranch_execz .LBB14_4963
; %bb.4960:
	v_mov_b32_e32 v5, 15
	v_cmp_eq_u16_sdwa s[38:39], v11, v5 src0_sel:BYTE_0 src1_sel:DWORD
	s_mov_b64 s[34:35], -1
	s_mov_b64 vcc, s[28:29]
	s_and_saveexec_b64 s[30:31], s[38:39]
	s_cbranch_execz .LBB14_4962
; %bb.4961:
	v_bfe_u32 v5, v4, 16, 1
	s_movk_i32 vcc_lo, 0x7fff
	v_add3_u32 v5, v4, v5, vcc_lo
	v_lshrrev_b32_e32 v5, 16, v5
	v_mov_b32_e32 v100, 0x7fc0
	v_cmp_o_f32_e32 vcc, v4, v4
	v_cndmask_b32_e32 v4, v100, v5, vcc
	flat_store_short v[2:3], v4
	s_xor_b64 s[34:35], exec, -1
	s_or_b64 vcc, s[28:29], exec
.LBB14_4962:
	s_or_b64 exec, exec, s[30:31]
	s_andn2_b64 s[30:31], s[22:23], exec
	s_and_b64 s[34:35], s[34:35], exec
	s_or_b64 s[34:35], s[30:31], s[34:35]
	s_andn2_b64 s[30:31], s[28:29], exec
	s_and_b64 vcc, vcc, exec
	s_or_b64 s[30:31], s[30:31], vcc
                                        ; implicit-def: $vgpr4
                                        ; implicit-def: $vgpr2_vgpr3
.LBB14_4963:
	s_andn2_saveexec_b64 s[36:37], s[36:37]
	s_cbranch_execz .LBB14_4967
; %bb.4964:
	v_mov_b32_e32 v5, 11
	v_cmp_eq_u16_sdwa s[42:43], v11, v5 src0_sel:BYTE_0 src1_sel:DWORD
	s_mov_b64 s[38:39], -1
	s_mov_b64 vcc, s[30:31]
	s_and_saveexec_b64 s[40:41], s[42:43]
	s_cbranch_execz .LBB14_4966
; %bb.4965:
	v_cmp_neq_f32_e32 vcc, 0, v4
	v_cndmask_b32_e64 v4, 0, 1, vcc
	flat_store_byte v[2:3], v4
	s_xor_b64 s[38:39], exec, -1
	s_or_b64 vcc, s[30:31], exec
.LBB14_4966:
	s_or_b64 exec, exec, s[40:41]
	s_andn2_b64 s[34:35], s[34:35], exec
	s_and_b64 s[38:39], s[38:39], exec
	s_andn2_b64 s[30:31], s[30:31], exec
	s_and_b64 vcc, vcc, exec
	s_or_b64 s[34:35], s[34:35], s[38:39]
	s_or_b64 s[30:31], s[30:31], vcc
.LBB14_4967:
	s_or_b64 exec, exec, s[36:37]
	s_andn2_b64 vcc, s[22:23], exec
	s_and_b64 s[34:35], s[34:35], exec
	s_andn2_b64 s[28:29], s[28:29], exec
	s_and_b64 s[30:31], s[30:31], exec
	s_or_b64 vcc, vcc, s[34:35]
	s_or_b64 s[28:29], s[28:29], s[30:31]
.LBB14_4968:
	s_or_b64 exec, exec, s[26:27]
	s_andn2_b64 s[22:23], s[22:23], exec
	s_and_b64 s[26:27], vcc, exec
	s_or_b64 s[22:23], s[22:23], s[26:27]
	s_andn2_b64 s[4:5], s[4:5], exec
	s_and_b64 s[26:27], s[28:29], exec
	s_or_b64 s[4:5], s[4:5], s[26:27]
.LBB14_4969:
	s_or_b64 exec, exec, s[24:25]
	s_andn2_b64 s[24:25], s[14:15], exec
	s_and_b64 s[22:23], s[22:23], exec
	s_or_b64 s[22:23], s[24:25], s[22:23]
	s_and_b64 s[4:5], s[4:5], exec
                                        ; implicit-def: $vgpr4
                                        ; implicit-def: $vgpr2_vgpr3
	s_andn2_saveexec_b64 s[18:19], s[18:19]
	s_cbranch_execz .LBB14_3796
.LBB14_4970:
	v_mov_b32_e32 v5, 4
	v_cmp_gt_i16_sdwa s[24:25], v11, v5 src0_sel:BYTE_0 src1_sel:DWORD
	s_and_saveexec_b64 s[26:27], s[24:25]
	s_xor_b64 s[24:25], exec, s[26:27]
	s_cbranch_execz .LBB14_4992
; %bb.4971:
	v_mov_b32_e32 v5, 7
	v_cmp_gt_i16_sdwa s[26:27], v11, v5 src0_sel:BYTE_0 src1_sel:DWORD
	s_and_saveexec_b64 s[28:29], s[26:27]
	s_xor_b64 s[26:27], exec, s[28:29]
	s_cbranch_execz .LBB14_4981
; %bb.4972:
	v_mov_b32_e32 v5, 8
	v_cmp_gt_i16_sdwa s[28:29], v11, v5 src0_sel:BYTE_0 src1_sel:DWORD
	s_and_saveexec_b64 vcc, s[28:29]
	s_xor_b64 s[28:29], exec, vcc
	s_cbranch_execz .LBB14_4978
; %bb.4973:
	v_mov_b32_e32 v5, 9
	v_cmp_gt_i16_sdwa vcc, v11, v5 src0_sel:BYTE_0 src1_sel:DWORD
	s_and_saveexec_b64 s[30:31], vcc
	s_xor_b64 vcc, exec, s[30:31]
	s_cbranch_execz .LBB14_4975
; %bb.4974:
	v_mov_b32_e32 v102, 0
	v_cvt_f64_f32_e32 v[100:101], v4
	v_mov_b32_e32 v103, v102
	flat_store_dwordx4 v[2:3], v[100:103]
                                        ; implicit-def: $vgpr4
                                        ; implicit-def: $vgpr2_vgpr3
.LBB14_4975:
	s_andn2_saveexec_b64 vcc, vcc
	s_cbranch_execz .LBB14_4977
; %bb.4976:
	v_mov_b32_e32 v5, 0
	flat_store_dwordx2 v[2:3], v[4:5]
.LBB14_4977:
	s_or_b64 exec, exec, vcc
                                        ; implicit-def: $vgpr4
                                        ; implicit-def: $vgpr2_vgpr3
.LBB14_4978:
	s_andn2_saveexec_b64 s[28:29], s[28:29]
	s_cbranch_execz .LBB14_4980
; %bb.4979:
	v_cvt_f16_f32_e32 v4, v4
	flat_store_dword v[2:3], v4
.LBB14_4980:
	s_or_b64 exec, exec, s[28:29]
                                        ; implicit-def: $vgpr4
                                        ; implicit-def: $vgpr2_vgpr3
.LBB14_4981:
	s_andn2_saveexec_b64 s[26:27], s[26:27]
	s_cbranch_execz .LBB14_4991
; %bb.4982:
	v_mov_b32_e32 v5, 5
	v_cmp_gt_i16_sdwa s[28:29], v11, v5 src0_sel:BYTE_0 src1_sel:DWORD
	s_and_saveexec_b64 vcc, s[28:29]
	s_xor_b64 s[28:29], exec, vcc
	s_cbranch_execz .LBB14_4988
; %bb.4983:
	v_mov_b32_e32 v5, 6
	v_cmp_gt_i16_sdwa vcc, v11, v5 src0_sel:BYTE_0 src1_sel:DWORD
	s_and_saveexec_b64 s[30:31], vcc
	s_xor_b64 vcc, exec, s[30:31]
	s_cbranch_execz .LBB14_4985
; %bb.4984:
	v_cvt_f64_f32_e32 v[4:5], v4
	flat_store_dwordx2 v[2:3], v[4:5]
                                        ; implicit-def: $vgpr2_vgpr3
                                        ; implicit-def: $vgpr4
.LBB14_4985:
	s_andn2_saveexec_b64 vcc, vcc
	s_cbranch_execz .LBB14_4987
; %bb.4986:
	flat_store_dword v[2:3], v4
.LBB14_4987:
	s_or_b64 exec, exec, vcc
                                        ; implicit-def: $vgpr4
                                        ; implicit-def: $vgpr2_vgpr3
.LBB14_4988:
	s_andn2_saveexec_b64 s[28:29], s[28:29]
	s_cbranch_execz .LBB14_4990
; %bb.4989:
	v_cvt_f16_f32_e32 v4, v4
	flat_store_short v[2:3], v4
.LBB14_4990:
	s_or_b64 exec, exec, s[28:29]
.LBB14_4991:
	s_or_b64 exec, exec, s[26:27]
                                        ; implicit-def: $vgpr4
                                        ; implicit-def: $vgpr2_vgpr3
.LBB14_4992:
	s_andn2_saveexec_b64 s[24:25], s[24:25]
	s_cbranch_execz .LBB14_5010
; %bb.4993:
	v_mov_b32_e32 v5, 1
	v_cmp_gt_i16_sdwa s[26:27], v11, v5 src0_sel:BYTE_0 src1_sel:DWORD
	s_and_saveexec_b64 s[28:29], s[26:27]
	s_xor_b64 s[26:27], exec, s[28:29]
	s_cbranch_execz .LBB14_5003
; %bb.4994:
	v_mov_b32_e32 v5, 2
	v_cmp_gt_i16_sdwa s[28:29], v11, v5 src0_sel:BYTE_0 src1_sel:DWORD
	s_and_saveexec_b64 vcc, s[28:29]
	s_xor_b64 s[28:29], exec, vcc
	s_cbranch_execz .LBB14_5000
; %bb.4995:
	v_mov_b32_e32 v5, 3
	v_cmp_gt_i16_sdwa vcc, v11, v5 src0_sel:BYTE_0 src1_sel:DWORD
	s_and_saveexec_b64 s[30:31], vcc
	s_xor_b64 s[30:31], exec, s[30:31]
	s_cbranch_execz .LBB14_4997
; %bb.4996:
	v_trunc_f32_e32 v4, v4
	s_mov_b32 s34, 0x2f800000
	v_mul_f32_e64 v5, |v4|, s34
	v_floor_f32_e32 v5, v5
	s_mov_b32 s34, 0xcf800000
	v_cvt_u32_f32_e32 v100, v5
	v_fma_f32 v5, v5, s34, |v4|
	v_cvt_u32_f32_e32 v5, v5
	v_ashrrev_i32_e32 v101, 31, v4
	v_xor_b32_e32 v100, v100, v101
	v_xor_b32_e32 v4, v5, v101
	v_sub_co_u32_e32 v4, vcc, v4, v101
	v_subb_co_u32_e32 v5, vcc, v100, v101, vcc
	flat_store_dwordx2 v[2:3], v[4:5]
                                        ; implicit-def: $vgpr4
                                        ; implicit-def: $vgpr2_vgpr3
.LBB14_4997:
	s_andn2_saveexec_b64 vcc, s[30:31]
	s_cbranch_execz .LBB14_4999
; %bb.4998:
	v_cvt_i32_f32_e32 v4, v4
	flat_store_dword v[2:3], v4
.LBB14_4999:
	s_or_b64 exec, exec, vcc
                                        ; implicit-def: $vgpr4
                                        ; implicit-def: $vgpr2_vgpr3
.LBB14_5000:
	s_andn2_saveexec_b64 s[28:29], s[28:29]
	s_cbranch_execz .LBB14_5002
; %bb.5001:
	v_cvt_i32_f32_e32 v4, v4
	flat_store_short v[2:3], v4
.LBB14_5002:
	s_or_b64 exec, exec, s[28:29]
                                        ; implicit-def: $vgpr4
                                        ; implicit-def: $vgpr2_vgpr3
.LBB14_5003:
	s_andn2_saveexec_b64 s[26:27], s[26:27]
	s_cbranch_execz .LBB14_5009
; %bb.5004:
	v_mov_b32_e32 v5, 0
	v_cmp_gt_i16_sdwa s[28:29], v11, v5 src0_sel:BYTE_0 src1_sel:DWORD
	s_and_saveexec_b64 vcc, s[28:29]
	s_xor_b64 s[28:29], exec, vcc
	s_cbranch_execz .LBB14_5006
; %bb.5005:
	v_cvt_i32_f32_e32 v4, v4
	flat_store_byte v[2:3], v4
                                        ; implicit-def: $vgpr4
                                        ; implicit-def: $vgpr2_vgpr3
.LBB14_5006:
	s_andn2_saveexec_b64 s[28:29], s[28:29]
	s_cbranch_execz .LBB14_5008
; %bb.5007:
	v_trunc_f32_e32 v4, v4
	s_mov_b32 s30, 0x2f800000
	v_mul_f32_e64 v5, |v4|, s30
	v_floor_f32_e32 v5, v5
	s_mov_b32 s30, 0xcf800000
	v_fma_f32 v5, v5, s30, |v4|
	v_cvt_u32_f32_e32 v5, v5
	v_ashrrev_i32_e32 v4, 31, v4
	v_xor_b32_e32 v5, v5, v4
	v_sub_u32_e32 v4, v5, v4
	flat_store_byte v[2:3], v4
.LBB14_5008:
	s_or_b64 exec, exec, s[28:29]
.LBB14_5009:
	s_or_b64 exec, exec, s[26:27]
.LBB14_5010:
	s_or_b64 exec, exec, s[24:25]
	s_or_b64 s[4:5], s[4:5], exec
	s_or_b64 exec, exec, s[18:19]
	s_mov_b64 s[24:25], 0
	s_and_saveexec_b64 s[18:19], s[4:5]
	s_cbranch_execnz .LBB14_3797
	s_branch .LBB14_3798
.LBB14_5011:
	v_mov_b32_e32 v5, 25
	v_cmp_gt_i16_sdwa s[28:29], v11, v5 src0_sel:BYTE_0 src1_sel:DWORD
	s_mov_b64 s[26:27], s[18:19]
	s_and_saveexec_b64 vcc, s[28:29]
	s_xor_b64 s[28:29], exec, vcc
	s_cbranch_execz .LBB14_5047
; %bb.5012:
	v_mov_b32_e32 v5, 28
	v_cmp_gt_i16_sdwa s[26:27], v11, v5 src0_sel:BYTE_0 src1_sel:DWORD
	s_mov_b64 s[30:31], s[18:19]
	s_and_saveexec_b64 vcc, s[26:27]
	s_xor_b64 s[26:27], exec, vcc
	s_cbranch_execz .LBB14_5030
; %bb.5013:
	v_mov_b32_e32 v5, 43
	v_cmp_gt_i16_sdwa s[30:31], v11, v5 src0_sel:BYTE_0 src1_sel:DWORD
	s_mov_b64 vcc, s[18:19]
	s_and_saveexec_b64 s[34:35], s[30:31]
	s_xor_b64 s[30:31], exec, s[34:35]
	s_cbranch_execz .LBB14_5025
; %bb.5014:
	v_mov_b32_e32 v5, 45
	v_cmp_gt_i16_sdwa s[4:5], v11, v5 src0_sel:BYTE_0 src1_sel:DWORD
	s_mov_b64 s[34:35], 0
	s_mov_b64 s[36:37], s[18:19]
	s_and_saveexec_b64 vcc, s[4:5]
	s_xor_b64 s[4:5], exec, vcc
	s_cbranch_execz .LBB14_5018
; %bb.5015:
	v_mov_b32_e32 v5, 46
	v_cmp_eq_u16_sdwa s[38:39], v11, v5 src0_sel:BYTE_0 src1_sel:DWORD
	s_mov_b64 vcc, -1
	s_and_saveexec_b64 s[36:37], s[38:39]
	s_cbranch_execz .LBB14_5017
; %bb.5016:
	v_bfe_u32 v5, v4, 16, 1
	s_movk_i32 vcc_lo, 0x7fff
	v_add3_u32 v5, v4, v5, vcc_lo
	v_lshrrev_b32_e32 v5, 16, v5
	v_mov_b32_e32 v98, 0x7fc0
	v_cmp_o_f32_e32 vcc, v4, v4
	v_cndmask_b32_e32 v4, v98, v5, vcc
	s_mov_b64 s[34:35], exec
	flat_store_dword v[2:3], v4
	s_xor_b64 vcc, exec, -1
.LBB14_5017:
	s_or_b64 exec, exec, s[36:37]
	s_andn2_b64 s[36:37], s[18:19], exec
	s_and_b64 vcc, vcc, exec
	s_or_b64 s[36:37], s[36:37], vcc
	s_and_b64 s[34:35], s[34:35], exec
                                        ; implicit-def: $vgpr2_vgpr3
                                        ; implicit-def: $vgpr4
.LBB14_5018:
	s_andn2_saveexec_b64 s[38:39], s[4:5]
	s_cbranch_execz .LBB14_5024
; %bb.5019:
	v_mov_b32_e32 v5, 44
	v_cmp_eq_u16_sdwa s[42:43], v11, v5 src0_sel:BYTE_0 src1_sel:DWORD
	s_mov_b64 vcc, -1
	s_mov_b64 s[4:5], s[34:35]
	s_and_saveexec_b64 s[40:41], s[42:43]
	s_cbranch_execz .LBB14_5023
; %bb.5020:
	v_bfe_u32 v5, v4, 23, 8
	s_movk_i32 s4, 0xff
	v_cmp_ne_u32_e32 vcc, s4, v5
	v_mov_b32_e32 v98, 0xff
	s_and_saveexec_b64 s[42:43], vcc
; %bb.5021:
	s_mov_b32 s4, 0x3fffff
	v_lshrrev_b32_e32 v98, 23, v4
	v_and_b32_e32 v99, 0x400000, v4
	v_and_or_b32 v4, v4, s4, v5
	v_cmp_ne_u32_e32 vcc, 0, v99
	v_cmp_ne_u32_e64 s[4:5], 0, v4
	s_and_b64 s[4:5], vcc, s[4:5]
	v_cndmask_b32_e64 v4, 0, 1, s[4:5]
	v_add_u32_e32 v98, v98, v4
; %bb.5022:
	s_or_b64 exec, exec, s[42:43]
	s_xor_b64 vcc, exec, -1
	s_or_b64 s[4:5], s[34:35], exec
	flat_store_byte v[2:3], v98
.LBB14_5023:
	s_or_b64 exec, exec, s[40:41]
	s_andn2_b64 s[36:37], s[36:37], exec
	s_and_b64 vcc, vcc, exec
	s_or_b64 s[36:37], s[36:37], vcc
	s_andn2_b64 vcc, s[34:35], exec
	s_and_b64 s[4:5], s[4:5], exec
	s_or_b64 s[34:35], vcc, s[4:5]
.LBB14_5024:
	s_or_b64 exec, exec, s[38:39]
	s_andn2_b64 s[4:5], s[18:19], exec
	s_and_b64 vcc, s[36:37], exec
	s_or_b64 vcc, s[4:5], vcc
	s_and_b64 s[4:5], s[34:35], exec
                                        ; implicit-def: $vgpr4
                                        ; implicit-def: $vgpr2_vgpr3
.LBB14_5025:
	s_andn2_saveexec_b64 s[30:31], s[30:31]
	s_cbranch_execz .LBB14_5029
; %bb.5026:
	v_mov_b32_e32 v5, 29
	v_cmp_eq_u16_sdwa s[40:41], v11, v5 src0_sel:BYTE_0 src1_sel:DWORD
	s_mov_b64 s[38:39], -1
	s_mov_b64 s[36:37], s[4:5]
	s_and_saveexec_b64 s[34:35], s[40:41]
	s_cbranch_execz .LBB14_5028
; %bb.5027:
	v_trunc_f32_e32 v4, v4
	v_mul_f32_e32 v5, 0x2f800000, v4
	v_floor_f32_e32 v98, v5
	v_fmac_f32_e32 v4, 0xcf800000, v98
	v_cvt_u32_f32_e32 v5, v98
	v_cvt_u32_f32_e32 v4, v4
	s_xor_b64 s[38:39], exec, -1
	s_or_b64 s[36:37], s[4:5], exec
	flat_store_dwordx2 v[2:3], v[4:5]
.LBB14_5028:
	s_or_b64 exec, exec, s[34:35]
	s_andn2_b64 vcc, vcc, exec
	s_and_b64 s[34:35], s[38:39], exec
	s_or_b64 vcc, vcc, s[34:35]
	s_andn2_b64 s[4:5], s[4:5], exec
	s_and_b64 s[34:35], s[36:37], exec
	s_or_b64 s[4:5], s[4:5], s[34:35]
.LBB14_5029:
	s_or_b64 exec, exec, s[30:31]
	s_andn2_b64 s[30:31], s[18:19], exec
	s_and_b64 vcc, vcc, exec
	s_or_b64 s[30:31], s[30:31], vcc
	s_and_b64 s[4:5], s[4:5], exec
                                        ; implicit-def: $vgpr2_vgpr3
                                        ; implicit-def: $vgpr4
.LBB14_5030:
	s_andn2_saveexec_b64 s[26:27], s[26:27]
	s_cbranch_execz .LBB14_5046
; %bb.5031:
	v_mov_b32_e32 v5, 26
	v_cmp_gt_i16_sdwa vcc, v11, v5 src0_sel:BYTE_0 src1_sel:DWORD
	s_and_saveexec_b64 s[34:35], vcc
	s_xor_b64 vcc, exec, s[34:35]
	s_cbranch_execz .LBB14_5037
; %bb.5032:
	v_cvt_u32_f32_e32 v4, v4
	v_mov_b32_e32 v5, 27
	v_cmp_gt_i16_sdwa s[34:35], v11, v5 src0_sel:BYTE_0 src1_sel:DWORD
	s_and_saveexec_b64 s[36:37], s[34:35]
	s_xor_b64 s[34:35], exec, s[36:37]
	s_cbranch_execz .LBB14_5034
; %bb.5033:
	flat_store_dword v[2:3], v4
                                        ; implicit-def: $vgpr2_vgpr3
                                        ; implicit-def: $vgpr4
.LBB14_5034:
	s_andn2_saveexec_b64 s[34:35], s[34:35]
	s_cbranch_execz .LBB14_5036
; %bb.5035:
	flat_store_short v[2:3], v4
.LBB14_5036:
	s_or_b64 exec, exec, s[34:35]
                                        ; implicit-def: $vgpr2_vgpr3
                                        ; implicit-def: $vgpr4
.LBB14_5037:
	s_andn2_saveexec_b64 s[34:35], vcc
	s_cbranch_execz .LBB14_5045
; %bb.5038:
	v_and_b32_e32 v5, 0x7fffffff, v4
	s_mov_b32 vcc_lo, 0x43800000
	v_cmp_gt_u32_e32 vcc, vcc_lo, v5
	v_mov_b32_e32 v98, 0x80
	s_and_saveexec_b64 s[36:37], vcc
	s_cbranch_execz .LBB14_5044
; %bb.5039:
	s_mov_b32 vcc_lo, 0x3bffffff
	v_cmp_lt_u32_e32 vcc, vcc_lo, v5
	s_mov_b64 s[38:39], 0
                                        ; implicit-def: $vgpr5
	s_and_saveexec_b64 s[40:41], vcc
	s_xor_b64 vcc, exec, s[40:41]
	s_cbranch_execnz .LBB14_5755
; %bb.5040:
	s_or_saveexec_b64 s[40:41], vcc
                                        ; implicit-def: $sgpr42
	s_xor_b64 exec, exec, s[40:41]
	s_cbranch_execnz .LBB14_5756
.LBB14_5041:
	s_or_b64 exec, exec, s[40:41]
	v_mov_b32_e32 v98, s42
	s_and_saveexec_b64 vcc, s[38:39]
.LBB14_5042:
	v_lshrrev_b32_e32 v4, 24, v4
	s_movk_i32 s38, 0x80
	v_and_or_b32 v98, v4, s38, v5
.LBB14_5043:
	s_or_b64 exec, exec, vcc
.LBB14_5044:
	s_or_b64 exec, exec, s[36:37]
	flat_store_byte v[2:3], v98
.LBB14_5045:
	s_or_b64 exec, exec, s[34:35]
	s_or_b64 s[4:5], s[4:5], exec
.LBB14_5046:
	s_or_b64 exec, exec, s[26:27]
	s_andn2_b64 s[26:27], s[18:19], exec
	s_and_b64 vcc, s[30:31], exec
	s_or_b64 s[26:27], s[26:27], vcc
	s_and_b64 s[4:5], s[4:5], exec
                                        ; implicit-def: $vgpr4
                                        ; implicit-def: $vgpr2_vgpr3
.LBB14_5047:
	s_andn2_saveexec_b64 s[28:29], s[28:29]
	s_cbranch_execz .LBB14_5091
; %bb.5048:
	v_mov_b32_e32 v5, 22
	v_cmp_gt_i16_sdwa vcc, v11, v5 src0_sel:BYTE_0 src1_sel:DWORD
	s_mov_b64 s[34:35], s[4:5]
	s_and_saveexec_b64 s[30:31], vcc
	s_xor_b64 s[30:31], exec, s[30:31]
	s_cbranch_execz .LBB14_5080
; %bb.5049:
	v_mov_b32_e32 v5, 23
	v_cmp_gt_i16_sdwa vcc, v11, v5 src0_sel:BYTE_0 src1_sel:DWORD
	s_and_saveexec_b64 s[34:35], vcc
	s_xor_b64 s[34:35], exec, s[34:35]
	s_cbranch_execz .LBB14_5069
; %bb.5050:
	v_mov_b32_e32 v5, 24
	v_cmp_gt_i16_sdwa vcc, v11, v5 src0_sel:BYTE_0 src1_sel:DWORD
	s_and_saveexec_b64 s[36:37], vcc
	s_xor_b64 s[36:37], exec, s[36:37]
	s_cbranch_execz .LBB14_5058
; %bb.5051:
	v_and_b32_e32 v5, 0x7fffffff, v4
	s_mov_b32 vcc_lo, 0x47800000
	v_cmp_gt_u32_e32 vcc, vcc_lo, v5
	v_mov_b32_e32 v98, 0x80
	s_and_saveexec_b64 s[38:39], vcc
	s_cbranch_execz .LBB14_5057
; %bb.5052:
	s_mov_b32 vcc_lo, 0x37ffffff
	v_cmp_lt_u32_e32 vcc, vcc_lo, v5
	s_mov_b64 s[40:41], 0
                                        ; implicit-def: $vgpr5
	s_and_saveexec_b64 s[42:43], vcc
	s_xor_b64 vcc, exec, s[42:43]
	s_cbranch_execnz .LBB14_5879
; %bb.5053:
	s_or_saveexec_b64 s[42:43], vcc
                                        ; implicit-def: $sgpr44
	s_xor_b64 exec, exec, s[42:43]
	s_cbranch_execnz .LBB14_5880
.LBB14_5054:
	s_or_b64 exec, exec, s[42:43]
	v_mov_b32_e32 v98, s44
	s_and_saveexec_b64 vcc, s[40:41]
.LBB14_5055:
	v_lshrrev_b32_e32 v4, 24, v4
	s_movk_i32 s40, 0x80
	v_and_or_b32 v98, v4, s40, v5
.LBB14_5056:
	s_or_b64 exec, exec, vcc
.LBB14_5057:
	s_or_b64 exec, exec, s[38:39]
	flat_store_byte v[2:3], v98
                                        ; implicit-def: $vgpr4
                                        ; implicit-def: $vgpr2_vgpr3
.LBB14_5058:
	s_andn2_saveexec_b64 s[36:37], s[36:37]
	s_cbranch_execz .LBB14_5068
; %bb.5059:
	v_and_b32_e32 v98, 0x7fffffff, v4
	s_mov_b32 vcc_lo, 0x43f00000
	v_cmp_gt_u32_e32 vcc, vcc_lo, v98
                                        ; implicit-def: $vgpr5
	s_and_saveexec_b64 s[38:39], vcc
	s_xor_b64 s[38:39], exec, s[38:39]
	s_cbranch_execz .LBB14_5065
; %bb.5060:
	s_mov_b32 vcc_lo, 0x3c7fffff
	v_cmp_lt_u32_e32 vcc, vcc_lo, v98
                                        ; implicit-def: $vgpr5
	s_and_saveexec_b64 s[40:41], vcc
	s_xor_b64 s[40:41], exec, s[40:41]
; %bb.5061:
	v_bfe_u32 v5, v4, 20, 1
	s_mov_b32 vcc_lo, 0x407ffff
	v_add3_u32 v5, v4, v5, vcc_lo
	v_lshrrev_b32_e32 v98, 20, v5
	v_and_b32_e32 v5, 0xff00000, v5
	s_mov_b32 vcc_lo, 0x7f00000
	v_mov_b32_e32 v99, 0x7e
	v_cmp_ne_u32_e32 vcc, vcc_lo, v5
	v_cndmask_b32_e32 v5, v99, v98, vcc
; %bb.5062:
	s_andn2_saveexec_b64 vcc, s[40:41]
; %bb.5063:
	s_mov_b32 s40, 0x46800000
	v_add_f32_e64 v5, |v4|, s40
; %bb.5064:
	s_or_b64 exec, exec, vcc
                                        ; implicit-def: $vgpr98
.LBB14_5065:
	s_andn2_saveexec_b64 s[38:39], s[38:39]
; %bb.5066:
	s_mov_b32 vcc_lo, 0x7f800000
	v_mov_b32_e32 v5, 0x7e
	v_mov_b32_e32 v99, 0x7f
	v_cmp_lt_u32_e32 vcc, vcc_lo, v98
	v_cndmask_b32_e32 v5, v5, v99, vcc
; %bb.5067:
	s_or_b64 exec, exec, s[38:39]
	v_lshrrev_b32_e32 v4, 24, v4
	s_movk_i32 vcc_lo, 0x80
	v_and_or_b32 v4, v4, vcc_lo, v5
	flat_store_byte v[2:3], v4
.LBB14_5068:
	s_or_b64 exec, exec, s[36:37]
                                        ; implicit-def: $vgpr4
                                        ; implicit-def: $vgpr2_vgpr3
.LBB14_5069:
	s_andn2_saveexec_b64 s[34:35], s[34:35]
	s_cbranch_execz .LBB14_5079
; %bb.5070:
	v_and_b32_e32 v98, 0x7fffffff, v4
	s_mov_b32 vcc_lo, 0x47800000
	v_cmp_gt_u32_e32 vcc, vcc_lo, v98
                                        ; implicit-def: $vgpr5
	s_and_saveexec_b64 s[36:37], vcc
	s_xor_b64 s[36:37], exec, s[36:37]
	s_cbranch_execz .LBB14_5076
; %bb.5071:
	s_mov_b32 vcc_lo, 0x387fffff
	v_cmp_lt_u32_e32 vcc, vcc_lo, v98
                                        ; implicit-def: $vgpr5
	s_and_saveexec_b64 s[38:39], vcc
	s_xor_b64 vcc, exec, s[38:39]
; %bb.5072:
	v_bfe_u32 v5, v4, 21, 1
	s_mov_b32 s38, 0x80fffff
	v_add3_u32 v5, v4, v5, s38
	v_lshrrev_b32_e32 v5, 21, v5
; %bb.5073:
	s_andn2_saveexec_b64 vcc, vcc
; %bb.5074:
	s_mov_b32 s38, 0x43000000
	v_add_f32_e64 v5, |v4|, s38
; %bb.5075:
	s_or_b64 exec, exec, vcc
                                        ; implicit-def: $vgpr98
.LBB14_5076:
	s_andn2_saveexec_b64 s[36:37], s[36:37]
; %bb.5077:
	s_mov_b32 vcc_lo, 0x7f800000
	v_mov_b32_e32 v5, 0x7c
	v_mov_b32_e32 v99, 0x7f
	v_cmp_lt_u32_e32 vcc, vcc_lo, v98
	v_cndmask_b32_e32 v5, v5, v99, vcc
; %bb.5078:
	s_or_b64 exec, exec, s[36:37]
	v_lshrrev_b32_e32 v4, 24, v4
	s_movk_i32 vcc_lo, 0x80
	v_and_or_b32 v4, v4, vcc_lo, v5
	flat_store_byte v[2:3], v4
.LBB14_5079:
	s_or_b64 exec, exec, s[34:35]
	s_or_b64 s[34:35], s[4:5], exec
                                        ; implicit-def: $vgpr4
                                        ; implicit-def: $vgpr2_vgpr3
.LBB14_5080:
	s_or_saveexec_b64 s[30:31], s[30:31]
	s_mov_b64 vcc, s[26:27]
	s_xor_b64 exec, exec, s[30:31]
	s_cbranch_execz .LBB14_5090
; %bb.5081:
	v_mov_b32_e32 v5, 14
	v_cmp_gt_i16_sdwa vcc, v11, v5 src0_sel:BYTE_0 src1_sel:DWORD
	s_mov_b64 s[36:37], s[34:35]
	s_mov_b64 s[38:39], s[26:27]
	s_and_saveexec_b64 s[40:41], vcc
	s_xor_b64 s[40:41], exec, s[40:41]
	s_cbranch_execz .LBB14_5085
; %bb.5082:
	v_mov_b32_e32 v5, 15
	v_cmp_eq_u16_sdwa s[42:43], v11, v5 src0_sel:BYTE_0 src1_sel:DWORD
	s_mov_b64 s[38:39], -1
	s_mov_b64 vcc, s[34:35]
	s_and_saveexec_b64 s[36:37], s[42:43]
	s_cbranch_execz .LBB14_5084
; %bb.5083:
	v_bfe_u32 v5, v4, 16, 1
	s_movk_i32 vcc_lo, 0x7fff
	v_add3_u32 v5, v4, v5, vcc_lo
	v_lshrrev_b32_e32 v5, 16, v5
	v_mov_b32_e32 v98, 0x7fc0
	v_cmp_o_f32_e32 vcc, v4, v4
	v_cndmask_b32_e32 v4, v98, v5, vcc
	flat_store_short v[2:3], v4
	s_xor_b64 s[38:39], exec, -1
	s_or_b64 vcc, s[34:35], exec
.LBB14_5084:
	s_or_b64 exec, exec, s[36:37]
	s_andn2_b64 s[36:37], s[26:27], exec
	s_and_b64 s[38:39], s[38:39], exec
	s_or_b64 s[38:39], s[36:37], s[38:39]
	s_andn2_b64 s[36:37], s[34:35], exec
	s_and_b64 vcc, vcc, exec
	s_or_b64 s[36:37], s[36:37], vcc
                                        ; implicit-def: $vgpr4
                                        ; implicit-def: $vgpr2_vgpr3
.LBB14_5085:
	s_andn2_saveexec_b64 s[40:41], s[40:41]
	s_cbranch_execz .LBB14_5089
; %bb.5086:
	v_mov_b32_e32 v5, 11
	v_cmp_eq_u16_sdwa s[46:47], v11, v5 src0_sel:BYTE_0 src1_sel:DWORD
	s_mov_b64 s[42:43], -1
	s_mov_b64 vcc, s[36:37]
	s_and_saveexec_b64 s[44:45], s[46:47]
	s_cbranch_execz .LBB14_5088
; %bb.5087:
	v_cmp_neq_f32_e32 vcc, 0, v4
	v_cndmask_b32_e64 v4, 0, 1, vcc
	flat_store_byte v[2:3], v4
	s_xor_b64 s[42:43], exec, -1
	s_or_b64 vcc, s[36:37], exec
.LBB14_5088:
	s_or_b64 exec, exec, s[44:45]
	s_andn2_b64 s[38:39], s[38:39], exec
	s_and_b64 s[42:43], s[42:43], exec
	s_andn2_b64 s[36:37], s[36:37], exec
	s_and_b64 vcc, vcc, exec
	s_or_b64 s[38:39], s[38:39], s[42:43]
	s_or_b64 s[36:37], s[36:37], vcc
.LBB14_5089:
	s_or_b64 exec, exec, s[40:41]
	s_andn2_b64 vcc, s[26:27], exec
	s_and_b64 s[38:39], s[38:39], exec
	s_andn2_b64 s[34:35], s[34:35], exec
	s_and_b64 s[36:37], s[36:37], exec
	s_or_b64 vcc, vcc, s[38:39]
	s_or_b64 s[34:35], s[34:35], s[36:37]
.LBB14_5090:
	s_or_b64 exec, exec, s[30:31]
	s_andn2_b64 s[26:27], s[26:27], exec
	s_and_b64 vcc, vcc, exec
	s_or_b64 s[26:27], s[26:27], vcc
	s_andn2_b64 s[4:5], s[4:5], exec
	s_and_b64 vcc, s[34:35], exec
	s_or_b64 s[4:5], s[4:5], vcc
.LBB14_5091:
	s_or_b64 exec, exec, s[28:29]
	s_andn2_b64 s[28:29], s[18:19], exec
	s_and_b64 s[26:27], s[26:27], exec
	s_or_b64 s[26:27], s[28:29], s[26:27]
	s_and_b64 s[4:5], s[4:5], exec
                                        ; implicit-def: $vgpr4
                                        ; implicit-def: $vgpr2_vgpr3
	s_andn2_saveexec_b64 s[22:23], s[22:23]
	s_cbranch_execz .LBB14_3803
.LBB14_5092:
	v_mov_b32_e32 v5, 4
	v_cmp_gt_i16_sdwa s[28:29], v11, v5 src0_sel:BYTE_0 src1_sel:DWORD
	s_and_saveexec_b64 vcc, s[28:29]
	s_xor_b64 s[28:29], exec, vcc
	s_cbranch_execz .LBB14_5114
; %bb.5093:
	v_mov_b32_e32 v5, 7
	v_cmp_gt_i16_sdwa vcc, v11, v5 src0_sel:BYTE_0 src1_sel:DWORD
	s_and_saveexec_b64 s[30:31], vcc
	s_xor_b64 vcc, exec, s[30:31]
	s_cbranch_execz .LBB14_5103
; %bb.5094:
	v_mov_b32_e32 v5, 8
	v_cmp_gt_i16_sdwa s[30:31], v11, v5 src0_sel:BYTE_0 src1_sel:DWORD
	s_and_saveexec_b64 s[34:35], s[30:31]
	s_xor_b64 s[30:31], exec, s[34:35]
	s_cbranch_execz .LBB14_5100
; %bb.5095:
	v_mov_b32_e32 v5, 9
	v_cmp_gt_i16_sdwa s[34:35], v11, v5 src0_sel:BYTE_0 src1_sel:DWORD
	s_and_saveexec_b64 s[36:37], s[34:35]
	s_xor_b64 s[34:35], exec, s[36:37]
	s_cbranch_execz .LBB14_5097
; %bb.5096:
	v_mov_b32_e32 v100, 0
	v_cvt_f64_f32_e32 v[98:99], v4
	v_mov_b32_e32 v101, v100
	flat_store_dwordx4 v[2:3], v[98:101]
                                        ; implicit-def: $vgpr4
                                        ; implicit-def: $vgpr2_vgpr3
.LBB14_5097:
	s_andn2_saveexec_b64 s[34:35], s[34:35]
	s_cbranch_execz .LBB14_5099
; %bb.5098:
	v_mov_b32_e32 v5, 0
	flat_store_dwordx2 v[2:3], v[4:5]
.LBB14_5099:
	s_or_b64 exec, exec, s[34:35]
                                        ; implicit-def: $vgpr4
                                        ; implicit-def: $vgpr2_vgpr3
.LBB14_5100:
	s_andn2_saveexec_b64 s[30:31], s[30:31]
	s_cbranch_execz .LBB14_5102
; %bb.5101:
	v_cvt_f16_f32_e32 v4, v4
	flat_store_dword v[2:3], v4
.LBB14_5102:
	s_or_b64 exec, exec, s[30:31]
                                        ; implicit-def: $vgpr4
                                        ; implicit-def: $vgpr2_vgpr3
.LBB14_5103:
	s_andn2_saveexec_b64 vcc, vcc
	s_cbranch_execz .LBB14_5113
; %bb.5104:
	v_mov_b32_e32 v5, 5
	v_cmp_gt_i16_sdwa s[30:31], v11, v5 src0_sel:BYTE_0 src1_sel:DWORD
	s_and_saveexec_b64 s[34:35], s[30:31]
	s_xor_b64 s[30:31], exec, s[34:35]
	s_cbranch_execz .LBB14_5110
; %bb.5105:
	v_mov_b32_e32 v5, 6
	v_cmp_gt_i16_sdwa s[34:35], v11, v5 src0_sel:BYTE_0 src1_sel:DWORD
	s_and_saveexec_b64 s[36:37], s[34:35]
	s_xor_b64 s[34:35], exec, s[36:37]
	s_cbranch_execz .LBB14_5107
; %bb.5106:
	v_cvt_f64_f32_e32 v[4:5], v4
	flat_store_dwordx2 v[2:3], v[4:5]
                                        ; implicit-def: $vgpr2_vgpr3
                                        ; implicit-def: $vgpr4
.LBB14_5107:
	s_andn2_saveexec_b64 s[34:35], s[34:35]
	s_cbranch_execz .LBB14_5109
; %bb.5108:
	flat_store_dword v[2:3], v4
.LBB14_5109:
	s_or_b64 exec, exec, s[34:35]
                                        ; implicit-def: $vgpr4
                                        ; implicit-def: $vgpr2_vgpr3
.LBB14_5110:
	s_andn2_saveexec_b64 s[30:31], s[30:31]
	s_cbranch_execz .LBB14_5112
; %bb.5111:
	v_cvt_f16_f32_e32 v4, v4
	flat_store_short v[2:3], v4
.LBB14_5112:
	s_or_b64 exec, exec, s[30:31]
.LBB14_5113:
	s_or_b64 exec, exec, vcc
                                        ; implicit-def: $vgpr4
                                        ; implicit-def: $vgpr2_vgpr3
.LBB14_5114:
	s_andn2_saveexec_b64 s[28:29], s[28:29]
	s_cbranch_execz .LBB14_5132
; %bb.5115:
	v_mov_b32_e32 v5, 1
	v_cmp_gt_i16_sdwa vcc, v11, v5 src0_sel:BYTE_0 src1_sel:DWORD
	s_and_saveexec_b64 s[30:31], vcc
	s_xor_b64 s[30:31], exec, s[30:31]
	s_cbranch_execz .LBB14_5125
; %bb.5116:
	v_mov_b32_e32 v5, 2
	v_cmp_gt_i16_sdwa vcc, v11, v5 src0_sel:BYTE_0 src1_sel:DWORD
	s_and_saveexec_b64 s[34:35], vcc
	s_xor_b64 s[34:35], exec, s[34:35]
	;; [unrolled: 6-line block ×3, first 2 shown]
	s_cbranch_execz .LBB14_5119
; %bb.5118:
	v_trunc_f32_e32 v4, v4
	s_mov_b32 s38, 0x2f800000
	v_mul_f32_e64 v5, |v4|, s38
	v_floor_f32_e32 v5, v5
	s_mov_b32 s38, 0xcf800000
	v_cvt_u32_f32_e32 v98, v5
	v_fma_f32 v5, v5, s38, |v4|
	v_cvt_u32_f32_e32 v5, v5
	v_ashrrev_i32_e32 v99, 31, v4
	v_xor_b32_e32 v98, v98, v99
	v_xor_b32_e32 v4, v5, v99
	v_sub_co_u32_e32 v4, vcc, v4, v99
	v_subb_co_u32_e32 v5, vcc, v98, v99, vcc
	flat_store_dwordx2 v[2:3], v[4:5]
                                        ; implicit-def: $vgpr4
                                        ; implicit-def: $vgpr2_vgpr3
.LBB14_5119:
	s_andn2_saveexec_b64 vcc, s[36:37]
	s_cbranch_execz .LBB14_5121
; %bb.5120:
	v_cvt_i32_f32_e32 v4, v4
	flat_store_dword v[2:3], v4
.LBB14_5121:
	s_or_b64 exec, exec, vcc
                                        ; implicit-def: $vgpr4
                                        ; implicit-def: $vgpr2_vgpr3
.LBB14_5122:
	s_andn2_saveexec_b64 vcc, s[34:35]
	s_cbranch_execz .LBB14_5124
; %bb.5123:
	v_cvt_i32_f32_e32 v4, v4
	flat_store_short v[2:3], v4
.LBB14_5124:
	s_or_b64 exec, exec, vcc
                                        ; implicit-def: $vgpr4
                                        ; implicit-def: $vgpr2_vgpr3
.LBB14_5125:
	s_andn2_saveexec_b64 vcc, s[30:31]
	s_cbranch_execz .LBB14_5131
; %bb.5126:
	v_mov_b32_e32 v5, 0
	v_cmp_gt_i16_sdwa s[30:31], v11, v5 src0_sel:BYTE_0 src1_sel:DWORD
	s_and_saveexec_b64 s[34:35], s[30:31]
	s_xor_b64 s[30:31], exec, s[34:35]
	s_cbranch_execz .LBB14_5128
; %bb.5127:
	v_cvt_i32_f32_e32 v4, v4
	flat_store_byte v[2:3], v4
                                        ; implicit-def: $vgpr4
                                        ; implicit-def: $vgpr2_vgpr3
.LBB14_5128:
	s_andn2_saveexec_b64 s[30:31], s[30:31]
	s_cbranch_execz .LBB14_5130
; %bb.5129:
	v_trunc_f32_e32 v4, v4
	s_mov_b32 s34, 0x2f800000
	v_mul_f32_e64 v5, |v4|, s34
	v_floor_f32_e32 v5, v5
	s_mov_b32 s34, 0xcf800000
	v_fma_f32 v5, v5, s34, |v4|
	v_cvt_u32_f32_e32 v5, v5
	v_ashrrev_i32_e32 v4, 31, v4
	v_xor_b32_e32 v5, v5, v4
	v_sub_u32_e32 v4, v5, v4
	flat_store_byte v[2:3], v4
.LBB14_5130:
	s_or_b64 exec, exec, s[30:31]
.LBB14_5131:
	s_or_b64 exec, exec, vcc
.LBB14_5132:
	s_or_b64 exec, exec, s[28:29]
	s_or_b64 s[4:5], s[4:5], exec
	s_or_b64 exec, exec, s[22:23]
	s_mov_b64 s[28:29], 0
	s_and_saveexec_b64 s[22:23], s[4:5]
	s_cbranch_execnz .LBB14_3804
	s_branch .LBB14_3805
.LBB14_5133:
	v_mov_b32_e32 v5, 25
	v_cmp_gt_i16_sdwa vcc, v11, v5 src0_sel:BYTE_0 src1_sel:DWORD
	s_mov_b64 s[30:31], s[22:23]
	s_and_saveexec_b64 s[34:35], vcc
	s_xor_b64 s[34:35], exec, s[34:35]
	s_cbranch_execz .LBB14_5169
; %bb.5134:
	v_mov_b32_e32 v5, 28
	v_cmp_gt_i16_sdwa vcc, v11, v5 src0_sel:BYTE_0 src1_sel:DWORD
	s_mov_b64 s[36:37], s[22:23]
	s_and_saveexec_b64 s[30:31], vcc
	s_xor_b64 s[30:31], exec, s[30:31]
	s_cbranch_execz .LBB14_5152
; %bb.5135:
	v_mov_b32_e32 v5, 43
	v_cmp_gt_i16_sdwa s[36:37], v11, v5 src0_sel:BYTE_0 src1_sel:DWORD
	s_mov_b64 vcc, s[22:23]
	s_and_saveexec_b64 s[38:39], s[36:37]
	s_xor_b64 s[36:37], exec, s[38:39]
	s_cbranch_execz .LBB14_5147
; %bb.5136:
	v_mov_b32_e32 v5, 45
	v_cmp_gt_i16_sdwa s[4:5], v11, v5 src0_sel:BYTE_0 src1_sel:DWORD
	s_mov_b64 s[38:39], 0
	s_mov_b64 s[40:41], s[22:23]
	s_and_saveexec_b64 vcc, s[4:5]
	s_xor_b64 s[4:5], exec, vcc
	s_cbranch_execz .LBB14_5140
; %bb.5137:
	v_mov_b32_e32 v5, 46
	v_cmp_eq_u16_sdwa s[42:43], v11, v5 src0_sel:BYTE_0 src1_sel:DWORD
	s_mov_b64 vcc, -1
	s_and_saveexec_b64 s[40:41], s[42:43]
	s_cbranch_execz .LBB14_5139
; %bb.5138:
	v_bfe_u32 v5, v4, 16, 1
	s_movk_i32 vcc_lo, 0x7fff
	v_add3_u32 v5, v4, v5, vcc_lo
	v_lshrrev_b32_e32 v5, 16, v5
	v_mov_b32_e32 v96, 0x7fc0
	v_cmp_o_f32_e32 vcc, v4, v4
	v_cndmask_b32_e32 v4, v96, v5, vcc
	s_mov_b64 s[38:39], exec
	flat_store_dword v[2:3], v4
	s_xor_b64 vcc, exec, -1
.LBB14_5139:
	s_or_b64 exec, exec, s[40:41]
	s_andn2_b64 s[40:41], s[22:23], exec
	s_and_b64 vcc, vcc, exec
	s_or_b64 s[40:41], s[40:41], vcc
	s_and_b64 s[38:39], s[38:39], exec
                                        ; implicit-def: $vgpr2_vgpr3
                                        ; implicit-def: $vgpr4
.LBB14_5140:
	s_andn2_saveexec_b64 s[42:43], s[4:5]
	s_cbranch_execz .LBB14_5146
; %bb.5141:
	v_mov_b32_e32 v5, 44
	v_cmp_eq_u16_sdwa s[46:47], v11, v5 src0_sel:BYTE_0 src1_sel:DWORD
	s_mov_b64 vcc, -1
	s_mov_b64 s[4:5], s[38:39]
	s_and_saveexec_b64 s[44:45], s[46:47]
	s_cbranch_execz .LBB14_5145
; %bb.5142:
	v_bfe_u32 v5, v4, 23, 8
	s_movk_i32 s4, 0xff
	v_cmp_ne_u32_e32 vcc, s4, v5
	v_mov_b32_e32 v96, 0xff
	s_and_saveexec_b64 s[46:47], vcc
; %bb.5143:
	s_mov_b32 s4, 0x3fffff
	v_lshrrev_b32_e32 v96, 23, v4
	v_and_b32_e32 v97, 0x400000, v4
	v_and_or_b32 v4, v4, s4, v5
	v_cmp_ne_u32_e32 vcc, 0, v97
	v_cmp_ne_u32_e64 s[4:5], 0, v4
	s_and_b64 s[4:5], vcc, s[4:5]
	v_cndmask_b32_e64 v4, 0, 1, s[4:5]
	v_add_u32_e32 v96, v96, v4
; %bb.5144:
	s_or_b64 exec, exec, s[46:47]
	s_xor_b64 vcc, exec, -1
	s_or_b64 s[4:5], s[38:39], exec
	flat_store_byte v[2:3], v96
.LBB14_5145:
	s_or_b64 exec, exec, s[44:45]
	s_andn2_b64 s[40:41], s[40:41], exec
	s_and_b64 vcc, vcc, exec
	s_or_b64 s[40:41], s[40:41], vcc
	s_andn2_b64 vcc, s[38:39], exec
	s_and_b64 s[4:5], s[4:5], exec
	s_or_b64 s[38:39], vcc, s[4:5]
.LBB14_5146:
	s_or_b64 exec, exec, s[42:43]
	s_andn2_b64 s[4:5], s[22:23], exec
	s_and_b64 vcc, s[40:41], exec
	s_or_b64 vcc, s[4:5], vcc
	s_and_b64 s[4:5], s[38:39], exec
                                        ; implicit-def: $vgpr4
                                        ; implicit-def: $vgpr2_vgpr3
.LBB14_5147:
	s_andn2_saveexec_b64 s[36:37], s[36:37]
	s_cbranch_execz .LBB14_5151
; %bb.5148:
	v_mov_b32_e32 v5, 29
	v_cmp_eq_u16_sdwa s[44:45], v11, v5 src0_sel:BYTE_0 src1_sel:DWORD
	s_mov_b64 s[42:43], -1
	s_mov_b64 s[40:41], s[4:5]
	s_and_saveexec_b64 s[38:39], s[44:45]
	s_cbranch_execz .LBB14_5150
; %bb.5149:
	v_trunc_f32_e32 v4, v4
	v_mul_f32_e32 v5, 0x2f800000, v4
	v_floor_f32_e32 v96, v5
	v_fmac_f32_e32 v4, 0xcf800000, v96
	v_cvt_u32_f32_e32 v5, v96
	v_cvt_u32_f32_e32 v4, v4
	s_xor_b64 s[42:43], exec, -1
	s_or_b64 s[40:41], s[4:5], exec
	flat_store_dwordx2 v[2:3], v[4:5]
.LBB14_5150:
	s_or_b64 exec, exec, s[38:39]
	s_andn2_b64 vcc, vcc, exec
	s_and_b64 s[38:39], s[42:43], exec
	s_or_b64 vcc, vcc, s[38:39]
	s_andn2_b64 s[4:5], s[4:5], exec
	s_and_b64 s[38:39], s[40:41], exec
	s_or_b64 s[4:5], s[4:5], s[38:39]
.LBB14_5151:
	s_or_b64 exec, exec, s[36:37]
	s_andn2_b64 s[36:37], s[22:23], exec
	s_and_b64 vcc, vcc, exec
	s_or_b64 s[36:37], s[36:37], vcc
	s_and_b64 s[4:5], s[4:5], exec
                                        ; implicit-def: $vgpr2_vgpr3
                                        ; implicit-def: $vgpr4
.LBB14_5152:
	s_andn2_saveexec_b64 s[30:31], s[30:31]
	s_cbranch_execz .LBB14_5168
; %bb.5153:
	v_mov_b32_e32 v5, 26
	v_cmp_gt_i16_sdwa vcc, v11, v5 src0_sel:BYTE_0 src1_sel:DWORD
	s_and_saveexec_b64 s[38:39], vcc
	s_xor_b64 vcc, exec, s[38:39]
	s_cbranch_execz .LBB14_5159
; %bb.5154:
	v_cvt_u32_f32_e32 v4, v4
	v_mov_b32_e32 v5, 27
	v_cmp_gt_i16_sdwa s[38:39], v11, v5 src0_sel:BYTE_0 src1_sel:DWORD
	s_and_saveexec_b64 s[40:41], s[38:39]
	s_xor_b64 s[38:39], exec, s[40:41]
	s_cbranch_execz .LBB14_5156
; %bb.5155:
	flat_store_dword v[2:3], v4
                                        ; implicit-def: $vgpr2_vgpr3
                                        ; implicit-def: $vgpr4
.LBB14_5156:
	s_andn2_saveexec_b64 s[38:39], s[38:39]
	s_cbranch_execz .LBB14_5158
; %bb.5157:
	flat_store_short v[2:3], v4
.LBB14_5158:
	s_or_b64 exec, exec, s[38:39]
                                        ; implicit-def: $vgpr2_vgpr3
                                        ; implicit-def: $vgpr4
.LBB14_5159:
	s_andn2_saveexec_b64 s[38:39], vcc
	s_cbranch_execz .LBB14_5167
; %bb.5160:
	v_and_b32_e32 v5, 0x7fffffff, v4
	s_mov_b32 vcc_lo, 0x43800000
	v_cmp_gt_u32_e32 vcc, vcc_lo, v5
	v_mov_b32_e32 v96, 0x80
	s_and_saveexec_b64 s[40:41], vcc
	s_cbranch_execz .LBB14_5166
; %bb.5161:
	s_mov_b32 vcc_lo, 0x3bffffff
	v_cmp_lt_u32_e32 vcc, vcc_lo, v5
	s_mov_b64 s[42:43], 0
                                        ; implicit-def: $vgpr5
	s_and_saveexec_b64 s[44:45], vcc
	s_xor_b64 vcc, exec, s[44:45]
	s_cbranch_execnz .LBB14_5881
; %bb.5162:
	s_or_saveexec_b64 s[44:45], vcc
                                        ; implicit-def: $sgpr46
	s_xor_b64 exec, exec, s[44:45]
	s_cbranch_execnz .LBB14_5882
.LBB14_5163:
	s_or_b64 exec, exec, s[44:45]
	v_mov_b32_e32 v96, s46
	s_and_saveexec_b64 vcc, s[42:43]
.LBB14_5164:
	v_lshrrev_b32_e32 v4, 24, v4
	s_movk_i32 s42, 0x80
	v_and_or_b32 v96, v4, s42, v5
.LBB14_5165:
	s_or_b64 exec, exec, vcc
.LBB14_5166:
	s_or_b64 exec, exec, s[40:41]
	flat_store_byte v[2:3], v96
.LBB14_5167:
	s_or_b64 exec, exec, s[38:39]
	s_or_b64 s[4:5], s[4:5], exec
.LBB14_5168:
	s_or_b64 exec, exec, s[30:31]
	s_andn2_b64 vcc, s[22:23], exec
	s_and_b64 s[30:31], s[36:37], exec
	s_or_b64 s[30:31], vcc, s[30:31]
	s_and_b64 s[4:5], s[4:5], exec
                                        ; implicit-def: $vgpr4
                                        ; implicit-def: $vgpr2_vgpr3
.LBB14_5169:
	s_andn2_saveexec_b64 s[34:35], s[34:35]
	s_cbranch_execz .LBB14_5213
; %bb.5170:
	v_mov_b32_e32 v5, 22
	v_cmp_gt_i16_sdwa vcc, v11, v5 src0_sel:BYTE_0 src1_sel:DWORD
	s_mov_b64 s[38:39], s[4:5]
	s_and_saveexec_b64 s[36:37], vcc
	s_xor_b64 s[36:37], exec, s[36:37]
	s_cbranch_execz .LBB14_5202
; %bb.5171:
	v_mov_b32_e32 v5, 23
	v_cmp_gt_i16_sdwa vcc, v11, v5 src0_sel:BYTE_0 src1_sel:DWORD
	s_and_saveexec_b64 s[38:39], vcc
	s_xor_b64 s[38:39], exec, s[38:39]
	s_cbranch_execz .LBB14_5191
; %bb.5172:
	v_mov_b32_e32 v5, 24
	v_cmp_gt_i16_sdwa vcc, v11, v5 src0_sel:BYTE_0 src1_sel:DWORD
	s_and_saveexec_b64 s[40:41], vcc
	s_xor_b64 s[40:41], exec, s[40:41]
	s_cbranch_execz .LBB14_5180
; %bb.5173:
	v_and_b32_e32 v5, 0x7fffffff, v4
	s_mov_b32 vcc_lo, 0x47800000
	v_cmp_gt_u32_e32 vcc, vcc_lo, v5
	v_mov_b32_e32 v96, 0x80
	s_and_saveexec_b64 s[42:43], vcc
	s_cbranch_execz .LBB14_5179
; %bb.5174:
	s_mov_b32 vcc_lo, 0x37ffffff
	v_cmp_lt_u32_e32 vcc, vcc_lo, v5
	s_mov_b64 s[44:45], 0
                                        ; implicit-def: $vgpr5
	s_and_saveexec_b64 s[46:47], vcc
	s_xor_b64 vcc, exec, s[46:47]
	s_cbranch_execnz .LBB14_6005
; %bb.5175:
	s_or_saveexec_b64 s[46:47], vcc
                                        ; implicit-def: $sgpr48
	s_xor_b64 exec, exec, s[46:47]
	s_cbranch_execnz .LBB14_6006
.LBB14_5176:
	s_or_b64 exec, exec, s[46:47]
	v_mov_b32_e32 v96, s48
	s_and_saveexec_b64 vcc, s[44:45]
.LBB14_5177:
	v_lshrrev_b32_e32 v4, 24, v4
	s_movk_i32 s44, 0x80
	v_and_or_b32 v96, v4, s44, v5
.LBB14_5178:
	s_or_b64 exec, exec, vcc
.LBB14_5179:
	s_or_b64 exec, exec, s[42:43]
	flat_store_byte v[2:3], v96
                                        ; implicit-def: $vgpr4
                                        ; implicit-def: $vgpr2_vgpr3
.LBB14_5180:
	s_andn2_saveexec_b64 s[40:41], s[40:41]
	s_cbranch_execz .LBB14_5190
; %bb.5181:
	v_and_b32_e32 v96, 0x7fffffff, v4
	s_mov_b32 vcc_lo, 0x43f00000
	v_cmp_gt_u32_e32 vcc, vcc_lo, v96
                                        ; implicit-def: $vgpr5
	s_and_saveexec_b64 s[42:43], vcc
	s_xor_b64 s[42:43], exec, s[42:43]
	s_cbranch_execz .LBB14_5187
; %bb.5182:
	s_mov_b32 vcc_lo, 0x3c7fffff
	v_cmp_lt_u32_e32 vcc, vcc_lo, v96
                                        ; implicit-def: $vgpr5
	s_and_saveexec_b64 s[44:45], vcc
	s_xor_b64 s[44:45], exec, s[44:45]
; %bb.5183:
	v_bfe_u32 v5, v4, 20, 1
	s_mov_b32 vcc_lo, 0x407ffff
	v_add3_u32 v5, v4, v5, vcc_lo
	v_lshrrev_b32_e32 v96, 20, v5
	v_and_b32_e32 v5, 0xff00000, v5
	s_mov_b32 vcc_lo, 0x7f00000
	v_mov_b32_e32 v97, 0x7e
	v_cmp_ne_u32_e32 vcc, vcc_lo, v5
	v_cndmask_b32_e32 v5, v97, v96, vcc
; %bb.5184:
	s_andn2_saveexec_b64 vcc, s[44:45]
; %bb.5185:
	s_mov_b32 s44, 0x46800000
	v_add_f32_e64 v5, |v4|, s44
; %bb.5186:
	s_or_b64 exec, exec, vcc
                                        ; implicit-def: $vgpr96
.LBB14_5187:
	s_andn2_saveexec_b64 s[42:43], s[42:43]
; %bb.5188:
	s_mov_b32 vcc_lo, 0x7f800000
	v_mov_b32_e32 v5, 0x7e
	v_mov_b32_e32 v97, 0x7f
	v_cmp_lt_u32_e32 vcc, vcc_lo, v96
	v_cndmask_b32_e32 v5, v5, v97, vcc
; %bb.5189:
	s_or_b64 exec, exec, s[42:43]
	v_lshrrev_b32_e32 v4, 24, v4
	s_movk_i32 vcc_lo, 0x80
	v_and_or_b32 v4, v4, vcc_lo, v5
	flat_store_byte v[2:3], v4
.LBB14_5190:
	s_or_b64 exec, exec, s[40:41]
                                        ; implicit-def: $vgpr4
                                        ; implicit-def: $vgpr2_vgpr3
.LBB14_5191:
	s_andn2_saveexec_b64 s[38:39], s[38:39]
	s_cbranch_execz .LBB14_5201
; %bb.5192:
	v_and_b32_e32 v96, 0x7fffffff, v4
	s_mov_b32 vcc_lo, 0x47800000
	v_cmp_gt_u32_e32 vcc, vcc_lo, v96
                                        ; implicit-def: $vgpr5
	s_and_saveexec_b64 s[40:41], vcc
	s_xor_b64 s[40:41], exec, s[40:41]
	s_cbranch_execz .LBB14_5198
; %bb.5193:
	s_mov_b32 vcc_lo, 0x387fffff
	v_cmp_lt_u32_e32 vcc, vcc_lo, v96
                                        ; implicit-def: $vgpr5
	s_and_saveexec_b64 s[42:43], vcc
	s_xor_b64 vcc, exec, s[42:43]
; %bb.5194:
	v_bfe_u32 v5, v4, 21, 1
	s_mov_b32 s42, 0x80fffff
	v_add3_u32 v5, v4, v5, s42
	v_lshrrev_b32_e32 v5, 21, v5
; %bb.5195:
	s_andn2_saveexec_b64 vcc, vcc
; %bb.5196:
	s_mov_b32 s42, 0x43000000
	v_add_f32_e64 v5, |v4|, s42
; %bb.5197:
	s_or_b64 exec, exec, vcc
                                        ; implicit-def: $vgpr96
.LBB14_5198:
	s_andn2_saveexec_b64 s[40:41], s[40:41]
; %bb.5199:
	s_mov_b32 vcc_lo, 0x7f800000
	v_mov_b32_e32 v5, 0x7c
	v_mov_b32_e32 v97, 0x7f
	v_cmp_lt_u32_e32 vcc, vcc_lo, v96
	v_cndmask_b32_e32 v5, v5, v97, vcc
; %bb.5200:
	s_or_b64 exec, exec, s[40:41]
	v_lshrrev_b32_e32 v4, 24, v4
	s_movk_i32 vcc_lo, 0x80
	v_and_or_b32 v4, v4, vcc_lo, v5
	flat_store_byte v[2:3], v4
.LBB14_5201:
	s_or_b64 exec, exec, s[38:39]
	s_or_b64 s[38:39], s[4:5], exec
                                        ; implicit-def: $vgpr4
                                        ; implicit-def: $vgpr2_vgpr3
.LBB14_5202:
	s_or_saveexec_b64 s[36:37], s[36:37]
	s_mov_b64 vcc, s[30:31]
	s_xor_b64 exec, exec, s[36:37]
	s_cbranch_execz .LBB14_5212
; %bb.5203:
	v_mov_b32_e32 v5, 14
	v_cmp_gt_i16_sdwa vcc, v11, v5 src0_sel:BYTE_0 src1_sel:DWORD
	s_mov_b64 s[40:41], s[38:39]
	s_mov_b64 s[42:43], s[30:31]
	s_and_saveexec_b64 s[44:45], vcc
	s_xor_b64 s[44:45], exec, s[44:45]
	s_cbranch_execz .LBB14_5207
; %bb.5204:
	v_mov_b32_e32 v5, 15
	v_cmp_eq_u16_sdwa s[46:47], v11, v5 src0_sel:BYTE_0 src1_sel:DWORD
	s_mov_b64 s[42:43], -1
	s_mov_b64 vcc, s[38:39]
	s_and_saveexec_b64 s[40:41], s[46:47]
	s_cbranch_execz .LBB14_5206
; %bb.5205:
	v_bfe_u32 v5, v4, 16, 1
	s_movk_i32 vcc_lo, 0x7fff
	v_add3_u32 v5, v4, v5, vcc_lo
	v_lshrrev_b32_e32 v5, 16, v5
	v_mov_b32_e32 v96, 0x7fc0
	v_cmp_o_f32_e32 vcc, v4, v4
	v_cndmask_b32_e32 v4, v96, v5, vcc
	flat_store_short v[2:3], v4
	s_xor_b64 s[42:43], exec, -1
	s_or_b64 vcc, s[38:39], exec
.LBB14_5206:
	s_or_b64 exec, exec, s[40:41]
	s_andn2_b64 s[40:41], s[30:31], exec
	s_and_b64 s[42:43], s[42:43], exec
	s_or_b64 s[42:43], s[40:41], s[42:43]
	s_andn2_b64 s[40:41], s[38:39], exec
	s_and_b64 vcc, vcc, exec
	s_or_b64 s[40:41], s[40:41], vcc
                                        ; implicit-def: $vgpr4
                                        ; implicit-def: $vgpr2_vgpr3
.LBB14_5207:
	s_andn2_saveexec_b64 s[44:45], s[44:45]
	s_cbranch_execz .LBB14_5211
; %bb.5208:
	v_mov_b32_e32 v5, 11
	v_cmp_eq_u16_sdwa s[50:51], v11, v5 src0_sel:BYTE_0 src1_sel:DWORD
	s_mov_b64 s[46:47], -1
	s_mov_b64 vcc, s[40:41]
	s_and_saveexec_b64 s[48:49], s[50:51]
	s_cbranch_execz .LBB14_5210
; %bb.5209:
	v_cmp_neq_f32_e32 vcc, 0, v4
	v_cndmask_b32_e64 v4, 0, 1, vcc
	flat_store_byte v[2:3], v4
	s_xor_b64 s[46:47], exec, -1
	s_or_b64 vcc, s[40:41], exec
.LBB14_5210:
	s_or_b64 exec, exec, s[48:49]
	s_andn2_b64 s[42:43], s[42:43], exec
	s_and_b64 s[46:47], s[46:47], exec
	s_andn2_b64 s[40:41], s[40:41], exec
	s_and_b64 vcc, vcc, exec
	s_or_b64 s[42:43], s[42:43], s[46:47]
	s_or_b64 s[40:41], s[40:41], vcc
.LBB14_5211:
	s_or_b64 exec, exec, s[44:45]
	s_andn2_b64 vcc, s[30:31], exec
	s_and_b64 s[42:43], s[42:43], exec
	s_andn2_b64 s[38:39], s[38:39], exec
	s_and_b64 s[40:41], s[40:41], exec
	s_or_b64 vcc, vcc, s[42:43]
	s_or_b64 s[38:39], s[38:39], s[40:41]
.LBB14_5212:
	s_or_b64 exec, exec, s[36:37]
	s_andn2_b64 s[30:31], s[30:31], exec
	s_and_b64 vcc, vcc, exec
	s_or_b64 s[30:31], s[30:31], vcc
	s_andn2_b64 s[4:5], s[4:5], exec
	s_and_b64 vcc, s[38:39], exec
	s_or_b64 s[4:5], s[4:5], vcc
.LBB14_5213:
	s_or_b64 exec, exec, s[34:35]
	s_andn2_b64 vcc, s[22:23], exec
	s_and_b64 s[30:31], s[30:31], exec
	s_or_b64 s[30:31], vcc, s[30:31]
	s_and_b64 s[4:5], s[4:5], exec
                                        ; implicit-def: $vgpr4
                                        ; implicit-def: $vgpr2_vgpr3
	s_andn2_saveexec_b64 s[26:27], s[26:27]
	s_cbranch_execz .LBB14_3810
.LBB14_5214:
	v_mov_b32_e32 v5, 4
	v_cmp_gt_i16_sdwa vcc, v11, v5 src0_sel:BYTE_0 src1_sel:DWORD
	s_and_saveexec_b64 s[34:35], vcc
	s_xor_b64 vcc, exec, s[34:35]
	s_cbranch_execz .LBB14_5236
; %bb.5215:
	v_mov_b32_e32 v5, 7
	v_cmp_gt_i16_sdwa s[34:35], v11, v5 src0_sel:BYTE_0 src1_sel:DWORD
	s_and_saveexec_b64 s[36:37], s[34:35]
	s_xor_b64 s[34:35], exec, s[36:37]
	s_cbranch_execz .LBB14_5225
; %bb.5216:
	v_mov_b32_e32 v5, 8
	v_cmp_gt_i16_sdwa s[36:37], v11, v5 src0_sel:BYTE_0 src1_sel:DWORD
	s_and_saveexec_b64 s[38:39], s[36:37]
	s_xor_b64 s[36:37], exec, s[38:39]
	;; [unrolled: 6-line block ×3, first 2 shown]
	s_cbranch_execz .LBB14_5219
; %bb.5218:
	v_mov_b32_e32 v98, 0
	v_cvt_f64_f32_e32 v[96:97], v4
	v_mov_b32_e32 v99, v98
	flat_store_dwordx4 v[2:3], v[96:99]
                                        ; implicit-def: $vgpr4
                                        ; implicit-def: $vgpr2_vgpr3
.LBB14_5219:
	s_andn2_saveexec_b64 s[38:39], s[38:39]
	s_cbranch_execz .LBB14_5221
; %bb.5220:
	v_mov_b32_e32 v5, 0
	flat_store_dwordx2 v[2:3], v[4:5]
.LBB14_5221:
	s_or_b64 exec, exec, s[38:39]
                                        ; implicit-def: $vgpr4
                                        ; implicit-def: $vgpr2_vgpr3
.LBB14_5222:
	s_andn2_saveexec_b64 s[36:37], s[36:37]
	s_cbranch_execz .LBB14_5224
; %bb.5223:
	v_cvt_f16_f32_e32 v4, v4
	flat_store_dword v[2:3], v4
.LBB14_5224:
	s_or_b64 exec, exec, s[36:37]
                                        ; implicit-def: $vgpr4
                                        ; implicit-def: $vgpr2_vgpr3
.LBB14_5225:
	s_andn2_saveexec_b64 s[34:35], s[34:35]
	s_cbranch_execz .LBB14_5235
; %bb.5226:
	v_mov_b32_e32 v5, 5
	v_cmp_gt_i16_sdwa s[36:37], v11, v5 src0_sel:BYTE_0 src1_sel:DWORD
	s_and_saveexec_b64 s[38:39], s[36:37]
	s_xor_b64 s[36:37], exec, s[38:39]
	s_cbranch_execz .LBB14_5232
; %bb.5227:
	v_mov_b32_e32 v5, 6
	v_cmp_gt_i16_sdwa s[38:39], v11, v5 src0_sel:BYTE_0 src1_sel:DWORD
	s_and_saveexec_b64 s[40:41], s[38:39]
	s_xor_b64 s[38:39], exec, s[40:41]
	s_cbranch_execz .LBB14_5229
; %bb.5228:
	v_cvt_f64_f32_e32 v[4:5], v4
	flat_store_dwordx2 v[2:3], v[4:5]
                                        ; implicit-def: $vgpr2_vgpr3
                                        ; implicit-def: $vgpr4
.LBB14_5229:
	s_andn2_saveexec_b64 s[38:39], s[38:39]
	s_cbranch_execz .LBB14_5231
; %bb.5230:
	flat_store_dword v[2:3], v4
.LBB14_5231:
	s_or_b64 exec, exec, s[38:39]
                                        ; implicit-def: $vgpr4
                                        ; implicit-def: $vgpr2_vgpr3
.LBB14_5232:
	s_andn2_saveexec_b64 s[36:37], s[36:37]
	s_cbranch_execz .LBB14_5234
; %bb.5233:
	v_cvt_f16_f32_e32 v4, v4
	flat_store_short v[2:3], v4
.LBB14_5234:
	s_or_b64 exec, exec, s[36:37]
.LBB14_5235:
	s_or_b64 exec, exec, s[34:35]
                                        ; implicit-def: $vgpr4
                                        ; implicit-def: $vgpr2_vgpr3
.LBB14_5236:
	s_andn2_saveexec_b64 s[34:35], vcc
	s_cbranch_execz .LBB14_5254
; %bb.5237:
	v_mov_b32_e32 v5, 1
	v_cmp_gt_i16_sdwa vcc, v11, v5 src0_sel:BYTE_0 src1_sel:DWORD
	s_and_saveexec_b64 s[36:37], vcc
	s_xor_b64 s[36:37], exec, s[36:37]
	s_cbranch_execz .LBB14_5247
; %bb.5238:
	v_mov_b32_e32 v5, 2
	v_cmp_gt_i16_sdwa vcc, v11, v5 src0_sel:BYTE_0 src1_sel:DWORD
	s_and_saveexec_b64 s[38:39], vcc
	s_xor_b64 s[38:39], exec, s[38:39]
	;; [unrolled: 6-line block ×3, first 2 shown]
	s_cbranch_execz .LBB14_5241
; %bb.5240:
	v_trunc_f32_e32 v4, v4
	s_mov_b32 s42, 0x2f800000
	v_mul_f32_e64 v5, |v4|, s42
	v_floor_f32_e32 v5, v5
	s_mov_b32 s42, 0xcf800000
	v_cvt_u32_f32_e32 v96, v5
	v_fma_f32 v5, v5, s42, |v4|
	v_cvt_u32_f32_e32 v5, v5
	v_ashrrev_i32_e32 v97, 31, v4
	v_xor_b32_e32 v96, v96, v97
	v_xor_b32_e32 v4, v5, v97
	v_sub_co_u32_e32 v4, vcc, v4, v97
	v_subb_co_u32_e32 v5, vcc, v96, v97, vcc
	flat_store_dwordx2 v[2:3], v[4:5]
                                        ; implicit-def: $vgpr4
                                        ; implicit-def: $vgpr2_vgpr3
.LBB14_5241:
	s_andn2_saveexec_b64 vcc, s[40:41]
	s_cbranch_execz .LBB14_5243
; %bb.5242:
	v_cvt_i32_f32_e32 v4, v4
	flat_store_dword v[2:3], v4
.LBB14_5243:
	s_or_b64 exec, exec, vcc
                                        ; implicit-def: $vgpr4
                                        ; implicit-def: $vgpr2_vgpr3
.LBB14_5244:
	s_andn2_saveexec_b64 vcc, s[38:39]
	s_cbranch_execz .LBB14_5246
; %bb.5245:
	v_cvt_i32_f32_e32 v4, v4
	flat_store_short v[2:3], v4
.LBB14_5246:
	s_or_b64 exec, exec, vcc
                                        ; implicit-def: $vgpr4
                                        ; implicit-def: $vgpr2_vgpr3
.LBB14_5247:
	s_andn2_saveexec_b64 vcc, s[36:37]
	s_cbranch_execz .LBB14_5253
; %bb.5248:
	v_mov_b32_e32 v5, 0
	v_cmp_gt_i16_sdwa s[36:37], v11, v5 src0_sel:BYTE_0 src1_sel:DWORD
	s_and_saveexec_b64 s[38:39], s[36:37]
	s_xor_b64 s[36:37], exec, s[38:39]
	s_cbranch_execz .LBB14_5250
; %bb.5249:
	v_cvt_i32_f32_e32 v4, v4
	flat_store_byte v[2:3], v4
                                        ; implicit-def: $vgpr4
                                        ; implicit-def: $vgpr2_vgpr3
.LBB14_5250:
	s_andn2_saveexec_b64 s[36:37], s[36:37]
	s_cbranch_execz .LBB14_5252
; %bb.5251:
	v_trunc_f32_e32 v4, v4
	s_mov_b32 s38, 0x2f800000
	v_mul_f32_e64 v5, |v4|, s38
	v_floor_f32_e32 v5, v5
	s_mov_b32 s38, 0xcf800000
	v_fma_f32 v5, v5, s38, |v4|
	v_cvt_u32_f32_e32 v5, v5
	v_ashrrev_i32_e32 v4, 31, v4
	v_xor_b32_e32 v5, v5, v4
	v_sub_u32_e32 v4, v5, v4
	flat_store_byte v[2:3], v4
.LBB14_5252:
	s_or_b64 exec, exec, s[36:37]
.LBB14_5253:
	s_or_b64 exec, exec, vcc
.LBB14_5254:
	s_or_b64 exec, exec, s[34:35]
	s_or_b64 s[4:5], s[4:5], exec
	s_or_b64 exec, exec, s[26:27]
	s_mov_b64 vcc, 0
	s_and_saveexec_b64 s[26:27], s[4:5]
	s_cbranch_execnz .LBB14_3811
	s_branch .LBB14_3812
.LBB14_5255:
	v_bfe_u32 v5, v4, 20, 1
	s_mov_b32 vcc_lo, 0x487ffff
	v_add3_u32 v5, v4, v5, vcc_lo
	s_mov_b64 s[26:27], exec
	v_lshrrev_b32_e32 v5, 20, v5
	s_or_saveexec_b64 s[28:29], s[28:29]
                                        ; implicit-def: $sgpr30
	s_xor_b64 exec, exec, s[28:29]
	s_cbranch_execz .LBB14_3688
.LBB14_5256:
	s_mov_b32 s30, 0x46000000
	v_add_f32_e64 v5, |v4|, s30
	v_and_b32_e32 v5, 0xff, v5
	v_cmp_ne_u32_e32 vcc, 0, v5
	s_andn2_b64 s[26:27], s[26:27], exec
	s_and_b64 vcc, vcc, exec
	s_mov_b32 s30, 0
	s_or_b64 s[26:27], s[26:27], vcc
	s_or_b64 exec, exec, s[28:29]
	v_mov_b32_e32 v13, s30
	s_and_saveexec_b64 s[28:29], s[26:27]
	s_cbranch_execnz .LBB14_3689
	s_branch .LBB14_3690
.LBB14_5257:
	v_mov_b32_e32 v5, 25
	v_cmp_gt_i16_sdwa vcc, v11, v5 src0_sel:BYTE_0 src1_sel:DWORD
	s_mov_b64 s[36:37], s[26:27]
	s_and_saveexec_b64 s[38:39], vcc
	s_xor_b64 s[38:39], exec, s[38:39]
	s_cbranch_execz .LBB14_5293
; %bb.5258:
	v_mov_b32_e32 v5, 28
	v_cmp_gt_i16_sdwa vcc, v11, v5 src0_sel:BYTE_0 src1_sel:DWORD
	s_mov_b64 s[40:41], s[26:27]
	s_and_saveexec_b64 s[36:37], vcc
	s_xor_b64 s[36:37], exec, s[36:37]
	s_cbranch_execz .LBB14_5276
; %bb.5259:
	v_mov_b32_e32 v5, 43
	v_cmp_gt_i16_sdwa s[40:41], v11, v5 src0_sel:BYTE_0 src1_sel:DWORD
	s_mov_b64 vcc, s[26:27]
	s_and_saveexec_b64 s[42:43], s[40:41]
	s_xor_b64 s[40:41], exec, s[42:43]
	s_cbranch_execz .LBB14_5271
; %bb.5260:
	v_mov_b32_e32 v5, 45
	v_cmp_gt_i16_sdwa s[4:5], v11, v5 src0_sel:BYTE_0 src1_sel:DWORD
	s_mov_b64 s[42:43], 0
	s_mov_b64 s[44:45], s[26:27]
	s_and_saveexec_b64 vcc, s[4:5]
	s_xor_b64 s[4:5], exec, vcc
	s_cbranch_execz .LBB14_5264
; %bb.5261:
	v_mov_b32_e32 v5, 46
	v_cmp_eq_u16_sdwa s[46:47], v11, v5 src0_sel:BYTE_0 src1_sel:DWORD
	s_mov_b64 vcc, -1
	s_and_saveexec_b64 s[44:45], s[46:47]
	s_cbranch_execz .LBB14_5263
; %bb.5262:
	v_bfe_u32 v5, v4, 16, 1
	s_movk_i32 vcc_lo, 0x7fff
	v_add3_u32 v5, v4, v5, vcc_lo
	v_lshrrev_b32_e32 v5, 16, v5
	v_mov_b32_e32 v86, 0x7fc0
	v_cmp_o_f32_e32 vcc, v4, v4
	v_cndmask_b32_e32 v4, v86, v5, vcc
	s_mov_b64 s[42:43], exec
	flat_store_dword v[2:3], v4
	s_xor_b64 vcc, exec, -1
.LBB14_5263:
	s_or_b64 exec, exec, s[44:45]
	s_andn2_b64 s[44:45], s[26:27], exec
	s_and_b64 vcc, vcc, exec
	s_or_b64 s[44:45], s[44:45], vcc
	s_and_b64 s[42:43], s[42:43], exec
                                        ; implicit-def: $vgpr2_vgpr3
                                        ; implicit-def: $vgpr4
.LBB14_5264:
	s_andn2_saveexec_b64 s[46:47], s[4:5]
	s_cbranch_execz .LBB14_5270
; %bb.5265:
	v_mov_b32_e32 v5, 44
	v_cmp_eq_u16_sdwa s[50:51], v11, v5 src0_sel:BYTE_0 src1_sel:DWORD
	s_mov_b64 vcc, -1
	s_mov_b64 s[4:5], s[42:43]
	s_and_saveexec_b64 s[48:49], s[50:51]
	s_cbranch_execz .LBB14_5269
; %bb.5266:
	v_bfe_u32 v5, v4, 23, 8
	s_movk_i32 s4, 0xff
	v_cmp_ne_u32_e32 vcc, s4, v5
	v_mov_b32_e32 v86, 0xff
	s_and_saveexec_b64 s[50:51], vcc
; %bb.5267:
	s_mov_b32 s4, 0x3fffff
	v_lshrrev_b32_e32 v86, 23, v4
	v_and_b32_e32 v87, 0x400000, v4
	v_and_or_b32 v4, v4, s4, v5
	v_cmp_ne_u32_e32 vcc, 0, v87
	v_cmp_ne_u32_e64 s[4:5], 0, v4
	s_and_b64 s[4:5], vcc, s[4:5]
	v_cndmask_b32_e64 v4, 0, 1, s[4:5]
	v_add_u32_e32 v86, v86, v4
; %bb.5268:
	s_or_b64 exec, exec, s[50:51]
	s_xor_b64 vcc, exec, -1
	s_or_b64 s[4:5], s[42:43], exec
	flat_store_byte v[2:3], v86
.LBB14_5269:
	s_or_b64 exec, exec, s[48:49]
	s_andn2_b64 s[44:45], s[44:45], exec
	s_and_b64 vcc, vcc, exec
	s_or_b64 s[44:45], s[44:45], vcc
	s_andn2_b64 vcc, s[42:43], exec
	s_and_b64 s[4:5], s[4:5], exec
	s_or_b64 s[42:43], vcc, s[4:5]
.LBB14_5270:
	s_or_b64 exec, exec, s[46:47]
	s_andn2_b64 s[4:5], s[26:27], exec
	s_and_b64 vcc, s[44:45], exec
	s_or_b64 vcc, s[4:5], vcc
	s_and_b64 s[4:5], s[42:43], exec
                                        ; implicit-def: $vgpr4
                                        ; implicit-def: $vgpr2_vgpr3
.LBB14_5271:
	s_andn2_saveexec_b64 s[40:41], s[40:41]
	s_cbranch_execz .LBB14_5275
; %bb.5272:
	v_mov_b32_e32 v5, 29
	v_cmp_eq_u16_sdwa s[48:49], v11, v5 src0_sel:BYTE_0 src1_sel:DWORD
	s_mov_b64 s[46:47], -1
	s_mov_b64 s[44:45], s[4:5]
	s_and_saveexec_b64 s[42:43], s[48:49]
	s_cbranch_execz .LBB14_5274
; %bb.5273:
	v_trunc_f32_e32 v4, v4
	v_mul_f32_e32 v5, 0x2f800000, v4
	v_floor_f32_e32 v86, v5
	v_fmac_f32_e32 v4, 0xcf800000, v86
	v_cvt_u32_f32_e32 v5, v86
	v_cvt_u32_f32_e32 v4, v4
	s_xor_b64 s[46:47], exec, -1
	s_or_b64 s[44:45], s[4:5], exec
	flat_store_dwordx2 v[2:3], v[4:5]
.LBB14_5274:
	s_or_b64 exec, exec, s[42:43]
	s_andn2_b64 vcc, vcc, exec
	s_and_b64 s[42:43], s[46:47], exec
	s_or_b64 vcc, vcc, s[42:43]
	s_andn2_b64 s[4:5], s[4:5], exec
	s_and_b64 s[42:43], s[44:45], exec
	s_or_b64 s[4:5], s[4:5], s[42:43]
.LBB14_5275:
	s_or_b64 exec, exec, s[40:41]
	s_andn2_b64 s[40:41], s[26:27], exec
	s_and_b64 vcc, vcc, exec
	s_or_b64 s[40:41], s[40:41], vcc
	s_and_b64 s[4:5], s[4:5], exec
                                        ; implicit-def: $vgpr2_vgpr3
                                        ; implicit-def: $vgpr4
.LBB14_5276:
	s_andn2_saveexec_b64 s[36:37], s[36:37]
	s_cbranch_execz .LBB14_5292
; %bb.5277:
	v_mov_b32_e32 v5, 26
	v_cmp_gt_i16_sdwa vcc, v11, v5 src0_sel:BYTE_0 src1_sel:DWORD
	s_and_saveexec_b64 s[42:43], vcc
	s_xor_b64 vcc, exec, s[42:43]
	s_cbranch_execz .LBB14_5283
; %bb.5278:
	v_cvt_u32_f32_e32 v4, v4
	v_mov_b32_e32 v5, 27
	v_cmp_gt_i16_sdwa s[42:43], v11, v5 src0_sel:BYTE_0 src1_sel:DWORD
	s_and_saveexec_b64 s[44:45], s[42:43]
	s_xor_b64 s[42:43], exec, s[44:45]
	s_cbranch_execz .LBB14_5280
; %bb.5279:
	flat_store_dword v[2:3], v4
                                        ; implicit-def: $vgpr2_vgpr3
                                        ; implicit-def: $vgpr4
.LBB14_5280:
	s_andn2_saveexec_b64 s[42:43], s[42:43]
	s_cbranch_execz .LBB14_5282
; %bb.5281:
	flat_store_short v[2:3], v4
.LBB14_5282:
	s_or_b64 exec, exec, s[42:43]
                                        ; implicit-def: $vgpr2_vgpr3
                                        ; implicit-def: $vgpr4
.LBB14_5283:
	s_andn2_saveexec_b64 s[42:43], vcc
	s_cbranch_execz .LBB14_5291
; %bb.5284:
	v_and_b32_e32 v5, 0x7fffffff, v4
	s_mov_b32 vcc_lo, 0x43800000
	v_cmp_gt_u32_e32 vcc, vcc_lo, v5
	v_mov_b32_e32 v86, 0x80
	s_and_saveexec_b64 s[44:45], vcc
	s_cbranch_execz .LBB14_5290
; %bb.5285:
	s_mov_b32 vcc_lo, 0x3bffffff
	v_cmp_lt_u32_e32 vcc, vcc_lo, v5
	s_mov_b64 s[46:47], 0
                                        ; implicit-def: $vgpr5
	s_and_saveexec_b64 s[48:49], vcc
	s_xor_b64 vcc, exec, s[48:49]
	s_cbranch_execnz .LBB14_6007
; %bb.5286:
	s_or_saveexec_b64 s[48:49], vcc
                                        ; implicit-def: $sgpr50
	s_xor_b64 exec, exec, s[48:49]
	s_cbranch_execnz .LBB14_6008
.LBB14_5287:
	s_or_b64 exec, exec, s[48:49]
	v_mov_b32_e32 v86, s50
	s_and_saveexec_b64 vcc, s[46:47]
.LBB14_5288:
	v_lshrrev_b32_e32 v4, 24, v4
	s_movk_i32 s46, 0x80
	v_and_or_b32 v86, v4, s46, v5
.LBB14_5289:
	s_or_b64 exec, exec, vcc
.LBB14_5290:
	s_or_b64 exec, exec, s[44:45]
	flat_store_byte v[2:3], v86
.LBB14_5291:
	s_or_b64 exec, exec, s[42:43]
	s_or_b64 s[4:5], s[4:5], exec
.LBB14_5292:
	s_or_b64 exec, exec, s[36:37]
	s_andn2_b64 vcc, s[26:27], exec
	s_and_b64 s[36:37], s[40:41], exec
	s_or_b64 s[36:37], vcc, s[36:37]
	s_and_b64 s[4:5], s[4:5], exec
                                        ; implicit-def: $vgpr4
                                        ; implicit-def: $vgpr2_vgpr3
.LBB14_5293:
	s_andn2_saveexec_b64 s[38:39], s[38:39]
	s_cbranch_execz .LBB14_5337
; %bb.5294:
	v_mov_b32_e32 v5, 22
	v_cmp_gt_i16_sdwa vcc, v11, v5 src0_sel:BYTE_0 src1_sel:DWORD
	s_mov_b64 s[42:43], s[4:5]
	s_and_saveexec_b64 s[40:41], vcc
	s_xor_b64 s[40:41], exec, s[40:41]
	s_cbranch_execz .LBB14_5326
; %bb.5295:
	v_mov_b32_e32 v5, 23
	v_cmp_gt_i16_sdwa vcc, v11, v5 src0_sel:BYTE_0 src1_sel:DWORD
	s_and_saveexec_b64 s[42:43], vcc
	s_xor_b64 s[42:43], exec, s[42:43]
	s_cbranch_execz .LBB14_5315
; %bb.5296:
	v_mov_b32_e32 v5, 24
	v_cmp_gt_i16_sdwa vcc, v11, v5 src0_sel:BYTE_0 src1_sel:DWORD
	s_and_saveexec_b64 s[44:45], vcc
	s_xor_b64 s[44:45], exec, s[44:45]
	s_cbranch_execz .LBB14_5304
; %bb.5297:
	v_and_b32_e32 v5, 0x7fffffff, v4
	s_mov_b32 vcc_lo, 0x47800000
	v_cmp_gt_u32_e32 vcc, vcc_lo, v5
	v_mov_b32_e32 v86, 0x80
	s_and_saveexec_b64 s[46:47], vcc
	s_cbranch_execz .LBB14_5303
; %bb.5298:
	s_mov_b32 vcc_lo, 0x37ffffff
	v_cmp_lt_u32_e32 vcc, vcc_lo, v5
	s_mov_b64 s[48:49], 0
                                        ; implicit-def: $vgpr5
	s_and_saveexec_b64 s[50:51], vcc
	s_xor_b64 vcc, exec, s[50:51]
	s_cbranch_execnz .LBB14_6131
; %bb.5299:
	s_or_saveexec_b64 s[50:51], vcc
                                        ; implicit-def: $sgpr52
	s_xor_b64 exec, exec, s[50:51]
	s_cbranch_execnz .LBB14_6132
.LBB14_5300:
	s_or_b64 exec, exec, s[50:51]
	v_mov_b32_e32 v86, s52
	s_and_saveexec_b64 vcc, s[48:49]
.LBB14_5301:
	v_lshrrev_b32_e32 v4, 24, v4
	s_movk_i32 s48, 0x80
	v_and_or_b32 v86, v4, s48, v5
.LBB14_5302:
	s_or_b64 exec, exec, vcc
.LBB14_5303:
	s_or_b64 exec, exec, s[46:47]
	flat_store_byte v[2:3], v86
                                        ; implicit-def: $vgpr4
                                        ; implicit-def: $vgpr2_vgpr3
.LBB14_5304:
	s_andn2_saveexec_b64 s[44:45], s[44:45]
	s_cbranch_execz .LBB14_5314
; %bb.5305:
	v_and_b32_e32 v86, 0x7fffffff, v4
	s_mov_b32 vcc_lo, 0x43f00000
	v_cmp_gt_u32_e32 vcc, vcc_lo, v86
                                        ; implicit-def: $vgpr5
	s_and_saveexec_b64 s[46:47], vcc
	s_xor_b64 s[46:47], exec, s[46:47]
	s_cbranch_execz .LBB14_5311
; %bb.5306:
	s_mov_b32 vcc_lo, 0x3c7fffff
	v_cmp_lt_u32_e32 vcc, vcc_lo, v86
                                        ; implicit-def: $vgpr5
	s_and_saveexec_b64 s[48:49], vcc
	s_xor_b64 s[48:49], exec, s[48:49]
; %bb.5307:
	v_bfe_u32 v5, v4, 20, 1
	s_mov_b32 vcc_lo, 0x407ffff
	v_add3_u32 v5, v4, v5, vcc_lo
	v_lshrrev_b32_e32 v86, 20, v5
	v_and_b32_e32 v5, 0xff00000, v5
	s_mov_b32 vcc_lo, 0x7f00000
	v_mov_b32_e32 v87, 0x7e
	v_cmp_ne_u32_e32 vcc, vcc_lo, v5
	v_cndmask_b32_e32 v5, v87, v86, vcc
; %bb.5308:
	s_andn2_saveexec_b64 vcc, s[48:49]
; %bb.5309:
	s_mov_b32 s48, 0x46800000
	v_add_f32_e64 v5, |v4|, s48
; %bb.5310:
	s_or_b64 exec, exec, vcc
                                        ; implicit-def: $vgpr86
.LBB14_5311:
	s_andn2_saveexec_b64 s[46:47], s[46:47]
; %bb.5312:
	s_mov_b32 vcc_lo, 0x7f800000
	v_mov_b32_e32 v5, 0x7e
	v_mov_b32_e32 v87, 0x7f
	v_cmp_lt_u32_e32 vcc, vcc_lo, v86
	v_cndmask_b32_e32 v5, v5, v87, vcc
; %bb.5313:
	s_or_b64 exec, exec, s[46:47]
	v_lshrrev_b32_e32 v4, 24, v4
	s_movk_i32 vcc_lo, 0x80
	v_and_or_b32 v4, v4, vcc_lo, v5
	flat_store_byte v[2:3], v4
.LBB14_5314:
	s_or_b64 exec, exec, s[44:45]
                                        ; implicit-def: $vgpr4
                                        ; implicit-def: $vgpr2_vgpr3
.LBB14_5315:
	s_andn2_saveexec_b64 s[42:43], s[42:43]
	s_cbranch_execz .LBB14_5325
; %bb.5316:
	v_and_b32_e32 v86, 0x7fffffff, v4
	s_mov_b32 vcc_lo, 0x47800000
	v_cmp_gt_u32_e32 vcc, vcc_lo, v86
                                        ; implicit-def: $vgpr5
	s_and_saveexec_b64 s[44:45], vcc
	s_xor_b64 s[44:45], exec, s[44:45]
	s_cbranch_execz .LBB14_5322
; %bb.5317:
	s_mov_b32 vcc_lo, 0x387fffff
	v_cmp_lt_u32_e32 vcc, vcc_lo, v86
                                        ; implicit-def: $vgpr5
	s_and_saveexec_b64 s[46:47], vcc
	s_xor_b64 vcc, exec, s[46:47]
; %bb.5318:
	v_bfe_u32 v5, v4, 21, 1
	s_mov_b32 s46, 0x80fffff
	v_add3_u32 v5, v4, v5, s46
	v_lshrrev_b32_e32 v5, 21, v5
; %bb.5319:
	s_andn2_saveexec_b64 vcc, vcc
; %bb.5320:
	s_mov_b32 s46, 0x43000000
	v_add_f32_e64 v5, |v4|, s46
; %bb.5321:
	s_or_b64 exec, exec, vcc
                                        ; implicit-def: $vgpr86
.LBB14_5322:
	s_andn2_saveexec_b64 s[44:45], s[44:45]
; %bb.5323:
	s_mov_b32 vcc_lo, 0x7f800000
	v_mov_b32_e32 v5, 0x7c
	v_mov_b32_e32 v87, 0x7f
	v_cmp_lt_u32_e32 vcc, vcc_lo, v86
	v_cndmask_b32_e32 v5, v5, v87, vcc
; %bb.5324:
	s_or_b64 exec, exec, s[44:45]
	v_lshrrev_b32_e32 v4, 24, v4
	s_movk_i32 vcc_lo, 0x80
	v_and_or_b32 v4, v4, vcc_lo, v5
	flat_store_byte v[2:3], v4
.LBB14_5325:
	s_or_b64 exec, exec, s[42:43]
	s_or_b64 s[42:43], s[4:5], exec
                                        ; implicit-def: $vgpr4
                                        ; implicit-def: $vgpr2_vgpr3
.LBB14_5326:
	s_or_saveexec_b64 s[40:41], s[40:41]
	s_mov_b64 vcc, s[36:37]
	s_xor_b64 exec, exec, s[40:41]
	s_cbranch_execz .LBB14_5336
; %bb.5327:
	v_mov_b32_e32 v5, 14
	v_cmp_gt_i16_sdwa vcc, v11, v5 src0_sel:BYTE_0 src1_sel:DWORD
	s_mov_b64 s[44:45], s[42:43]
	s_mov_b64 s[46:47], s[36:37]
	s_and_saveexec_b64 s[48:49], vcc
	s_xor_b64 s[48:49], exec, s[48:49]
	s_cbranch_execz .LBB14_5331
; %bb.5328:
	v_mov_b32_e32 v5, 15
	v_cmp_eq_u16_sdwa s[50:51], v11, v5 src0_sel:BYTE_0 src1_sel:DWORD
	s_mov_b64 s[46:47], -1
	s_mov_b64 vcc, s[42:43]
	s_and_saveexec_b64 s[44:45], s[50:51]
	s_cbranch_execz .LBB14_5330
; %bb.5329:
	v_bfe_u32 v5, v4, 16, 1
	s_movk_i32 vcc_lo, 0x7fff
	v_add3_u32 v5, v4, v5, vcc_lo
	v_lshrrev_b32_e32 v5, 16, v5
	v_mov_b32_e32 v86, 0x7fc0
	v_cmp_o_f32_e32 vcc, v4, v4
	v_cndmask_b32_e32 v4, v86, v5, vcc
	flat_store_short v[2:3], v4
	s_xor_b64 s[46:47], exec, -1
	s_or_b64 vcc, s[42:43], exec
.LBB14_5330:
	s_or_b64 exec, exec, s[44:45]
	s_andn2_b64 s[44:45], s[36:37], exec
	s_and_b64 s[46:47], s[46:47], exec
	s_or_b64 s[46:47], s[44:45], s[46:47]
	s_andn2_b64 s[44:45], s[42:43], exec
	s_and_b64 vcc, vcc, exec
	s_or_b64 s[44:45], s[44:45], vcc
                                        ; implicit-def: $vgpr4
                                        ; implicit-def: $vgpr2_vgpr3
.LBB14_5331:
	s_andn2_saveexec_b64 s[48:49], s[48:49]
	s_cbranch_execz .LBB14_5335
; %bb.5332:
	v_mov_b32_e32 v5, 11
	v_cmp_eq_u16_sdwa s[54:55], v11, v5 src0_sel:BYTE_0 src1_sel:DWORD
	s_mov_b64 s[50:51], -1
	s_mov_b64 vcc, s[44:45]
	s_and_saveexec_b64 s[52:53], s[54:55]
	s_cbranch_execz .LBB14_5334
; %bb.5333:
	v_cmp_neq_f32_e32 vcc, 0, v4
	v_cndmask_b32_e64 v4, 0, 1, vcc
	flat_store_byte v[2:3], v4
	s_xor_b64 s[50:51], exec, -1
	s_or_b64 vcc, s[44:45], exec
.LBB14_5334:
	s_or_b64 exec, exec, s[52:53]
	s_andn2_b64 s[46:47], s[46:47], exec
	s_and_b64 s[50:51], s[50:51], exec
	s_andn2_b64 s[44:45], s[44:45], exec
	s_and_b64 vcc, vcc, exec
	s_or_b64 s[46:47], s[46:47], s[50:51]
	s_or_b64 s[44:45], s[44:45], vcc
.LBB14_5335:
	s_or_b64 exec, exec, s[48:49]
	s_andn2_b64 vcc, s[36:37], exec
	s_and_b64 s[46:47], s[46:47], exec
	s_andn2_b64 s[42:43], s[42:43], exec
	s_and_b64 s[44:45], s[44:45], exec
	s_or_b64 vcc, vcc, s[46:47]
	s_or_b64 s[42:43], s[42:43], s[44:45]
.LBB14_5336:
	s_or_b64 exec, exec, s[40:41]
	s_andn2_b64 s[36:37], s[36:37], exec
	s_and_b64 vcc, vcc, exec
	s_or_b64 s[36:37], s[36:37], vcc
	s_andn2_b64 s[4:5], s[4:5], exec
	s_and_b64 vcc, s[42:43], exec
	s_or_b64 s[4:5], s[4:5], vcc
.LBB14_5337:
	s_or_b64 exec, exec, s[38:39]
	s_andn2_b64 vcc, s[26:27], exec
	s_and_b64 s[36:37], s[36:37], exec
	s_or_b64 s[36:37], vcc, s[36:37]
	s_and_b64 s[4:5], s[4:5], exec
                                        ; implicit-def: $vgpr4
                                        ; implicit-def: $vgpr2_vgpr3
	s_andn2_saveexec_b64 s[34:35], s[34:35]
	s_cbranch_execz .LBB14_3817
.LBB14_5338:
	v_mov_b32_e32 v5, 4
	v_cmp_gt_i16_sdwa vcc, v11, v5 src0_sel:BYTE_0 src1_sel:DWORD
	s_and_saveexec_b64 s[38:39], vcc
	s_xor_b64 vcc, exec, s[38:39]
	s_cbranch_execz .LBB14_5360
; %bb.5339:
	v_mov_b32_e32 v5, 7
	v_cmp_gt_i16_sdwa s[38:39], v11, v5 src0_sel:BYTE_0 src1_sel:DWORD
	s_and_saveexec_b64 s[40:41], s[38:39]
	s_xor_b64 s[38:39], exec, s[40:41]
	s_cbranch_execz .LBB14_5349
; %bb.5340:
	v_mov_b32_e32 v5, 8
	v_cmp_gt_i16_sdwa s[40:41], v11, v5 src0_sel:BYTE_0 src1_sel:DWORD
	s_and_saveexec_b64 s[42:43], s[40:41]
	s_xor_b64 s[40:41], exec, s[42:43]
	s_cbranch_execz .LBB14_5346
; %bb.5341:
	v_mov_b32_e32 v5, 9
	v_cmp_gt_i16_sdwa s[42:43], v11, v5 src0_sel:BYTE_0 src1_sel:DWORD
	s_and_saveexec_b64 s[44:45], s[42:43]
	s_xor_b64 s[42:43], exec, s[44:45]
	s_cbranch_execz .LBB14_5343
; %bb.5342:
	v_mov_b32_e32 v98, 0
	v_cvt_f64_f32_e32 v[96:97], v4
	v_mov_b32_e32 v99, v98
	flat_store_dwordx4 v[2:3], v[96:99]
                                        ; implicit-def: $vgpr4
                                        ; implicit-def: $vgpr2_vgpr3
.LBB14_5343:
	s_andn2_saveexec_b64 s[42:43], s[42:43]
	s_cbranch_execz .LBB14_5345
; %bb.5344:
	v_mov_b32_e32 v5, 0
	flat_store_dwordx2 v[2:3], v[4:5]
.LBB14_5345:
	s_or_b64 exec, exec, s[42:43]
                                        ; implicit-def: $vgpr4
                                        ; implicit-def: $vgpr2_vgpr3
.LBB14_5346:
	s_andn2_saveexec_b64 s[40:41], s[40:41]
	s_cbranch_execz .LBB14_5348
; %bb.5347:
	v_cvt_f16_f32_e32 v4, v4
	flat_store_dword v[2:3], v4
.LBB14_5348:
	s_or_b64 exec, exec, s[40:41]
                                        ; implicit-def: $vgpr4
                                        ; implicit-def: $vgpr2_vgpr3
.LBB14_5349:
	s_andn2_saveexec_b64 s[38:39], s[38:39]
	s_cbranch_execz .LBB14_5359
; %bb.5350:
	v_mov_b32_e32 v5, 5
	v_cmp_gt_i16_sdwa s[40:41], v11, v5 src0_sel:BYTE_0 src1_sel:DWORD
	s_and_saveexec_b64 s[42:43], s[40:41]
	s_xor_b64 s[40:41], exec, s[42:43]
	s_cbranch_execz .LBB14_5356
; %bb.5351:
	v_mov_b32_e32 v5, 6
	v_cmp_gt_i16_sdwa s[42:43], v11, v5 src0_sel:BYTE_0 src1_sel:DWORD
	s_and_saveexec_b64 s[44:45], s[42:43]
	s_xor_b64 s[42:43], exec, s[44:45]
	s_cbranch_execz .LBB14_5353
; %bb.5352:
	v_cvt_f64_f32_e32 v[4:5], v4
	flat_store_dwordx2 v[2:3], v[4:5]
                                        ; implicit-def: $vgpr2_vgpr3
                                        ; implicit-def: $vgpr4
.LBB14_5353:
	s_andn2_saveexec_b64 s[42:43], s[42:43]
	s_cbranch_execz .LBB14_5355
; %bb.5354:
	flat_store_dword v[2:3], v4
.LBB14_5355:
	s_or_b64 exec, exec, s[42:43]
                                        ; implicit-def: $vgpr4
                                        ; implicit-def: $vgpr2_vgpr3
.LBB14_5356:
	s_andn2_saveexec_b64 s[40:41], s[40:41]
	s_cbranch_execz .LBB14_5358
; %bb.5357:
	v_cvt_f16_f32_e32 v4, v4
	flat_store_short v[2:3], v4
.LBB14_5358:
	s_or_b64 exec, exec, s[40:41]
.LBB14_5359:
	s_or_b64 exec, exec, s[38:39]
                                        ; implicit-def: $vgpr4
                                        ; implicit-def: $vgpr2_vgpr3
.LBB14_5360:
	s_andn2_saveexec_b64 s[38:39], vcc
	s_cbranch_execz .LBB14_5378
; %bb.5361:
	v_mov_b32_e32 v5, 1
	v_cmp_gt_i16_sdwa vcc, v11, v5 src0_sel:BYTE_0 src1_sel:DWORD
	s_and_saveexec_b64 s[40:41], vcc
	s_xor_b64 s[40:41], exec, s[40:41]
	s_cbranch_execz .LBB14_5371
; %bb.5362:
	v_mov_b32_e32 v5, 2
	v_cmp_gt_i16_sdwa vcc, v11, v5 src0_sel:BYTE_0 src1_sel:DWORD
	s_and_saveexec_b64 s[42:43], vcc
	s_xor_b64 s[42:43], exec, s[42:43]
	;; [unrolled: 6-line block ×3, first 2 shown]
	s_cbranch_execz .LBB14_5365
; %bb.5364:
	v_trunc_f32_e32 v4, v4
	s_mov_b32 s46, 0x2f800000
	v_mul_f32_e64 v5, |v4|, s46
	v_floor_f32_e32 v5, v5
	s_mov_b32 s46, 0xcf800000
	v_cvt_u32_f32_e32 v86, v5
	v_fma_f32 v5, v5, s46, |v4|
	v_cvt_u32_f32_e32 v5, v5
	v_ashrrev_i32_e32 v87, 31, v4
	v_xor_b32_e32 v86, v86, v87
	v_xor_b32_e32 v4, v5, v87
	v_sub_co_u32_e32 v4, vcc, v4, v87
	v_subb_co_u32_e32 v5, vcc, v86, v87, vcc
	flat_store_dwordx2 v[2:3], v[4:5]
                                        ; implicit-def: $vgpr4
                                        ; implicit-def: $vgpr2_vgpr3
.LBB14_5365:
	s_andn2_saveexec_b64 vcc, s[44:45]
	s_cbranch_execz .LBB14_5367
; %bb.5366:
	v_cvt_i32_f32_e32 v4, v4
	flat_store_dword v[2:3], v4
.LBB14_5367:
	s_or_b64 exec, exec, vcc
                                        ; implicit-def: $vgpr4
                                        ; implicit-def: $vgpr2_vgpr3
.LBB14_5368:
	s_andn2_saveexec_b64 vcc, s[42:43]
	s_cbranch_execz .LBB14_5370
; %bb.5369:
	v_cvt_i32_f32_e32 v4, v4
	flat_store_short v[2:3], v4
.LBB14_5370:
	s_or_b64 exec, exec, vcc
                                        ; implicit-def: $vgpr4
                                        ; implicit-def: $vgpr2_vgpr3
.LBB14_5371:
	s_andn2_saveexec_b64 vcc, s[40:41]
	s_cbranch_execz .LBB14_5377
; %bb.5372:
	v_mov_b32_e32 v5, 0
	v_cmp_gt_i16_sdwa s[40:41], v11, v5 src0_sel:BYTE_0 src1_sel:DWORD
	s_and_saveexec_b64 s[42:43], s[40:41]
	s_xor_b64 s[40:41], exec, s[42:43]
	s_cbranch_execz .LBB14_5374
; %bb.5373:
	v_cvt_i32_f32_e32 v4, v4
	flat_store_byte v[2:3], v4
                                        ; implicit-def: $vgpr4
                                        ; implicit-def: $vgpr2_vgpr3
.LBB14_5374:
	s_andn2_saveexec_b64 s[40:41], s[40:41]
	s_cbranch_execz .LBB14_5376
; %bb.5375:
	v_trunc_f32_e32 v4, v4
	s_mov_b32 s42, 0x2f800000
	v_mul_f32_e64 v5, |v4|, s42
	v_floor_f32_e32 v5, v5
	s_mov_b32 s42, 0xcf800000
	v_fma_f32 v5, v5, s42, |v4|
	v_cvt_u32_f32_e32 v5, v5
	v_ashrrev_i32_e32 v4, 31, v4
	v_xor_b32_e32 v5, v5, v4
	v_sub_u32_e32 v4, v5, v4
	flat_store_byte v[2:3], v4
.LBB14_5376:
	s_or_b64 exec, exec, s[40:41]
.LBB14_5377:
	s_or_b64 exec, exec, vcc
.LBB14_5378:
	s_or_b64 exec, exec, s[38:39]
	s_or_b64 s[4:5], s[4:5], exec
	s_or_b64 exec, exec, s[34:35]
	s_mov_b64 vcc, 0
	s_and_saveexec_b64 s[34:35], s[4:5]
	s_cbranch_execnz .LBB14_3818
	s_branch .LBB14_3819
.LBB14_5379:
	v_bfe_u32 v5, v4, 21, 1
	s_mov_b32 s30, 0x88fffff
	v_add3_u32 v5, v4, v5, s30
	s_mov_b64 s[28:29], exec
	v_lshrrev_b32_e32 v5, 21, v5
	s_or_saveexec_b64 s[30:31], vcc
                                        ; implicit-def: $sgpr34
	s_xor_b64 exec, exec, s[30:31]
	s_cbranch_execz .LBB14_3701
.LBB14_5380:
	s_mov_b32 s34, 0x42800000
	v_add_f32_e64 v5, |v4|, s34
	v_and_b32_e32 v5, 0xff, v5
	v_cmp_ne_u32_e32 vcc, 0, v5
	s_andn2_b64 s[28:29], s[28:29], exec
	s_and_b64 vcc, vcc, exec
	s_mov_b32 s34, 0
	s_or_b64 s[28:29], s[28:29], vcc
	s_or_b64 exec, exec, s[30:31]
	v_mov_b32_e32 v13, s34
	s_and_saveexec_b64 vcc, s[28:29]
	s_cbranch_execnz .LBB14_3702
	s_branch .LBB14_3703
.LBB14_5381:
	v_mov_b32_e32 v5, 25
	v_cmp_gt_i16_sdwa vcc, v11, v5 src0_sel:BYTE_0 src1_sel:DWORD
	s_mov_b64 s[40:41], s[4:5]
	s_and_saveexec_b64 s[42:43], vcc
	s_xor_b64 s[42:43], exec, s[42:43]
	s_cbranch_execz .LBB14_5417
; %bb.5382:
	v_mov_b32_e32 v5, 28
	v_cmp_gt_i16_sdwa vcc, v11, v5 src0_sel:BYTE_0 src1_sel:DWORD
	s_mov_b64 s[44:45], 0
	s_mov_b64 s[40:41], s[4:5]
	s_and_saveexec_b64 s[38:39], vcc
	s_xor_b64 s[38:39], exec, s[38:39]
	s_cbranch_execz .LBB14_5400
; %bb.5383:
	v_mov_b32_e32 v5, 43
	v_cmp_gt_i16_sdwa s[40:41], v11, v5 src0_sel:BYTE_0 src1_sel:DWORD
	s_mov_b64 vcc, 0
	s_mov_b64 s[46:47], s[4:5]
	s_and_saveexec_b64 s[44:45], s[40:41]
	s_xor_b64 s[40:41], exec, s[44:45]
	s_cbranch_execz .LBB14_5395
; %bb.5384:
	v_mov_b32_e32 v5, 45
	v_cmp_gt_i16_sdwa vcc, v11, v5 src0_sel:BYTE_0 src1_sel:DWORD
	s_mov_b64 s[44:45], 0
	s_mov_b64 s[46:47], s[4:5]
	s_and_saveexec_b64 s[48:49], vcc
	s_xor_b64 s[48:49], exec, s[48:49]
	s_cbranch_execz .LBB14_5388
; %bb.5385:
	v_mov_b32_e32 v5, 46
	v_cmp_eq_u16_sdwa s[50:51], v11, v5 src0_sel:BYTE_0 src1_sel:DWORD
	s_mov_b64 vcc, -1
	s_and_saveexec_b64 s[46:47], s[50:51]
	s_cbranch_execz .LBB14_5387
; %bb.5386:
	v_bfe_u32 v5, v4, 16, 1
	s_movk_i32 vcc_lo, 0x7fff
	v_add3_u32 v5, v4, v5, vcc_lo
	v_lshrrev_b32_e32 v5, 16, v5
	v_mov_b32_e32 v84, 0x7fc0
	v_cmp_o_f32_e32 vcc, v4, v4
	v_cndmask_b32_e32 v4, v84, v5, vcc
	s_mov_b64 s[44:45], exec
	flat_store_dword v[2:3], v4
	s_xor_b64 vcc, exec, -1
.LBB14_5387:
	s_or_b64 exec, exec, s[46:47]
	s_andn2_b64 s[46:47], s[4:5], exec
	s_and_b64 vcc, vcc, exec
	s_or_b64 s[46:47], s[46:47], vcc
	s_and_b64 s[44:45], s[44:45], exec
                                        ; implicit-def: $vgpr2_vgpr3
                                        ; implicit-def: $vgpr4
.LBB14_5388:
	s_andn2_saveexec_b64 s[48:49], s[48:49]
	s_cbranch_execz .LBB14_5394
; %bb.5389:
	v_mov_b32_e32 v5, 44
	v_cmp_eq_u16_sdwa s[52:53], v11, v5 src0_sel:BYTE_0 src1_sel:DWORD
	s_mov_b64 s[54:55], -1
	s_mov_b64 vcc, s[44:45]
	s_and_saveexec_b64 s[50:51], s[52:53]
	s_cbranch_execz .LBB14_5393
; %bb.5390:
	s_mov_b64 s[52:53], s[4:5]
	v_bfe_u32 v5, v4, 23, 8
	s_movk_i32 s4, 0xff
	v_cmp_ne_u32_e32 vcc, s4, v5
	v_mov_b32_e32 v84, 0xff
	s_and_saveexec_b64 s[54:55], vcc
; %bb.5391:
	s_mov_b32 s4, 0x3fffff
	v_lshrrev_b32_e32 v84, 23, v4
	v_and_b32_e32 v85, 0x400000, v4
	v_and_or_b32 v4, v4, s4, v5
	v_cmp_ne_u32_e32 vcc, 0, v85
	v_cmp_ne_u32_e64 s[4:5], 0, v4
	s_and_b64 s[4:5], vcc, s[4:5]
	v_cndmask_b32_e64 v4, 0, 1, s[4:5]
	v_add_u32_e32 v84, v84, v4
; %bb.5392:
	s_or_b64 exec, exec, s[54:55]
	s_xor_b64 s[54:55], exec, -1
	s_or_b64 vcc, s[44:45], exec
	s_mov_b64 s[4:5], s[52:53]
	flat_store_byte v[2:3], v84
.LBB14_5393:
	s_or_b64 exec, exec, s[50:51]
	s_andn2_b64 s[46:47], s[46:47], exec
	s_and_b64 s[50:51], s[54:55], exec
	s_andn2_b64 s[44:45], s[44:45], exec
	s_and_b64 vcc, vcc, exec
	s_or_b64 s[46:47], s[46:47], s[50:51]
	s_or_b64 s[44:45], s[44:45], vcc
.LBB14_5394:
	s_or_b64 exec, exec, s[48:49]
	s_andn2_b64 vcc, s[4:5], exec
	s_and_b64 s[46:47], s[46:47], exec
	s_or_b64 s[46:47], vcc, s[46:47]
	s_and_b64 vcc, s[44:45], exec
                                        ; implicit-def: $vgpr4
                                        ; implicit-def: $vgpr2_vgpr3
.LBB14_5395:
	s_andn2_saveexec_b64 s[40:41], s[40:41]
	s_cbranch_execz .LBB14_5399
; %bb.5396:
	v_mov_b32_e32 v5, 29
	v_cmp_eq_u16_sdwa s[52:53], v11, v5 src0_sel:BYTE_0 src1_sel:DWORD
	s_mov_b64 s[50:51], -1
	s_mov_b64 s[48:49], vcc
	s_and_saveexec_b64 s[44:45], s[52:53]
	s_cbranch_execz .LBB14_5398
; %bb.5397:
	v_trunc_f32_e32 v4, v4
	v_mul_f32_e32 v5, 0x2f800000, v4
	v_floor_f32_e32 v84, v5
	v_fmac_f32_e32 v4, 0xcf800000, v84
	v_cvt_u32_f32_e32 v5, v84
	v_cvt_u32_f32_e32 v4, v4
	s_xor_b64 s[50:51], exec, -1
	s_or_b64 s[48:49], vcc, exec
	flat_store_dwordx2 v[2:3], v[4:5]
.LBB14_5398:
	s_or_b64 exec, exec, s[44:45]
	s_andn2_b64 s[44:45], s[46:47], exec
	s_and_b64 s[46:47], s[50:51], exec
	s_or_b64 s[46:47], s[44:45], s[46:47]
	s_andn2_b64 vcc, vcc, exec
	s_and_b64 s[44:45], s[48:49], exec
	s_or_b64 vcc, vcc, s[44:45]
.LBB14_5399:
	s_or_b64 exec, exec, s[40:41]
	s_andn2_b64 s[40:41], s[4:5], exec
	s_and_b64 s[44:45], s[46:47], exec
	s_or_b64 s[40:41], s[40:41], s[44:45]
	s_and_b64 s[44:45], vcc, exec
                                        ; implicit-def: $vgpr2_vgpr3
                                        ; implicit-def: $vgpr4
.LBB14_5400:
	s_andn2_saveexec_b64 s[38:39], s[38:39]
	s_cbranch_execz .LBB14_5416
; %bb.5401:
	v_mov_b32_e32 v5, 26
	v_cmp_gt_i16_sdwa vcc, v11, v5 src0_sel:BYTE_0 src1_sel:DWORD
	s_and_saveexec_b64 s[46:47], vcc
	s_xor_b64 vcc, exec, s[46:47]
	s_cbranch_execz .LBB14_5407
; %bb.5402:
	v_cvt_u32_f32_e32 v4, v4
	v_mov_b32_e32 v5, 27
	v_cmp_gt_i16_sdwa s[46:47], v11, v5 src0_sel:BYTE_0 src1_sel:DWORD
	s_and_saveexec_b64 s[48:49], s[46:47]
	s_xor_b64 s[46:47], exec, s[48:49]
	s_cbranch_execz .LBB14_5404
; %bb.5403:
	flat_store_dword v[2:3], v4
                                        ; implicit-def: $vgpr2_vgpr3
                                        ; implicit-def: $vgpr4
.LBB14_5404:
	s_andn2_saveexec_b64 s[46:47], s[46:47]
	s_cbranch_execz .LBB14_5406
; %bb.5405:
	flat_store_short v[2:3], v4
.LBB14_5406:
	s_or_b64 exec, exec, s[46:47]
                                        ; implicit-def: $vgpr2_vgpr3
                                        ; implicit-def: $vgpr4
.LBB14_5407:
	s_andn2_saveexec_b64 s[46:47], vcc
	s_cbranch_execz .LBB14_5415
; %bb.5408:
	v_and_b32_e32 v5, 0x7fffffff, v4
	s_mov_b32 vcc_lo, 0x43800000
	v_cmp_gt_u32_e32 vcc, vcc_lo, v5
	v_mov_b32_e32 v84, 0x80
	s_and_saveexec_b64 s[48:49], vcc
	s_cbranch_execz .LBB14_5414
; %bb.5409:
	s_mov_b32 vcc_lo, 0x3bffffff
	v_cmp_lt_u32_e32 vcc, vcc_lo, v5
	s_mov_b64 s[50:51], 0
                                        ; implicit-def: $vgpr5
	s_and_saveexec_b64 s[52:53], vcc
	s_xor_b64 vcc, exec, s[52:53]
	s_cbranch_execnz .LBB14_6133
; %bb.5410:
	s_or_saveexec_b64 s[52:53], vcc
                                        ; implicit-def: $sgpr54
	s_xor_b64 exec, exec, s[52:53]
	s_cbranch_execnz .LBB14_6134
.LBB14_5411:
	s_or_b64 exec, exec, s[52:53]
	v_mov_b32_e32 v84, s54
	s_and_saveexec_b64 vcc, s[50:51]
.LBB14_5412:
	v_lshrrev_b32_e32 v4, 24, v4
	s_movk_i32 s50, 0x80
	v_and_or_b32 v84, v4, s50, v5
.LBB14_5413:
	s_or_b64 exec, exec, vcc
.LBB14_5414:
	s_or_b64 exec, exec, s[48:49]
	flat_store_byte v[2:3], v84
.LBB14_5415:
	s_or_b64 exec, exec, s[46:47]
	s_or_b64 s[44:45], s[44:45], exec
.LBB14_5416:
	s_or_b64 exec, exec, s[38:39]
	s_andn2_b64 vcc, s[4:5], exec
	s_and_b64 s[38:39], s[40:41], exec
	s_or_b64 s[40:41], vcc, s[38:39]
	s_and_b64 s[38:39], s[44:45], exec
                                        ; implicit-def: $vgpr4
                                        ; implicit-def: $vgpr2_vgpr3
.LBB14_5417:
	s_andn2_saveexec_b64 s[42:43], s[42:43]
	s_cbranch_execz .LBB14_5461
; %bb.5418:
	v_mov_b32_e32 v5, 22
	v_cmp_gt_i16_sdwa vcc, v11, v5 src0_sel:BYTE_0 src1_sel:DWORD
	s_mov_b64 s[46:47], s[38:39]
	s_and_saveexec_b64 s[44:45], vcc
	s_xor_b64 s[44:45], exec, s[44:45]
	s_cbranch_execz .LBB14_5450
; %bb.5419:
	v_mov_b32_e32 v5, 23
	v_cmp_gt_i16_sdwa vcc, v11, v5 src0_sel:BYTE_0 src1_sel:DWORD
	s_and_saveexec_b64 s[46:47], vcc
	s_xor_b64 s[46:47], exec, s[46:47]
	s_cbranch_execz .LBB14_5439
; %bb.5420:
	v_mov_b32_e32 v5, 24
	v_cmp_gt_i16_sdwa vcc, v11, v5 src0_sel:BYTE_0 src1_sel:DWORD
	s_and_saveexec_b64 s[48:49], vcc
	s_xor_b64 s[48:49], exec, s[48:49]
	s_cbranch_execz .LBB14_5428
; %bb.5421:
	v_and_b32_e32 v5, 0x7fffffff, v4
	s_mov_b32 vcc_lo, 0x47800000
	v_cmp_gt_u32_e32 vcc, vcc_lo, v5
	v_mov_b32_e32 v84, 0x80
	s_and_saveexec_b64 s[50:51], vcc
	s_cbranch_execz .LBB14_5427
; %bb.5422:
	s_mov_b32 vcc_lo, 0x37ffffff
	v_cmp_lt_u32_e32 vcc, vcc_lo, v5
	s_mov_b64 s[52:53], 0
                                        ; implicit-def: $vgpr5
	s_and_saveexec_b64 s[54:55], vcc
	s_xor_b64 vcc, exec, s[54:55]
	s_cbranch_execnz .LBB14_6257
; %bb.5423:
	s_or_saveexec_b64 s[54:55], vcc
                                        ; implicit-def: $sgpr56
	s_xor_b64 exec, exec, s[54:55]
	s_cbranch_execnz .LBB14_6258
.LBB14_5424:
	s_or_b64 exec, exec, s[54:55]
	v_mov_b32_e32 v84, s56
	s_and_saveexec_b64 vcc, s[52:53]
.LBB14_5425:
	v_lshrrev_b32_e32 v4, 24, v4
	s_movk_i32 s52, 0x80
	v_and_or_b32 v84, v4, s52, v5
.LBB14_5426:
	s_or_b64 exec, exec, vcc
.LBB14_5427:
	s_or_b64 exec, exec, s[50:51]
	flat_store_byte v[2:3], v84
                                        ; implicit-def: $vgpr4
                                        ; implicit-def: $vgpr2_vgpr3
.LBB14_5428:
	s_andn2_saveexec_b64 s[48:49], s[48:49]
	s_cbranch_execz .LBB14_5438
; %bb.5429:
	v_and_b32_e32 v84, 0x7fffffff, v4
	s_mov_b32 vcc_lo, 0x43f00000
	v_cmp_gt_u32_e32 vcc, vcc_lo, v84
                                        ; implicit-def: $vgpr5
	s_and_saveexec_b64 s[50:51], vcc
	s_xor_b64 s[50:51], exec, s[50:51]
	s_cbranch_execz .LBB14_5435
; %bb.5430:
	s_mov_b32 vcc_lo, 0x3c7fffff
	v_cmp_lt_u32_e32 vcc, vcc_lo, v84
                                        ; implicit-def: $vgpr5
	s_and_saveexec_b64 s[52:53], vcc
	s_xor_b64 s[52:53], exec, s[52:53]
; %bb.5431:
	v_bfe_u32 v5, v4, 20, 1
	s_mov_b32 vcc_lo, 0x407ffff
	v_add3_u32 v5, v4, v5, vcc_lo
	v_lshrrev_b32_e32 v84, 20, v5
	v_and_b32_e32 v5, 0xff00000, v5
	s_mov_b32 vcc_lo, 0x7f00000
	v_mov_b32_e32 v85, 0x7e
	v_cmp_ne_u32_e32 vcc, vcc_lo, v5
	v_cndmask_b32_e32 v5, v85, v84, vcc
; %bb.5432:
	s_andn2_saveexec_b64 vcc, s[52:53]
; %bb.5433:
	s_mov_b32 s52, 0x46800000
	v_add_f32_e64 v5, |v4|, s52
; %bb.5434:
	s_or_b64 exec, exec, vcc
                                        ; implicit-def: $vgpr84
.LBB14_5435:
	s_andn2_saveexec_b64 s[50:51], s[50:51]
; %bb.5436:
	s_mov_b32 vcc_lo, 0x7f800000
	v_mov_b32_e32 v5, 0x7e
	v_mov_b32_e32 v85, 0x7f
	v_cmp_lt_u32_e32 vcc, vcc_lo, v84
	v_cndmask_b32_e32 v5, v5, v85, vcc
; %bb.5437:
	s_or_b64 exec, exec, s[50:51]
	v_lshrrev_b32_e32 v4, 24, v4
	s_movk_i32 vcc_lo, 0x80
	v_and_or_b32 v4, v4, vcc_lo, v5
	flat_store_byte v[2:3], v4
.LBB14_5438:
	s_or_b64 exec, exec, s[48:49]
                                        ; implicit-def: $vgpr4
                                        ; implicit-def: $vgpr2_vgpr3
.LBB14_5439:
	s_andn2_saveexec_b64 s[46:47], s[46:47]
	s_cbranch_execz .LBB14_5449
; %bb.5440:
	v_and_b32_e32 v84, 0x7fffffff, v4
	s_mov_b32 vcc_lo, 0x47800000
	v_cmp_gt_u32_e32 vcc, vcc_lo, v84
                                        ; implicit-def: $vgpr5
	s_and_saveexec_b64 s[48:49], vcc
	s_xor_b64 s[48:49], exec, s[48:49]
	s_cbranch_execz .LBB14_5446
; %bb.5441:
	s_mov_b32 vcc_lo, 0x387fffff
	v_cmp_lt_u32_e32 vcc, vcc_lo, v84
                                        ; implicit-def: $vgpr5
	s_and_saveexec_b64 s[50:51], vcc
	s_xor_b64 vcc, exec, s[50:51]
; %bb.5442:
	v_bfe_u32 v5, v4, 21, 1
	s_mov_b32 s50, 0x80fffff
	v_add3_u32 v5, v4, v5, s50
	v_lshrrev_b32_e32 v5, 21, v5
; %bb.5443:
	s_andn2_saveexec_b64 vcc, vcc
; %bb.5444:
	s_mov_b32 s50, 0x43000000
	v_add_f32_e64 v5, |v4|, s50
; %bb.5445:
	s_or_b64 exec, exec, vcc
                                        ; implicit-def: $vgpr84
.LBB14_5446:
	s_andn2_saveexec_b64 s[48:49], s[48:49]
; %bb.5447:
	s_mov_b32 vcc_lo, 0x7f800000
	v_mov_b32_e32 v5, 0x7c
	v_mov_b32_e32 v85, 0x7f
	v_cmp_lt_u32_e32 vcc, vcc_lo, v84
	v_cndmask_b32_e32 v5, v5, v85, vcc
; %bb.5448:
	s_or_b64 exec, exec, s[48:49]
	v_lshrrev_b32_e32 v4, 24, v4
	s_movk_i32 vcc_lo, 0x80
	v_and_or_b32 v4, v4, vcc_lo, v5
	flat_store_byte v[2:3], v4
.LBB14_5449:
	s_or_b64 exec, exec, s[46:47]
	s_or_b64 s[46:47], s[38:39], exec
                                        ; implicit-def: $vgpr4
                                        ; implicit-def: $vgpr2_vgpr3
.LBB14_5450:
	s_or_saveexec_b64 s[44:45], s[44:45]
	s_mov_b64 vcc, s[40:41]
	s_xor_b64 exec, exec, s[44:45]
	s_cbranch_execz .LBB14_5460
; %bb.5451:
	v_mov_b32_e32 v5, 14
	v_cmp_gt_i16_sdwa vcc, v11, v5 src0_sel:BYTE_0 src1_sel:DWORD
	s_mov_b64 s[48:49], s[46:47]
	s_mov_b64 s[50:51], s[40:41]
	s_and_saveexec_b64 s[52:53], vcc
	s_xor_b64 s[52:53], exec, s[52:53]
	s_cbranch_execz .LBB14_5455
; %bb.5452:
	v_mov_b32_e32 v5, 15
	v_cmp_eq_u16_sdwa s[54:55], v11, v5 src0_sel:BYTE_0 src1_sel:DWORD
	s_mov_b64 s[50:51], -1
	s_mov_b64 vcc, s[46:47]
	s_and_saveexec_b64 s[48:49], s[54:55]
	s_cbranch_execz .LBB14_5454
; %bb.5453:
	v_bfe_u32 v5, v4, 16, 1
	s_movk_i32 vcc_lo, 0x7fff
	v_add3_u32 v5, v4, v5, vcc_lo
	v_lshrrev_b32_e32 v5, 16, v5
	v_mov_b32_e32 v84, 0x7fc0
	v_cmp_o_f32_e32 vcc, v4, v4
	v_cndmask_b32_e32 v4, v84, v5, vcc
	flat_store_short v[2:3], v4
	s_xor_b64 s[50:51], exec, -1
	s_or_b64 vcc, s[46:47], exec
.LBB14_5454:
	s_or_b64 exec, exec, s[48:49]
	s_andn2_b64 s[48:49], s[40:41], exec
	s_and_b64 s[50:51], s[50:51], exec
	s_or_b64 s[50:51], s[48:49], s[50:51]
	s_andn2_b64 s[48:49], s[46:47], exec
	s_and_b64 vcc, vcc, exec
	s_or_b64 s[48:49], s[48:49], vcc
                                        ; implicit-def: $vgpr4
                                        ; implicit-def: $vgpr2_vgpr3
.LBB14_5455:
	s_andn2_saveexec_b64 s[52:53], s[52:53]
	s_cbranch_execz .LBB14_5459
; %bb.5456:
	v_mov_b32_e32 v5, 11
	v_cmp_eq_u16_sdwa s[58:59], v11, v5 src0_sel:BYTE_0 src1_sel:DWORD
	s_mov_b64 s[54:55], -1
	s_mov_b64 vcc, s[48:49]
	s_and_saveexec_b64 s[56:57], s[58:59]
	s_cbranch_execz .LBB14_5458
; %bb.5457:
	v_cmp_neq_f32_e32 vcc, 0, v4
	v_cndmask_b32_e64 v4, 0, 1, vcc
	flat_store_byte v[2:3], v4
	s_xor_b64 s[54:55], exec, -1
	s_or_b64 vcc, s[48:49], exec
.LBB14_5458:
	s_or_b64 exec, exec, s[56:57]
	s_andn2_b64 s[50:51], s[50:51], exec
	s_and_b64 s[54:55], s[54:55], exec
	s_andn2_b64 s[48:49], s[48:49], exec
	s_and_b64 vcc, vcc, exec
	s_or_b64 s[50:51], s[50:51], s[54:55]
	s_or_b64 s[48:49], s[48:49], vcc
.LBB14_5459:
	s_or_b64 exec, exec, s[52:53]
	s_andn2_b64 vcc, s[40:41], exec
	s_and_b64 s[50:51], s[50:51], exec
	s_andn2_b64 s[46:47], s[46:47], exec
	s_and_b64 s[48:49], s[48:49], exec
	s_or_b64 vcc, vcc, s[50:51]
	s_or_b64 s[46:47], s[46:47], s[48:49]
.LBB14_5460:
	s_or_b64 exec, exec, s[44:45]
	s_andn2_b64 s[40:41], s[40:41], exec
	s_and_b64 vcc, vcc, exec
	s_or_b64 s[40:41], s[40:41], vcc
	s_andn2_b64 vcc, s[38:39], exec
	s_and_b64 s[38:39], s[46:47], exec
	s_or_b64 s[38:39], vcc, s[38:39]
.LBB14_5461:
	s_or_b64 exec, exec, s[42:43]
	s_andn2_b64 vcc, s[4:5], exec
	s_and_b64 s[40:41], s[40:41], exec
	s_or_b64 s[40:41], vcc, s[40:41]
	s_and_b64 s[38:39], s[38:39], exec
                                        ; implicit-def: $vgpr4
                                        ; implicit-def: $vgpr2_vgpr3
	s_andn2_saveexec_b64 s[34:35], s[34:35]
	s_cbranch_execz .LBB14_3824
.LBB14_5462:
	v_mov_b32_e32 v5, 4
	v_cmp_gt_i16_sdwa vcc, v11, v5 src0_sel:BYTE_0 src1_sel:DWORD
	s_and_saveexec_b64 s[42:43], vcc
	s_xor_b64 vcc, exec, s[42:43]
	s_cbranch_execz .LBB14_5484
; %bb.5463:
	v_mov_b32_e32 v5, 7
	v_cmp_gt_i16_sdwa s[42:43], v11, v5 src0_sel:BYTE_0 src1_sel:DWORD
	s_and_saveexec_b64 s[44:45], s[42:43]
	s_xor_b64 s[42:43], exec, s[44:45]
	s_cbranch_execz .LBB14_5473
; %bb.5464:
	v_mov_b32_e32 v5, 8
	v_cmp_gt_i16_sdwa s[44:45], v11, v5 src0_sel:BYTE_0 src1_sel:DWORD
	s_and_saveexec_b64 s[46:47], s[44:45]
	s_xor_b64 s[44:45], exec, s[46:47]
	;; [unrolled: 6-line block ×3, first 2 shown]
	s_cbranch_execz .LBB14_5467
; %bb.5466:
	v_mov_b32_e32 v86, 0
	v_cvt_f64_f32_e32 v[84:85], v4
	v_mov_b32_e32 v87, v86
	flat_store_dwordx4 v[2:3], v[84:87]
                                        ; implicit-def: $vgpr4
                                        ; implicit-def: $vgpr2_vgpr3
.LBB14_5467:
	s_andn2_saveexec_b64 s[46:47], s[46:47]
	s_cbranch_execz .LBB14_5469
; %bb.5468:
	v_mov_b32_e32 v5, 0
	flat_store_dwordx2 v[2:3], v[4:5]
.LBB14_5469:
	s_or_b64 exec, exec, s[46:47]
                                        ; implicit-def: $vgpr4
                                        ; implicit-def: $vgpr2_vgpr3
.LBB14_5470:
	s_andn2_saveexec_b64 s[44:45], s[44:45]
	s_cbranch_execz .LBB14_5472
; %bb.5471:
	v_cvt_f16_f32_e32 v4, v4
	flat_store_dword v[2:3], v4
.LBB14_5472:
	s_or_b64 exec, exec, s[44:45]
                                        ; implicit-def: $vgpr4
                                        ; implicit-def: $vgpr2_vgpr3
.LBB14_5473:
	s_andn2_saveexec_b64 s[42:43], s[42:43]
	s_cbranch_execz .LBB14_5483
; %bb.5474:
	v_mov_b32_e32 v5, 5
	v_cmp_gt_i16_sdwa s[44:45], v11, v5 src0_sel:BYTE_0 src1_sel:DWORD
	s_and_saveexec_b64 s[46:47], s[44:45]
	s_xor_b64 s[44:45], exec, s[46:47]
	s_cbranch_execz .LBB14_5480
; %bb.5475:
	v_mov_b32_e32 v5, 6
	v_cmp_gt_i16_sdwa s[46:47], v11, v5 src0_sel:BYTE_0 src1_sel:DWORD
	s_and_saveexec_b64 s[48:49], s[46:47]
	s_xor_b64 s[46:47], exec, s[48:49]
	s_cbranch_execz .LBB14_5477
; %bb.5476:
	v_cvt_f64_f32_e32 v[4:5], v4
	flat_store_dwordx2 v[2:3], v[4:5]
                                        ; implicit-def: $vgpr2_vgpr3
                                        ; implicit-def: $vgpr4
.LBB14_5477:
	s_andn2_saveexec_b64 s[46:47], s[46:47]
	s_cbranch_execz .LBB14_5479
; %bb.5478:
	flat_store_dword v[2:3], v4
.LBB14_5479:
	s_or_b64 exec, exec, s[46:47]
                                        ; implicit-def: $vgpr4
                                        ; implicit-def: $vgpr2_vgpr3
.LBB14_5480:
	s_andn2_saveexec_b64 s[44:45], s[44:45]
	s_cbranch_execz .LBB14_5482
; %bb.5481:
	v_cvt_f16_f32_e32 v4, v4
	flat_store_short v[2:3], v4
.LBB14_5482:
	s_or_b64 exec, exec, s[44:45]
.LBB14_5483:
	s_or_b64 exec, exec, s[42:43]
                                        ; implicit-def: $vgpr4
                                        ; implicit-def: $vgpr2_vgpr3
.LBB14_5484:
	s_andn2_saveexec_b64 s[42:43], vcc
	s_cbranch_execz .LBB14_5502
; %bb.5485:
	v_mov_b32_e32 v5, 1
	v_cmp_gt_i16_sdwa vcc, v11, v5 src0_sel:BYTE_0 src1_sel:DWORD
	s_and_saveexec_b64 s[44:45], vcc
	s_xor_b64 s[44:45], exec, s[44:45]
	s_cbranch_execz .LBB14_5495
; %bb.5486:
	v_mov_b32_e32 v5, 2
	v_cmp_gt_i16_sdwa vcc, v11, v5 src0_sel:BYTE_0 src1_sel:DWORD
	s_and_saveexec_b64 s[46:47], vcc
	s_xor_b64 s[46:47], exec, s[46:47]
	;; [unrolled: 6-line block ×3, first 2 shown]
	s_cbranch_execz .LBB14_5489
; %bb.5488:
	v_trunc_f32_e32 v4, v4
	s_mov_b32 s50, 0x2f800000
	v_mul_f32_e64 v5, |v4|, s50
	v_floor_f32_e32 v5, v5
	s_mov_b32 s50, 0xcf800000
	v_cvt_u32_f32_e32 v84, v5
	v_fma_f32 v5, v5, s50, |v4|
	v_cvt_u32_f32_e32 v5, v5
	v_ashrrev_i32_e32 v85, 31, v4
	v_xor_b32_e32 v84, v84, v85
	v_xor_b32_e32 v4, v5, v85
	v_sub_co_u32_e32 v4, vcc, v4, v85
	v_subb_co_u32_e32 v5, vcc, v84, v85, vcc
	flat_store_dwordx2 v[2:3], v[4:5]
                                        ; implicit-def: $vgpr4
                                        ; implicit-def: $vgpr2_vgpr3
.LBB14_5489:
	s_andn2_saveexec_b64 vcc, s[48:49]
	s_cbranch_execz .LBB14_5491
; %bb.5490:
	v_cvt_i32_f32_e32 v4, v4
	flat_store_dword v[2:3], v4
.LBB14_5491:
	s_or_b64 exec, exec, vcc
                                        ; implicit-def: $vgpr4
                                        ; implicit-def: $vgpr2_vgpr3
.LBB14_5492:
	s_andn2_saveexec_b64 vcc, s[46:47]
	s_cbranch_execz .LBB14_5494
; %bb.5493:
	v_cvt_i32_f32_e32 v4, v4
	flat_store_short v[2:3], v4
.LBB14_5494:
	s_or_b64 exec, exec, vcc
                                        ; implicit-def: $vgpr4
                                        ; implicit-def: $vgpr2_vgpr3
.LBB14_5495:
	s_andn2_saveexec_b64 vcc, s[44:45]
	s_cbranch_execz .LBB14_5501
; %bb.5496:
	v_mov_b32_e32 v5, 0
	v_cmp_gt_i16_sdwa s[44:45], v11, v5 src0_sel:BYTE_0 src1_sel:DWORD
	s_and_saveexec_b64 s[46:47], s[44:45]
	s_xor_b64 s[44:45], exec, s[46:47]
	s_cbranch_execz .LBB14_5498
; %bb.5497:
	v_cvt_i32_f32_e32 v4, v4
	flat_store_byte v[2:3], v4
                                        ; implicit-def: $vgpr4
                                        ; implicit-def: $vgpr2_vgpr3
.LBB14_5498:
	s_andn2_saveexec_b64 s[44:45], s[44:45]
	s_cbranch_execz .LBB14_5500
; %bb.5499:
	v_trunc_f32_e32 v4, v4
	s_mov_b32 s46, 0x2f800000
	v_mul_f32_e64 v5, |v4|, s46
	v_floor_f32_e32 v5, v5
	s_mov_b32 s46, 0xcf800000
	v_fma_f32 v5, v5, s46, |v4|
	v_cvt_u32_f32_e32 v5, v5
	v_ashrrev_i32_e32 v4, 31, v4
	v_xor_b32_e32 v5, v5, v4
	v_sub_u32_e32 v4, v5, v4
	flat_store_byte v[2:3], v4
.LBB14_5500:
	s_or_b64 exec, exec, s[44:45]
.LBB14_5501:
	s_or_b64 exec, exec, vcc
.LBB14_5502:
	s_or_b64 exec, exec, s[42:43]
	s_or_b64 s[38:39], s[38:39], exec
	s_or_b64 exec, exec, s[34:35]
	s_mov_b64 vcc, 0
	s_and_saveexec_b64 s[34:35], s[38:39]
	s_cbranch_execnz .LBB14_3825
	s_branch .LBB14_3826
.LBB14_5503:
	v_bfe_u32 v5, v4, 20, 1
	s_mov_b32 s30, 0x487ffff
	v_add3_u32 v5, v4, v5, s30
	s_mov_b64 s[28:29], exec
	v_lshrrev_b32_e32 v5, 20, v5
	s_or_saveexec_b64 s[30:31], vcc
                                        ; implicit-def: $sgpr34
	s_xor_b64 exec, exec, s[30:31]
	s_cbranch_execz .LBB14_4796
.LBB14_5504:
	s_mov_b32 s34, 0x46000000
	v_add_f32_e64 v5, |v4|, s34
	v_and_b32_e32 v5, 0xff, v5
	v_cmp_ne_u32_e32 vcc, 0, v5
	s_andn2_b64 s[28:29], s[28:29], exec
	s_and_b64 vcc, vcc, exec
	s_mov_b32 s34, 0
	s_or_b64 s[28:29], s[28:29], vcc
	s_or_b64 exec, exec, s[30:31]
	v_mov_b32_e32 v102, s34
	s_and_saveexec_b64 vcc, s[28:29]
	s_cbranch_execnz .LBB14_4797
	s_branch .LBB14_4798
.LBB14_5505:
	v_mov_b32_e32 v5, 25
	v_cmp_gt_i16_sdwa vcc, v11, v5 src0_sel:BYTE_0 src1_sel:DWORD
	s_mov_b64 s[44:45], s[34:35]
	s_and_saveexec_b64 s[46:47], vcc
	s_xor_b64 s[46:47], exec, s[46:47]
	s_cbranch_execz .LBB14_5541
; %bb.5506:
	v_mov_b32_e32 v5, 28
	v_cmp_gt_i16_sdwa vcc, v11, v5 src0_sel:BYTE_0 src1_sel:DWORD
	s_mov_b64 s[48:49], 0
	s_mov_b64 s[44:45], s[34:35]
	s_and_saveexec_b64 s[42:43], vcc
	s_xor_b64 s[42:43], exec, s[42:43]
	s_cbranch_execz .LBB14_5524
; %bb.5507:
	v_mov_b32_e32 v5, 43
	v_cmp_gt_i16_sdwa s[44:45], v11, v5 src0_sel:BYTE_0 src1_sel:DWORD
	s_mov_b64 vcc, 0
	s_mov_b64 s[52:53], s[34:35]
	s_and_saveexec_b64 s[48:49], s[44:45]
	s_xor_b64 s[44:45], exec, s[48:49]
	s_cbranch_execz .LBB14_5519
; %bb.5508:
	v_mov_b32_e32 v5, 45
	s_mov_b64 s[48:49], s[4:5]
	v_cmp_gt_i16_sdwa s[4:5], v11, v5 src0_sel:BYTE_0 src1_sel:DWORD
	s_mov_b64 s[50:51], 0
	s_mov_b64 s[52:53], s[34:35]
	s_and_saveexec_b64 vcc, s[4:5]
	s_xor_b64 s[4:5], exec, vcc
	s_cbranch_execz .LBB14_5512
; %bb.5509:
	v_mov_b32_e32 v5, 46
	v_cmp_eq_u16_sdwa s[54:55], v11, v5 src0_sel:BYTE_0 src1_sel:DWORD
	s_mov_b64 vcc, -1
	s_and_saveexec_b64 s[52:53], s[54:55]
	s_cbranch_execz .LBB14_5511
; %bb.5510:
	v_bfe_u32 v5, v4, 16, 1
	s_movk_i32 vcc_lo, 0x7fff
	v_add3_u32 v5, v4, v5, vcc_lo
	v_lshrrev_b32_e32 v5, 16, v5
	v_mov_b32_e32 v82, 0x7fc0
	v_cmp_o_f32_e32 vcc, v4, v4
	v_cndmask_b32_e32 v4, v82, v5, vcc
	s_mov_b64 s[50:51], exec
	flat_store_dword v[2:3], v4
	s_xor_b64 vcc, exec, -1
.LBB14_5511:
	s_or_b64 exec, exec, s[52:53]
	s_andn2_b64 s[52:53], s[34:35], exec
	s_and_b64 vcc, vcc, exec
	s_or_b64 s[52:53], s[52:53], vcc
	s_and_b64 s[50:51], s[50:51], exec
                                        ; implicit-def: $vgpr2_vgpr3
                                        ; implicit-def: $vgpr4
.LBB14_5512:
	s_andn2_saveexec_b64 s[54:55], s[4:5]
	s_cbranch_execz .LBB14_5518
; %bb.5513:
	v_mov_b32_e32 v5, 44
	v_cmp_eq_u16_sdwa s[58:59], v11, v5 src0_sel:BYTE_0 src1_sel:DWORD
	s_mov_b64 vcc, -1
	s_mov_b64 s[4:5], s[50:51]
	s_and_saveexec_b64 s[56:57], s[58:59]
	s_cbranch_execz .LBB14_5517
; %bb.5514:
	v_bfe_u32 v5, v4, 23, 8
	s_movk_i32 s4, 0xff
	v_cmp_ne_u32_e32 vcc, s4, v5
	v_mov_b32_e32 v82, 0xff
	s_and_saveexec_b64 s[58:59], vcc
; %bb.5515:
	s_mov_b32 s4, 0x3fffff
	v_lshrrev_b32_e32 v82, 23, v4
	v_and_b32_e32 v83, 0x400000, v4
	v_and_or_b32 v4, v4, s4, v5
	v_cmp_ne_u32_e32 vcc, 0, v83
	v_cmp_ne_u32_e64 s[4:5], 0, v4
	s_and_b64 s[4:5], vcc, s[4:5]
	v_cndmask_b32_e64 v4, 0, 1, s[4:5]
	v_add_u32_e32 v82, v82, v4
; %bb.5516:
	s_or_b64 exec, exec, s[58:59]
	s_xor_b64 vcc, exec, -1
	s_or_b64 s[4:5], s[50:51], exec
	flat_store_byte v[2:3], v82
.LBB14_5517:
	s_or_b64 exec, exec, s[56:57]
	s_andn2_b64 s[52:53], s[52:53], exec
	s_and_b64 vcc, vcc, exec
	s_or_b64 s[52:53], s[52:53], vcc
	s_andn2_b64 vcc, s[50:51], exec
	s_and_b64 s[4:5], s[4:5], exec
	s_or_b64 s[50:51], vcc, s[4:5]
.LBB14_5518:
	s_or_b64 exec, exec, s[54:55]
	s_andn2_b64 s[4:5], s[34:35], exec
	s_and_b64 vcc, s[52:53], exec
	s_or_b64 s[52:53], s[4:5], vcc
	s_and_b64 vcc, s[50:51], exec
	s_mov_b64 s[4:5], s[48:49]
                                        ; implicit-def: $vgpr4
                                        ; implicit-def: $vgpr2_vgpr3
.LBB14_5519:
	s_andn2_saveexec_b64 s[44:45], s[44:45]
	s_cbranch_execz .LBB14_5523
; %bb.5520:
	v_mov_b32_e32 v5, 29
	v_cmp_eq_u16_sdwa s[56:57], v11, v5 src0_sel:BYTE_0 src1_sel:DWORD
	s_mov_b64 s[54:55], -1
	s_mov_b64 s[50:51], vcc
	s_and_saveexec_b64 s[48:49], s[56:57]
	s_cbranch_execz .LBB14_5522
; %bb.5521:
	v_trunc_f32_e32 v4, v4
	v_mul_f32_e32 v5, 0x2f800000, v4
	v_floor_f32_e32 v82, v5
	v_fmac_f32_e32 v4, 0xcf800000, v82
	v_cvt_u32_f32_e32 v5, v82
	v_cvt_u32_f32_e32 v4, v4
	s_xor_b64 s[54:55], exec, -1
	s_or_b64 s[50:51], vcc, exec
	flat_store_dwordx2 v[2:3], v[4:5]
.LBB14_5522:
	s_or_b64 exec, exec, s[48:49]
	s_andn2_b64 s[48:49], s[52:53], exec
	s_and_b64 s[52:53], s[54:55], exec
	s_or_b64 s[52:53], s[48:49], s[52:53]
	s_andn2_b64 vcc, vcc, exec
	s_and_b64 s[48:49], s[50:51], exec
	s_or_b64 vcc, vcc, s[48:49]
.LBB14_5523:
	s_or_b64 exec, exec, s[44:45]
	s_andn2_b64 s[44:45], s[34:35], exec
	s_and_b64 s[48:49], s[52:53], exec
	s_or_b64 s[44:45], s[44:45], s[48:49]
	s_and_b64 s[48:49], vcc, exec
                                        ; implicit-def: $vgpr2_vgpr3
                                        ; implicit-def: $vgpr4
.LBB14_5524:
	s_andn2_saveexec_b64 s[42:43], s[42:43]
	s_cbranch_execz .LBB14_5540
; %bb.5525:
	v_mov_b32_e32 v5, 26
	v_cmp_gt_i16_sdwa vcc, v11, v5 src0_sel:BYTE_0 src1_sel:DWORD
	s_and_saveexec_b64 s[50:51], vcc
	s_xor_b64 vcc, exec, s[50:51]
	s_cbranch_execz .LBB14_5531
; %bb.5526:
	v_cvt_u32_f32_e32 v4, v4
	v_mov_b32_e32 v5, 27
	v_cmp_gt_i16_sdwa s[50:51], v11, v5 src0_sel:BYTE_0 src1_sel:DWORD
	s_and_saveexec_b64 s[52:53], s[50:51]
	s_xor_b64 s[50:51], exec, s[52:53]
	s_cbranch_execz .LBB14_5528
; %bb.5527:
	flat_store_dword v[2:3], v4
                                        ; implicit-def: $vgpr2_vgpr3
                                        ; implicit-def: $vgpr4
.LBB14_5528:
	s_andn2_saveexec_b64 s[50:51], s[50:51]
	s_cbranch_execz .LBB14_5530
; %bb.5529:
	flat_store_short v[2:3], v4
.LBB14_5530:
	s_or_b64 exec, exec, s[50:51]
                                        ; implicit-def: $vgpr2_vgpr3
                                        ; implicit-def: $vgpr4
.LBB14_5531:
	s_andn2_saveexec_b64 s[50:51], vcc
	s_cbranch_execz .LBB14_5539
; %bb.5532:
	v_and_b32_e32 v5, 0x7fffffff, v4
	s_mov_b32 vcc_lo, 0x43800000
	v_cmp_gt_u32_e32 vcc, vcc_lo, v5
	v_mov_b32_e32 v82, 0x80
	s_and_saveexec_b64 s[52:53], vcc
	s_cbranch_execz .LBB14_5538
; %bb.5533:
	s_mov_b32 vcc_lo, 0x3bffffff
	v_cmp_lt_u32_e32 vcc, vcc_lo, v5
	s_mov_b64 s[54:55], 0
                                        ; implicit-def: $vgpr5
	s_and_saveexec_b64 s[56:57], vcc
	s_xor_b64 vcc, exec, s[56:57]
	s_cbranch_execnz .LBB14_6259
; %bb.5534:
	s_or_saveexec_b64 s[56:57], vcc
                                        ; implicit-def: $sgpr58
	s_xor_b64 exec, exec, s[56:57]
	s_cbranch_execnz .LBB14_6260
.LBB14_5535:
	s_or_b64 exec, exec, s[56:57]
	v_mov_b32_e32 v82, s58
	s_and_saveexec_b64 vcc, s[54:55]
.LBB14_5536:
	v_lshrrev_b32_e32 v4, 24, v4
	s_movk_i32 s54, 0x80
	v_and_or_b32 v82, v4, s54, v5
.LBB14_5537:
	s_or_b64 exec, exec, vcc
.LBB14_5538:
	s_or_b64 exec, exec, s[52:53]
	flat_store_byte v[2:3], v82
.LBB14_5539:
	s_or_b64 exec, exec, s[50:51]
	s_or_b64 s[48:49], s[48:49], exec
.LBB14_5540:
	s_or_b64 exec, exec, s[42:43]
	s_andn2_b64 vcc, s[34:35], exec
	s_and_b64 s[42:43], s[44:45], exec
	s_or_b64 s[44:45], vcc, s[42:43]
	s_and_b64 s[42:43], s[48:49], exec
                                        ; implicit-def: $vgpr4
                                        ; implicit-def: $vgpr2_vgpr3
.LBB14_5541:
	s_andn2_saveexec_b64 s[46:47], s[46:47]
	s_cbranch_execz .LBB14_5585
; %bb.5542:
	v_mov_b32_e32 v5, 22
	v_cmp_gt_i16_sdwa vcc, v11, v5 src0_sel:BYTE_0 src1_sel:DWORD
	s_mov_b64 s[50:51], s[42:43]
	s_and_saveexec_b64 s[48:49], vcc
	s_xor_b64 s[48:49], exec, s[48:49]
	s_cbranch_execz .LBB14_5574
; %bb.5543:
	v_mov_b32_e32 v5, 23
	v_cmp_gt_i16_sdwa vcc, v11, v5 src0_sel:BYTE_0 src1_sel:DWORD
	s_and_saveexec_b64 s[50:51], vcc
	s_xor_b64 s[50:51], exec, s[50:51]
	s_cbranch_execz .LBB14_5563
; %bb.5544:
	v_mov_b32_e32 v5, 24
	v_cmp_gt_i16_sdwa vcc, v11, v5 src0_sel:BYTE_0 src1_sel:DWORD
	s_and_saveexec_b64 s[52:53], vcc
	s_xor_b64 s[52:53], exec, s[52:53]
	s_cbranch_execz .LBB14_5552
; %bb.5545:
	v_and_b32_e32 v5, 0x7fffffff, v4
	s_mov_b32 vcc_lo, 0x47800000
	v_cmp_gt_u32_e32 vcc, vcc_lo, v5
	v_mov_b32_e32 v82, 0x80
	s_and_saveexec_b64 s[54:55], vcc
	s_cbranch_execz .LBB14_5551
; %bb.5546:
	s_mov_b32 vcc_lo, 0x37ffffff
	v_cmp_lt_u32_e32 vcc, vcc_lo, v5
	s_mov_b64 s[56:57], 0
                                        ; implicit-def: $vgpr5
	s_and_saveexec_b64 s[58:59], vcc
	s_xor_b64 vcc, exec, s[58:59]
	s_cbranch_execnz .LBB14_6383
; %bb.5547:
	s_or_saveexec_b64 s[58:59], vcc
                                        ; implicit-def: $sgpr60
	s_xor_b64 exec, exec, s[58:59]
	s_cbranch_execnz .LBB14_6384
.LBB14_5548:
	s_or_b64 exec, exec, s[58:59]
	v_mov_b32_e32 v82, s60
	s_and_saveexec_b64 vcc, s[56:57]
.LBB14_5549:
	v_lshrrev_b32_e32 v4, 24, v4
	s_movk_i32 s56, 0x80
	v_and_or_b32 v82, v4, s56, v5
.LBB14_5550:
	s_or_b64 exec, exec, vcc
.LBB14_5551:
	s_or_b64 exec, exec, s[54:55]
	flat_store_byte v[2:3], v82
                                        ; implicit-def: $vgpr4
                                        ; implicit-def: $vgpr2_vgpr3
.LBB14_5552:
	s_andn2_saveexec_b64 s[52:53], s[52:53]
	s_cbranch_execz .LBB14_5562
; %bb.5553:
	v_and_b32_e32 v82, 0x7fffffff, v4
	s_mov_b32 vcc_lo, 0x43f00000
	v_cmp_gt_u32_e32 vcc, vcc_lo, v82
                                        ; implicit-def: $vgpr5
	s_and_saveexec_b64 s[54:55], vcc
	s_xor_b64 s[54:55], exec, s[54:55]
	s_cbranch_execz .LBB14_5559
; %bb.5554:
	s_mov_b32 vcc_lo, 0x3c7fffff
	v_cmp_lt_u32_e32 vcc, vcc_lo, v82
                                        ; implicit-def: $vgpr5
	s_and_saveexec_b64 s[56:57], vcc
	s_xor_b64 s[56:57], exec, s[56:57]
; %bb.5555:
	v_bfe_u32 v5, v4, 20, 1
	s_mov_b32 vcc_lo, 0x407ffff
	v_add3_u32 v5, v4, v5, vcc_lo
	v_lshrrev_b32_e32 v82, 20, v5
	v_and_b32_e32 v5, 0xff00000, v5
	s_mov_b32 vcc_lo, 0x7f00000
	v_mov_b32_e32 v83, 0x7e
	v_cmp_ne_u32_e32 vcc, vcc_lo, v5
	v_cndmask_b32_e32 v5, v83, v82, vcc
; %bb.5556:
	s_andn2_saveexec_b64 vcc, s[56:57]
; %bb.5557:
	s_mov_b32 s56, 0x46800000
	v_add_f32_e64 v5, |v4|, s56
; %bb.5558:
	s_or_b64 exec, exec, vcc
                                        ; implicit-def: $vgpr82
.LBB14_5559:
	s_andn2_saveexec_b64 s[54:55], s[54:55]
; %bb.5560:
	s_mov_b32 vcc_lo, 0x7f800000
	v_mov_b32_e32 v5, 0x7e
	v_mov_b32_e32 v83, 0x7f
	v_cmp_lt_u32_e32 vcc, vcc_lo, v82
	v_cndmask_b32_e32 v5, v5, v83, vcc
; %bb.5561:
	s_or_b64 exec, exec, s[54:55]
	v_lshrrev_b32_e32 v4, 24, v4
	s_movk_i32 vcc_lo, 0x80
	v_and_or_b32 v4, v4, vcc_lo, v5
	flat_store_byte v[2:3], v4
.LBB14_5562:
	s_or_b64 exec, exec, s[52:53]
                                        ; implicit-def: $vgpr4
                                        ; implicit-def: $vgpr2_vgpr3
.LBB14_5563:
	s_andn2_saveexec_b64 s[50:51], s[50:51]
	s_cbranch_execz .LBB14_5573
; %bb.5564:
	v_and_b32_e32 v82, 0x7fffffff, v4
	s_mov_b32 vcc_lo, 0x47800000
	v_cmp_gt_u32_e32 vcc, vcc_lo, v82
                                        ; implicit-def: $vgpr5
	s_and_saveexec_b64 s[52:53], vcc
	s_xor_b64 s[52:53], exec, s[52:53]
	s_cbranch_execz .LBB14_5570
; %bb.5565:
	s_mov_b32 vcc_lo, 0x387fffff
	v_cmp_lt_u32_e32 vcc, vcc_lo, v82
                                        ; implicit-def: $vgpr5
	s_and_saveexec_b64 s[54:55], vcc
	s_xor_b64 vcc, exec, s[54:55]
; %bb.5566:
	v_bfe_u32 v5, v4, 21, 1
	s_mov_b32 s54, 0x80fffff
	v_add3_u32 v5, v4, v5, s54
	v_lshrrev_b32_e32 v5, 21, v5
; %bb.5567:
	s_andn2_saveexec_b64 vcc, vcc
; %bb.5568:
	s_mov_b32 s54, 0x43000000
	v_add_f32_e64 v5, |v4|, s54
; %bb.5569:
	s_or_b64 exec, exec, vcc
                                        ; implicit-def: $vgpr82
.LBB14_5570:
	s_andn2_saveexec_b64 s[52:53], s[52:53]
; %bb.5571:
	s_mov_b32 vcc_lo, 0x7f800000
	v_mov_b32_e32 v5, 0x7c
	v_mov_b32_e32 v83, 0x7f
	v_cmp_lt_u32_e32 vcc, vcc_lo, v82
	v_cndmask_b32_e32 v5, v5, v83, vcc
; %bb.5572:
	s_or_b64 exec, exec, s[52:53]
	v_lshrrev_b32_e32 v4, 24, v4
	s_movk_i32 vcc_lo, 0x80
	v_and_or_b32 v4, v4, vcc_lo, v5
	flat_store_byte v[2:3], v4
.LBB14_5573:
	s_or_b64 exec, exec, s[50:51]
	s_or_b64 s[50:51], s[42:43], exec
                                        ; implicit-def: $vgpr4
                                        ; implicit-def: $vgpr2_vgpr3
.LBB14_5574:
	s_or_saveexec_b64 s[48:49], s[48:49]
	s_mov_b64 vcc, s[44:45]
	s_xor_b64 exec, exec, s[48:49]
	s_cbranch_execz .LBB14_5584
; %bb.5575:
	v_mov_b32_e32 v5, 14
	v_cmp_gt_i16_sdwa vcc, v11, v5 src0_sel:BYTE_0 src1_sel:DWORD
	s_mov_b64 s[52:53], s[50:51]
	s_mov_b64 s[54:55], s[44:45]
	s_and_saveexec_b64 s[56:57], vcc
	s_xor_b64 s[56:57], exec, s[56:57]
	s_cbranch_execz .LBB14_5579
; %bb.5576:
	v_mov_b32_e32 v5, 15
	v_cmp_eq_u16_sdwa s[58:59], v11, v5 src0_sel:BYTE_0 src1_sel:DWORD
	s_mov_b64 s[54:55], -1
	s_mov_b64 vcc, s[50:51]
	s_and_saveexec_b64 s[52:53], s[58:59]
	s_cbranch_execz .LBB14_5578
; %bb.5577:
	v_bfe_u32 v5, v4, 16, 1
	s_movk_i32 vcc_lo, 0x7fff
	v_add3_u32 v5, v4, v5, vcc_lo
	v_lshrrev_b32_e32 v5, 16, v5
	v_mov_b32_e32 v82, 0x7fc0
	v_cmp_o_f32_e32 vcc, v4, v4
	v_cndmask_b32_e32 v4, v82, v5, vcc
	flat_store_short v[2:3], v4
	s_xor_b64 s[54:55], exec, -1
	s_or_b64 vcc, s[50:51], exec
.LBB14_5578:
	s_or_b64 exec, exec, s[52:53]
	s_andn2_b64 s[52:53], s[44:45], exec
	s_and_b64 s[54:55], s[54:55], exec
	s_or_b64 s[54:55], s[52:53], s[54:55]
	s_andn2_b64 s[52:53], s[50:51], exec
	s_and_b64 vcc, vcc, exec
	s_or_b64 s[52:53], s[52:53], vcc
                                        ; implicit-def: $vgpr4
                                        ; implicit-def: $vgpr2_vgpr3
.LBB14_5579:
	s_andn2_saveexec_b64 s[56:57], s[56:57]
	s_cbranch_execz .LBB14_5583
; %bb.5580:
	v_mov_b32_e32 v5, 11
	v_cmp_eq_u16_sdwa s[62:63], v11, v5 src0_sel:BYTE_0 src1_sel:DWORD
	s_mov_b64 s[58:59], -1
	s_mov_b64 vcc, s[52:53]
	s_and_saveexec_b64 s[60:61], s[62:63]
	s_cbranch_execz .LBB14_5582
; %bb.5581:
	v_cmp_neq_f32_e32 vcc, 0, v4
	v_cndmask_b32_e64 v4, 0, 1, vcc
	flat_store_byte v[2:3], v4
	s_xor_b64 s[58:59], exec, -1
	s_or_b64 vcc, s[52:53], exec
.LBB14_5582:
	s_or_b64 exec, exec, s[60:61]
	s_andn2_b64 s[54:55], s[54:55], exec
	s_and_b64 s[58:59], s[58:59], exec
	s_andn2_b64 s[52:53], s[52:53], exec
	s_and_b64 vcc, vcc, exec
	s_or_b64 s[54:55], s[54:55], s[58:59]
	s_or_b64 s[52:53], s[52:53], vcc
.LBB14_5583:
	s_or_b64 exec, exec, s[56:57]
	s_andn2_b64 vcc, s[44:45], exec
	s_and_b64 s[54:55], s[54:55], exec
	s_andn2_b64 s[50:51], s[50:51], exec
	s_and_b64 s[52:53], s[52:53], exec
	s_or_b64 vcc, vcc, s[54:55]
	s_or_b64 s[50:51], s[50:51], s[52:53]
.LBB14_5584:
	s_or_b64 exec, exec, s[48:49]
	s_andn2_b64 s[44:45], s[44:45], exec
	s_and_b64 vcc, vcc, exec
	s_or_b64 s[44:45], s[44:45], vcc
	s_andn2_b64 vcc, s[42:43], exec
	s_and_b64 s[42:43], s[50:51], exec
	s_or_b64 s[42:43], vcc, s[42:43]
.LBB14_5585:
	s_or_b64 exec, exec, s[46:47]
	s_andn2_b64 vcc, s[34:35], exec
	s_and_b64 s[44:45], s[44:45], exec
	s_or_b64 s[44:45], vcc, s[44:45]
	s_and_b64 s[42:43], s[42:43], exec
                                        ; implicit-def: $vgpr4
                                        ; implicit-def: $vgpr2_vgpr3
	s_andn2_saveexec_b64 s[38:39], s[38:39]
	s_cbranch_execz .LBB14_3831
.LBB14_5586:
	v_mov_b32_e32 v5, 4
	v_cmp_gt_i16_sdwa vcc, v11, v5 src0_sel:BYTE_0 src1_sel:DWORD
	s_and_saveexec_b64 s[46:47], vcc
	s_xor_b64 vcc, exec, s[46:47]
	s_cbranch_execz .LBB14_5608
; %bb.5587:
	v_mov_b32_e32 v5, 7
	v_cmp_gt_i16_sdwa s[46:47], v11, v5 src0_sel:BYTE_0 src1_sel:DWORD
	s_and_saveexec_b64 s[48:49], s[46:47]
	s_xor_b64 s[46:47], exec, s[48:49]
	s_cbranch_execz .LBB14_5597
; %bb.5588:
	v_mov_b32_e32 v5, 8
	v_cmp_gt_i16_sdwa s[48:49], v11, v5 src0_sel:BYTE_0 src1_sel:DWORD
	s_and_saveexec_b64 s[50:51], s[48:49]
	s_xor_b64 s[48:49], exec, s[50:51]
	;; [unrolled: 6-line block ×3, first 2 shown]
	s_cbranch_execz .LBB14_5591
; %bb.5590:
	v_mov_b32_e32 v84, 0
	v_cvt_f64_f32_e32 v[82:83], v4
	v_mov_b32_e32 v85, v84
	flat_store_dwordx4 v[2:3], v[82:85]
                                        ; implicit-def: $vgpr4
                                        ; implicit-def: $vgpr2_vgpr3
.LBB14_5591:
	s_andn2_saveexec_b64 s[50:51], s[50:51]
	s_cbranch_execz .LBB14_5593
; %bb.5592:
	v_mov_b32_e32 v5, 0
	flat_store_dwordx2 v[2:3], v[4:5]
.LBB14_5593:
	s_or_b64 exec, exec, s[50:51]
                                        ; implicit-def: $vgpr4
                                        ; implicit-def: $vgpr2_vgpr3
.LBB14_5594:
	s_andn2_saveexec_b64 s[48:49], s[48:49]
	s_cbranch_execz .LBB14_5596
; %bb.5595:
	v_cvt_f16_f32_e32 v4, v4
	flat_store_dword v[2:3], v4
.LBB14_5596:
	s_or_b64 exec, exec, s[48:49]
                                        ; implicit-def: $vgpr4
                                        ; implicit-def: $vgpr2_vgpr3
.LBB14_5597:
	s_andn2_saveexec_b64 s[46:47], s[46:47]
	s_cbranch_execz .LBB14_5607
; %bb.5598:
	v_mov_b32_e32 v5, 5
	v_cmp_gt_i16_sdwa s[48:49], v11, v5 src0_sel:BYTE_0 src1_sel:DWORD
	s_and_saveexec_b64 s[50:51], s[48:49]
	s_xor_b64 s[48:49], exec, s[50:51]
	s_cbranch_execz .LBB14_5604
; %bb.5599:
	v_mov_b32_e32 v5, 6
	v_cmp_gt_i16_sdwa s[50:51], v11, v5 src0_sel:BYTE_0 src1_sel:DWORD
	s_and_saveexec_b64 s[52:53], s[50:51]
	s_xor_b64 s[50:51], exec, s[52:53]
	s_cbranch_execz .LBB14_5601
; %bb.5600:
	v_cvt_f64_f32_e32 v[4:5], v4
	flat_store_dwordx2 v[2:3], v[4:5]
                                        ; implicit-def: $vgpr2_vgpr3
                                        ; implicit-def: $vgpr4
.LBB14_5601:
	s_andn2_saveexec_b64 s[50:51], s[50:51]
	s_cbranch_execz .LBB14_5603
; %bb.5602:
	flat_store_dword v[2:3], v4
.LBB14_5603:
	s_or_b64 exec, exec, s[50:51]
                                        ; implicit-def: $vgpr4
                                        ; implicit-def: $vgpr2_vgpr3
.LBB14_5604:
	s_andn2_saveexec_b64 s[48:49], s[48:49]
	s_cbranch_execz .LBB14_5606
; %bb.5605:
	v_cvt_f16_f32_e32 v4, v4
	flat_store_short v[2:3], v4
.LBB14_5606:
	s_or_b64 exec, exec, s[48:49]
.LBB14_5607:
	s_or_b64 exec, exec, s[46:47]
                                        ; implicit-def: $vgpr4
                                        ; implicit-def: $vgpr2_vgpr3
.LBB14_5608:
	s_andn2_saveexec_b64 s[46:47], vcc
	s_cbranch_execz .LBB14_5626
; %bb.5609:
	v_mov_b32_e32 v5, 1
	v_cmp_gt_i16_sdwa vcc, v11, v5 src0_sel:BYTE_0 src1_sel:DWORD
	s_and_saveexec_b64 s[48:49], vcc
	s_xor_b64 s[48:49], exec, s[48:49]
	s_cbranch_execz .LBB14_5619
; %bb.5610:
	v_mov_b32_e32 v5, 2
	v_cmp_gt_i16_sdwa vcc, v11, v5 src0_sel:BYTE_0 src1_sel:DWORD
	s_and_saveexec_b64 s[50:51], vcc
	s_xor_b64 s[50:51], exec, s[50:51]
	;; [unrolled: 6-line block ×3, first 2 shown]
	s_cbranch_execz .LBB14_5613
; %bb.5612:
	v_trunc_f32_e32 v4, v4
	s_mov_b32 s54, 0x2f800000
	v_mul_f32_e64 v5, |v4|, s54
	v_floor_f32_e32 v5, v5
	s_mov_b32 s54, 0xcf800000
	v_cvt_u32_f32_e32 v82, v5
	v_fma_f32 v5, v5, s54, |v4|
	v_cvt_u32_f32_e32 v5, v5
	v_ashrrev_i32_e32 v83, 31, v4
	v_xor_b32_e32 v82, v82, v83
	v_xor_b32_e32 v4, v5, v83
	v_sub_co_u32_e32 v4, vcc, v4, v83
	v_subb_co_u32_e32 v5, vcc, v82, v83, vcc
	flat_store_dwordx2 v[2:3], v[4:5]
                                        ; implicit-def: $vgpr4
                                        ; implicit-def: $vgpr2_vgpr3
.LBB14_5613:
	s_andn2_saveexec_b64 vcc, s[52:53]
	s_cbranch_execz .LBB14_5615
; %bb.5614:
	v_cvt_i32_f32_e32 v4, v4
	flat_store_dword v[2:3], v4
.LBB14_5615:
	s_or_b64 exec, exec, vcc
                                        ; implicit-def: $vgpr4
                                        ; implicit-def: $vgpr2_vgpr3
.LBB14_5616:
	s_andn2_saveexec_b64 vcc, s[50:51]
	s_cbranch_execz .LBB14_5618
; %bb.5617:
	v_cvt_i32_f32_e32 v4, v4
	flat_store_short v[2:3], v4
.LBB14_5618:
	s_or_b64 exec, exec, vcc
                                        ; implicit-def: $vgpr4
                                        ; implicit-def: $vgpr2_vgpr3
.LBB14_5619:
	s_andn2_saveexec_b64 vcc, s[48:49]
	s_cbranch_execz .LBB14_5625
; %bb.5620:
	v_mov_b32_e32 v5, 0
	v_cmp_gt_i16_sdwa s[48:49], v11, v5 src0_sel:BYTE_0 src1_sel:DWORD
	s_and_saveexec_b64 s[50:51], s[48:49]
	s_xor_b64 s[48:49], exec, s[50:51]
	s_cbranch_execz .LBB14_5622
; %bb.5621:
	v_cvt_i32_f32_e32 v4, v4
	flat_store_byte v[2:3], v4
                                        ; implicit-def: $vgpr4
                                        ; implicit-def: $vgpr2_vgpr3
.LBB14_5622:
	s_andn2_saveexec_b64 s[48:49], s[48:49]
	s_cbranch_execz .LBB14_5624
; %bb.5623:
	v_trunc_f32_e32 v4, v4
	s_mov_b32 s50, 0x2f800000
	v_mul_f32_e64 v5, |v4|, s50
	v_floor_f32_e32 v5, v5
	s_mov_b32 s50, 0xcf800000
	v_fma_f32 v5, v5, s50, |v4|
	v_cvt_u32_f32_e32 v5, v5
	v_ashrrev_i32_e32 v4, 31, v4
	v_xor_b32_e32 v5, v5, v4
	v_sub_u32_e32 v4, v5, v4
	flat_store_byte v[2:3], v4
.LBB14_5624:
	s_or_b64 exec, exec, s[48:49]
.LBB14_5625:
	s_or_b64 exec, exec, vcc
.LBB14_5626:
	s_or_b64 exec, exec, s[46:47]
	s_or_b64 s[42:43], s[42:43], exec
	s_or_b64 exec, exec, s[38:39]
	s_mov_b64 vcc, 0
	s_and_saveexec_b64 s[38:39], s[42:43]
	s_cbranch_execnz .LBB14_3832
	s_branch .LBB14_3833
.LBB14_5627:
	v_bfe_u32 v5, v4, 21, 1
	s_mov_b32 s34, 0x88fffff
	v_add3_u32 v5, v4, v5, s34
	s_mov_b64 s[30:31], exec
	v_lshrrev_b32_e32 v5, 21, v5
	s_or_saveexec_b64 s[34:35], vcc
                                        ; implicit-def: $sgpr36
	s_xor_b64 exec, exec, s[34:35]
	s_cbranch_execz .LBB14_4809
.LBB14_5628:
	s_mov_b32 s36, 0x42800000
	v_add_f32_e64 v5, |v4|, s36
	v_and_b32_e32 v5, 0xff, v5
	v_cmp_ne_u32_e32 vcc, 0, v5
	s_andn2_b64 s[30:31], s[30:31], exec
	s_and_b64 vcc, vcc, exec
	s_mov_b32 s36, 0
	s_or_b64 s[30:31], s[30:31], vcc
	s_or_b64 exec, exec, s[34:35]
	v_mov_b32_e32 v102, s36
	s_and_saveexec_b64 vcc, s[30:31]
	s_cbranch_execnz .LBB14_4810
	s_branch .LBB14_4811
.LBB14_5629:
	v_bfe_u32 v5, v4, 20, 1
	s_mov_b32 s36, 0x487ffff
	v_add3_u32 v5, v4, v5, s36
	s_mov_b64 s[34:35], exec
	v_lshrrev_b32_e32 v5, 20, v5
	s_or_saveexec_b64 s[36:37], vcc
                                        ; implicit-def: $sgpr38
	s_xor_b64 exec, exec, s[36:37]
	s_cbranch_execz .LBB14_4919
.LBB14_5630:
	s_mov_b32 s38, 0x46000000
	v_add_f32_e64 v5, |v4|, s38
	v_and_b32_e32 v5, 0xff, v5
	v_cmp_ne_u32_e32 vcc, 0, v5
	s_andn2_b64 s[34:35], s[34:35], exec
	s_and_b64 vcc, vcc, exec
	s_mov_b32 s38, 0
	s_or_b64 s[34:35], s[34:35], vcc
	s_or_b64 exec, exec, s[36:37]
	v_mov_b32_e32 v100, s38
	s_and_saveexec_b64 vcc, s[34:35]
	s_cbranch_execnz .LBB14_4920
	s_branch .LBB14_4921
.LBB14_5631:
	v_mov_b32_e32 v5, 25
	v_cmp_gt_i16_sdwa vcc, v11, v5 src0_sel:BYTE_0 src1_sel:DWORD
	s_mov_b64 s[46:47], s[38:39]
	s_and_saveexec_b64 s[48:49], vcc
	s_xor_b64 s[48:49], exec, s[48:49]
	s_cbranch_execz .LBB14_5667
; %bb.5632:
	v_mov_b32_e32 v5, 28
	v_cmp_gt_i16_sdwa vcc, v11, v5 src0_sel:BYTE_0 src1_sel:DWORD
	s_mov_b64 s[50:51], 0
	s_mov_b64 s[52:53], s[38:39]
	s_and_saveexec_b64 s[44:45], vcc
	s_xor_b64 s[44:45], exec, s[44:45]
	s_cbranch_execz .LBB14_5650
; %bb.5633:
	v_mov_b32_e32 v5, 43
	s_mov_b64 s[46:47], s[4:5]
	v_cmp_gt_i16_sdwa s[50:51], v11, v5 src0_sel:BYTE_0 src1_sel:DWORD
	s_mov_b64 s[4:5], 0
	s_mov_b64 vcc, s[38:39]
	s_and_saveexec_b64 s[52:53], s[50:51]
	s_xor_b64 s[50:51], exec, s[52:53]
	s_cbranch_execz .LBB14_5645
; %bb.5634:
	v_mov_b32_e32 v5, 45
	v_cmp_gt_i16_sdwa s[4:5], v11, v5 src0_sel:BYTE_0 src1_sel:DWORD
	s_mov_b64 s[52:53], 0
	s_mov_b64 s[54:55], s[38:39]
	s_and_saveexec_b64 vcc, s[4:5]
	s_xor_b64 s[4:5], exec, vcc
	s_cbranch_execz .LBB14_5638
; %bb.5635:
	v_mov_b32_e32 v5, 46
	v_cmp_eq_u16_sdwa s[56:57], v11, v5 src0_sel:BYTE_0 src1_sel:DWORD
	s_mov_b64 vcc, -1
	s_and_saveexec_b64 s[54:55], s[56:57]
	s_cbranch_execz .LBB14_5637
; %bb.5636:
	v_bfe_u32 v5, v4, 16, 1
	s_movk_i32 vcc_lo, 0x7fff
	v_add3_u32 v5, v4, v5, vcc_lo
	v_lshrrev_b32_e32 v5, 16, v5
	v_mov_b32_e32 v80, 0x7fc0
	v_cmp_o_f32_e32 vcc, v4, v4
	v_cndmask_b32_e32 v4, v80, v5, vcc
	s_mov_b64 s[52:53], exec
	flat_store_dword v[2:3], v4
	s_xor_b64 vcc, exec, -1
.LBB14_5637:
	s_or_b64 exec, exec, s[54:55]
	s_andn2_b64 s[54:55], s[38:39], exec
	s_and_b64 vcc, vcc, exec
	s_or_b64 s[54:55], s[54:55], vcc
	s_and_b64 s[52:53], s[52:53], exec
                                        ; implicit-def: $vgpr2_vgpr3
                                        ; implicit-def: $vgpr4
.LBB14_5638:
	s_andn2_saveexec_b64 s[56:57], s[4:5]
	s_cbranch_execz .LBB14_5644
; %bb.5639:
	v_mov_b32_e32 v5, 44
	v_cmp_eq_u16_sdwa s[60:61], v11, v5 src0_sel:BYTE_0 src1_sel:DWORD
	s_mov_b64 vcc, -1
	s_mov_b64 s[4:5], s[52:53]
	s_and_saveexec_b64 s[58:59], s[60:61]
	s_cbranch_execz .LBB14_5643
; %bb.5640:
	v_bfe_u32 v5, v4, 23, 8
	s_movk_i32 s4, 0xff
	v_cmp_ne_u32_e32 vcc, s4, v5
	v_mov_b32_e32 v80, 0xff
	s_and_saveexec_b64 s[60:61], vcc
; %bb.5641:
	s_mov_b32 s4, 0x3fffff
	v_lshrrev_b32_e32 v80, 23, v4
	v_and_b32_e32 v81, 0x400000, v4
	v_and_or_b32 v4, v4, s4, v5
	v_cmp_ne_u32_e32 vcc, 0, v81
	v_cmp_ne_u32_e64 s[4:5], 0, v4
	s_and_b64 s[4:5], vcc, s[4:5]
	v_cndmask_b32_e64 v4, 0, 1, s[4:5]
	v_add_u32_e32 v80, v80, v4
; %bb.5642:
	s_or_b64 exec, exec, s[60:61]
	s_xor_b64 vcc, exec, -1
	s_or_b64 s[4:5], s[52:53], exec
	flat_store_byte v[2:3], v80
.LBB14_5643:
	s_or_b64 exec, exec, s[58:59]
	s_andn2_b64 s[54:55], s[54:55], exec
	s_and_b64 vcc, vcc, exec
	s_or_b64 s[54:55], s[54:55], vcc
	s_andn2_b64 vcc, s[52:53], exec
	s_and_b64 s[4:5], s[4:5], exec
	s_or_b64 s[52:53], vcc, s[4:5]
.LBB14_5644:
	s_or_b64 exec, exec, s[56:57]
	s_andn2_b64 s[4:5], s[38:39], exec
	s_and_b64 vcc, s[54:55], exec
	s_or_b64 vcc, s[4:5], vcc
	s_and_b64 s[4:5], s[52:53], exec
                                        ; implicit-def: $vgpr4
                                        ; implicit-def: $vgpr2_vgpr3
.LBB14_5645:
	s_andn2_saveexec_b64 s[50:51], s[50:51]
	s_cbranch_execz .LBB14_5649
; %bb.5646:
	v_mov_b32_e32 v5, 29
	v_cmp_eq_u16_sdwa s[58:59], v11, v5 src0_sel:BYTE_0 src1_sel:DWORD
	s_mov_b64 s[56:57], -1
	s_mov_b64 s[54:55], s[4:5]
	s_and_saveexec_b64 s[52:53], s[58:59]
	s_cbranch_execz .LBB14_5648
; %bb.5647:
	v_trunc_f32_e32 v4, v4
	v_mul_f32_e32 v5, 0x2f800000, v4
	v_floor_f32_e32 v80, v5
	v_fmac_f32_e32 v4, 0xcf800000, v80
	v_cvt_u32_f32_e32 v5, v80
	v_cvt_u32_f32_e32 v4, v4
	s_xor_b64 s[56:57], exec, -1
	s_or_b64 s[54:55], s[4:5], exec
	flat_store_dwordx2 v[2:3], v[4:5]
.LBB14_5648:
	s_or_b64 exec, exec, s[52:53]
	s_andn2_b64 vcc, vcc, exec
	s_and_b64 s[52:53], s[56:57], exec
	s_or_b64 vcc, vcc, s[52:53]
	s_andn2_b64 s[4:5], s[4:5], exec
	s_and_b64 s[52:53], s[54:55], exec
	s_or_b64 s[4:5], s[4:5], s[52:53]
.LBB14_5649:
	s_or_b64 exec, exec, s[50:51]
	s_andn2_b64 s[50:51], s[38:39], exec
	s_and_b64 vcc, vcc, exec
	s_or_b64 s[52:53], s[50:51], vcc
	s_and_b64 s[50:51], s[4:5], exec
	s_mov_b64 s[4:5], s[46:47]
                                        ; implicit-def: $vgpr2_vgpr3
                                        ; implicit-def: $vgpr4
.LBB14_5650:
	s_andn2_saveexec_b64 s[44:45], s[44:45]
	s_cbranch_execz .LBB14_5666
; %bb.5651:
	v_mov_b32_e32 v5, 26
	v_cmp_gt_i16_sdwa vcc, v11, v5 src0_sel:BYTE_0 src1_sel:DWORD
	s_and_saveexec_b64 s[46:47], vcc
	s_xor_b64 vcc, exec, s[46:47]
	s_cbranch_execz .LBB14_5657
; %bb.5652:
	v_cvt_u32_f32_e32 v4, v4
	v_mov_b32_e32 v5, 27
	v_cmp_gt_i16_sdwa s[46:47], v11, v5 src0_sel:BYTE_0 src1_sel:DWORD
	s_and_saveexec_b64 s[54:55], s[46:47]
	s_xor_b64 s[46:47], exec, s[54:55]
	s_cbranch_execz .LBB14_5654
; %bb.5653:
	flat_store_dword v[2:3], v4
                                        ; implicit-def: $vgpr2_vgpr3
                                        ; implicit-def: $vgpr4
.LBB14_5654:
	s_andn2_saveexec_b64 s[46:47], s[46:47]
	s_cbranch_execz .LBB14_5656
; %bb.5655:
	flat_store_short v[2:3], v4
.LBB14_5656:
	s_or_b64 exec, exec, s[46:47]
                                        ; implicit-def: $vgpr2_vgpr3
                                        ; implicit-def: $vgpr4
.LBB14_5657:
	s_andn2_saveexec_b64 s[46:47], vcc
	s_cbranch_execz .LBB14_5665
; %bb.5658:
	v_and_b32_e32 v5, 0x7fffffff, v4
	s_mov_b32 vcc_lo, 0x43800000
	v_cmp_gt_u32_e32 vcc, vcc_lo, v5
	v_mov_b32_e32 v80, 0x80
	s_and_saveexec_b64 s[54:55], vcc
	s_cbranch_execz .LBB14_5664
; %bb.5659:
	s_mov_b32 vcc_lo, 0x3bffffff
	v_cmp_lt_u32_e32 vcc, vcc_lo, v5
	s_mov_b64 s[56:57], 0
                                        ; implicit-def: $vgpr5
	s_and_saveexec_b64 s[58:59], vcc
	s_xor_b64 vcc, exec, s[58:59]
	s_cbranch_execnz .LBB14_6385
; %bb.5660:
	s_or_saveexec_b64 s[58:59], vcc
                                        ; implicit-def: $sgpr60
	s_xor_b64 exec, exec, s[58:59]
	s_cbranch_execnz .LBB14_6386
.LBB14_5661:
	s_or_b64 exec, exec, s[58:59]
	v_mov_b32_e32 v80, s60
	s_and_saveexec_b64 vcc, s[56:57]
.LBB14_5662:
	v_lshrrev_b32_e32 v4, 24, v4
	s_movk_i32 s56, 0x80
	v_and_or_b32 v80, v4, s56, v5
.LBB14_5663:
	s_or_b64 exec, exec, vcc
.LBB14_5664:
	s_or_b64 exec, exec, s[54:55]
	flat_store_byte v[2:3], v80
.LBB14_5665:
	s_or_b64 exec, exec, s[46:47]
	s_or_b64 s[50:51], s[50:51], exec
.LBB14_5666:
	s_or_b64 exec, exec, s[44:45]
	s_andn2_b64 vcc, s[38:39], exec
	s_and_b64 s[44:45], s[52:53], exec
	s_or_b64 s[46:47], vcc, s[44:45]
	s_and_b64 s[44:45], s[50:51], exec
                                        ; implicit-def: $vgpr4
                                        ; implicit-def: $vgpr2_vgpr3
.LBB14_5667:
	s_andn2_saveexec_b64 s[48:49], s[48:49]
	s_cbranch_execz .LBB14_5711
; %bb.5668:
	v_mov_b32_e32 v5, 22
	v_cmp_gt_i16_sdwa vcc, v11, v5 src0_sel:BYTE_0 src1_sel:DWORD
	s_mov_b64 s[52:53], s[44:45]
	s_and_saveexec_b64 s[50:51], vcc
	s_xor_b64 s[50:51], exec, s[50:51]
	s_cbranch_execz .LBB14_5700
; %bb.5669:
	v_mov_b32_e32 v5, 23
	v_cmp_gt_i16_sdwa vcc, v11, v5 src0_sel:BYTE_0 src1_sel:DWORD
	s_and_saveexec_b64 s[52:53], vcc
	s_xor_b64 s[52:53], exec, s[52:53]
	s_cbranch_execz .LBB14_5689
; %bb.5670:
	v_mov_b32_e32 v5, 24
	v_cmp_gt_i16_sdwa vcc, v11, v5 src0_sel:BYTE_0 src1_sel:DWORD
	s_and_saveexec_b64 s[54:55], vcc
	s_xor_b64 s[54:55], exec, s[54:55]
	s_cbranch_execz .LBB14_5678
; %bb.5671:
	v_and_b32_e32 v5, 0x7fffffff, v4
	s_mov_b32 vcc_lo, 0x47800000
	v_cmp_gt_u32_e32 vcc, vcc_lo, v5
	v_mov_b32_e32 v80, 0x80
	s_and_saveexec_b64 s[56:57], vcc
	s_cbranch_execz .LBB14_5677
; %bb.5672:
	s_mov_b32 vcc_lo, 0x37ffffff
	v_cmp_lt_u32_e32 vcc, vcc_lo, v5
	s_mov_b64 s[58:59], 0
                                        ; implicit-def: $vgpr5
	s_and_saveexec_b64 s[60:61], vcc
	s_xor_b64 vcc, exec, s[60:61]
	s_cbranch_execnz .LBB14_6509
; %bb.5673:
	s_or_saveexec_b64 s[60:61], vcc
                                        ; implicit-def: $sgpr62
	s_xor_b64 exec, exec, s[60:61]
	s_cbranch_execnz .LBB14_6510
.LBB14_5674:
	s_or_b64 exec, exec, s[60:61]
	v_mov_b32_e32 v80, s62
	s_and_saveexec_b64 vcc, s[58:59]
.LBB14_5675:
	v_lshrrev_b32_e32 v4, 24, v4
	s_movk_i32 s58, 0x80
	v_and_or_b32 v80, v4, s58, v5
.LBB14_5676:
	s_or_b64 exec, exec, vcc
.LBB14_5677:
	s_or_b64 exec, exec, s[56:57]
	flat_store_byte v[2:3], v80
                                        ; implicit-def: $vgpr4
                                        ; implicit-def: $vgpr2_vgpr3
.LBB14_5678:
	s_andn2_saveexec_b64 s[54:55], s[54:55]
	s_cbranch_execz .LBB14_5688
; %bb.5679:
	v_and_b32_e32 v80, 0x7fffffff, v4
	s_mov_b32 vcc_lo, 0x43f00000
	v_cmp_gt_u32_e32 vcc, vcc_lo, v80
                                        ; implicit-def: $vgpr5
	s_and_saveexec_b64 s[56:57], vcc
	s_xor_b64 s[56:57], exec, s[56:57]
	s_cbranch_execz .LBB14_5685
; %bb.5680:
	s_mov_b32 vcc_lo, 0x3c7fffff
	v_cmp_lt_u32_e32 vcc, vcc_lo, v80
                                        ; implicit-def: $vgpr5
	s_and_saveexec_b64 s[58:59], vcc
	s_xor_b64 s[58:59], exec, s[58:59]
; %bb.5681:
	v_bfe_u32 v5, v4, 20, 1
	s_mov_b32 vcc_lo, 0x407ffff
	v_add3_u32 v5, v4, v5, vcc_lo
	v_lshrrev_b32_e32 v80, 20, v5
	v_and_b32_e32 v5, 0xff00000, v5
	s_mov_b32 vcc_lo, 0x7f00000
	v_mov_b32_e32 v81, 0x7e
	v_cmp_ne_u32_e32 vcc, vcc_lo, v5
	v_cndmask_b32_e32 v5, v81, v80, vcc
; %bb.5682:
	s_andn2_saveexec_b64 vcc, s[58:59]
; %bb.5683:
	s_mov_b32 s58, 0x46800000
	v_add_f32_e64 v5, |v4|, s58
; %bb.5684:
	s_or_b64 exec, exec, vcc
                                        ; implicit-def: $vgpr80
.LBB14_5685:
	s_andn2_saveexec_b64 s[56:57], s[56:57]
; %bb.5686:
	s_mov_b32 vcc_lo, 0x7f800000
	v_mov_b32_e32 v5, 0x7e
	v_mov_b32_e32 v81, 0x7f
	v_cmp_lt_u32_e32 vcc, vcc_lo, v80
	v_cndmask_b32_e32 v5, v5, v81, vcc
; %bb.5687:
	s_or_b64 exec, exec, s[56:57]
	v_lshrrev_b32_e32 v4, 24, v4
	s_movk_i32 vcc_lo, 0x80
	v_and_or_b32 v4, v4, vcc_lo, v5
	flat_store_byte v[2:3], v4
.LBB14_5688:
	s_or_b64 exec, exec, s[54:55]
                                        ; implicit-def: $vgpr4
                                        ; implicit-def: $vgpr2_vgpr3
.LBB14_5689:
	s_andn2_saveexec_b64 s[52:53], s[52:53]
	s_cbranch_execz .LBB14_5699
; %bb.5690:
	v_and_b32_e32 v80, 0x7fffffff, v4
	s_mov_b32 vcc_lo, 0x47800000
	v_cmp_gt_u32_e32 vcc, vcc_lo, v80
                                        ; implicit-def: $vgpr5
	s_and_saveexec_b64 s[54:55], vcc
	s_xor_b64 s[54:55], exec, s[54:55]
	s_cbranch_execz .LBB14_5696
; %bb.5691:
	s_mov_b32 vcc_lo, 0x387fffff
	v_cmp_lt_u32_e32 vcc, vcc_lo, v80
                                        ; implicit-def: $vgpr5
	s_and_saveexec_b64 s[56:57], vcc
	s_xor_b64 vcc, exec, s[56:57]
; %bb.5692:
	v_bfe_u32 v5, v4, 21, 1
	s_mov_b32 s56, 0x80fffff
	v_add3_u32 v5, v4, v5, s56
	v_lshrrev_b32_e32 v5, 21, v5
; %bb.5693:
	s_andn2_saveexec_b64 vcc, vcc
; %bb.5694:
	s_mov_b32 s56, 0x43000000
	v_add_f32_e64 v5, |v4|, s56
; %bb.5695:
	s_or_b64 exec, exec, vcc
                                        ; implicit-def: $vgpr80
.LBB14_5696:
	s_andn2_saveexec_b64 s[54:55], s[54:55]
; %bb.5697:
	s_mov_b32 vcc_lo, 0x7f800000
	v_mov_b32_e32 v5, 0x7c
	v_mov_b32_e32 v81, 0x7f
	v_cmp_lt_u32_e32 vcc, vcc_lo, v80
	v_cndmask_b32_e32 v5, v5, v81, vcc
; %bb.5698:
	s_or_b64 exec, exec, s[54:55]
	v_lshrrev_b32_e32 v4, 24, v4
	s_movk_i32 vcc_lo, 0x80
	v_and_or_b32 v4, v4, vcc_lo, v5
	flat_store_byte v[2:3], v4
.LBB14_5699:
	s_or_b64 exec, exec, s[52:53]
	s_or_b64 s[52:53], s[44:45], exec
                                        ; implicit-def: $vgpr4
                                        ; implicit-def: $vgpr2_vgpr3
.LBB14_5700:
	s_or_saveexec_b64 s[50:51], s[50:51]
	s_mov_b64 vcc, s[46:47]
	s_xor_b64 exec, exec, s[50:51]
	s_cbranch_execz .LBB14_5710
; %bb.5701:
	v_mov_b32_e32 v5, 14
	v_cmp_gt_i16_sdwa vcc, v11, v5 src0_sel:BYTE_0 src1_sel:DWORD
	s_mov_b64 s[54:55], s[52:53]
	s_mov_b64 s[56:57], s[46:47]
	s_and_saveexec_b64 s[58:59], vcc
	s_xor_b64 s[58:59], exec, s[58:59]
	s_cbranch_execz .LBB14_5705
; %bb.5702:
	v_mov_b32_e32 v5, 15
	v_cmp_eq_u16_sdwa s[60:61], v11, v5 src0_sel:BYTE_0 src1_sel:DWORD
	s_mov_b64 s[56:57], -1
	s_mov_b64 vcc, s[52:53]
	s_and_saveexec_b64 s[54:55], s[60:61]
	s_cbranch_execz .LBB14_5704
; %bb.5703:
	v_bfe_u32 v5, v4, 16, 1
	s_movk_i32 vcc_lo, 0x7fff
	v_add3_u32 v5, v4, v5, vcc_lo
	v_lshrrev_b32_e32 v5, 16, v5
	v_mov_b32_e32 v80, 0x7fc0
	v_cmp_o_f32_e32 vcc, v4, v4
	v_cndmask_b32_e32 v4, v80, v5, vcc
	flat_store_short v[2:3], v4
	s_xor_b64 s[56:57], exec, -1
	s_or_b64 vcc, s[52:53], exec
.LBB14_5704:
	s_or_b64 exec, exec, s[54:55]
	s_andn2_b64 s[54:55], s[46:47], exec
	s_and_b64 s[56:57], s[56:57], exec
	s_or_b64 s[56:57], s[54:55], s[56:57]
	s_andn2_b64 s[54:55], s[52:53], exec
	s_and_b64 vcc, vcc, exec
	s_or_b64 s[54:55], s[54:55], vcc
                                        ; implicit-def: $vgpr4
                                        ; implicit-def: $vgpr2_vgpr3
.LBB14_5705:
	s_andn2_saveexec_b64 s[58:59], s[58:59]
	s_cbranch_execz .LBB14_5709
; %bb.5706:
	v_mov_b32_e32 v5, 11
	v_cmp_eq_u16_sdwa s[64:65], v11, v5 src0_sel:BYTE_0 src1_sel:DWORD
	s_mov_b64 s[60:61], -1
	s_mov_b64 vcc, s[54:55]
	s_and_saveexec_b64 s[62:63], s[64:65]
	s_cbranch_execz .LBB14_5708
; %bb.5707:
	v_cmp_neq_f32_e32 vcc, 0, v4
	v_cndmask_b32_e64 v4, 0, 1, vcc
	flat_store_byte v[2:3], v4
	s_xor_b64 s[60:61], exec, -1
	s_or_b64 vcc, s[54:55], exec
.LBB14_5708:
	s_or_b64 exec, exec, s[62:63]
	s_andn2_b64 s[56:57], s[56:57], exec
	s_and_b64 s[60:61], s[60:61], exec
	s_andn2_b64 s[54:55], s[54:55], exec
	s_and_b64 vcc, vcc, exec
	s_or_b64 s[56:57], s[56:57], s[60:61]
	s_or_b64 s[54:55], s[54:55], vcc
.LBB14_5709:
	s_or_b64 exec, exec, s[58:59]
	s_andn2_b64 vcc, s[46:47], exec
	s_and_b64 s[56:57], s[56:57], exec
	s_andn2_b64 s[52:53], s[52:53], exec
	s_and_b64 s[54:55], s[54:55], exec
	s_or_b64 vcc, vcc, s[56:57]
	s_or_b64 s[52:53], s[52:53], s[54:55]
.LBB14_5710:
	s_or_b64 exec, exec, s[50:51]
	s_andn2_b64 s[46:47], s[46:47], exec
	s_and_b64 vcc, vcc, exec
	s_or_b64 s[46:47], s[46:47], vcc
	s_andn2_b64 vcc, s[44:45], exec
	s_and_b64 s[44:45], s[52:53], exec
	s_or_b64 s[44:45], vcc, s[44:45]
.LBB14_5711:
	s_or_b64 exec, exec, s[48:49]
	s_andn2_b64 vcc, s[38:39], exec
	s_and_b64 s[46:47], s[46:47], exec
	s_or_b64 s[46:47], vcc, s[46:47]
	s_and_b64 s[44:45], s[44:45], exec
                                        ; implicit-def: $vgpr4
                                        ; implicit-def: $vgpr2_vgpr3
	s_andn2_saveexec_b64 s[42:43], s[42:43]
	s_cbranch_execz .LBB14_3838
.LBB14_5712:
	v_mov_b32_e32 v5, 4
	v_cmp_gt_i16_sdwa vcc, v11, v5 src0_sel:BYTE_0 src1_sel:DWORD
	s_and_saveexec_b64 s[48:49], vcc
	s_xor_b64 vcc, exec, s[48:49]
	s_cbranch_execz .LBB14_5734
; %bb.5713:
	v_mov_b32_e32 v5, 7
	v_cmp_gt_i16_sdwa s[48:49], v11, v5 src0_sel:BYTE_0 src1_sel:DWORD
	s_and_saveexec_b64 s[50:51], s[48:49]
	s_xor_b64 s[48:49], exec, s[50:51]
	s_cbranch_execz .LBB14_5723
; %bb.5714:
	v_mov_b32_e32 v5, 8
	v_cmp_gt_i16_sdwa s[50:51], v11, v5 src0_sel:BYTE_0 src1_sel:DWORD
	s_and_saveexec_b64 s[52:53], s[50:51]
	s_xor_b64 s[50:51], exec, s[52:53]
	;; [unrolled: 6-line block ×3, first 2 shown]
	s_cbranch_execz .LBB14_5717
; %bb.5716:
	v_mov_b32_e32 v82, 0
	v_cvt_f64_f32_e32 v[80:81], v4
	v_mov_b32_e32 v83, v82
	flat_store_dwordx4 v[2:3], v[80:83]
                                        ; implicit-def: $vgpr4
                                        ; implicit-def: $vgpr2_vgpr3
.LBB14_5717:
	s_andn2_saveexec_b64 s[52:53], s[52:53]
	s_cbranch_execz .LBB14_5719
; %bb.5718:
	v_mov_b32_e32 v5, 0
	flat_store_dwordx2 v[2:3], v[4:5]
.LBB14_5719:
	s_or_b64 exec, exec, s[52:53]
                                        ; implicit-def: $vgpr4
                                        ; implicit-def: $vgpr2_vgpr3
.LBB14_5720:
	s_andn2_saveexec_b64 s[50:51], s[50:51]
	s_cbranch_execz .LBB14_5722
; %bb.5721:
	v_cvt_f16_f32_e32 v4, v4
	flat_store_dword v[2:3], v4
.LBB14_5722:
	s_or_b64 exec, exec, s[50:51]
                                        ; implicit-def: $vgpr4
                                        ; implicit-def: $vgpr2_vgpr3
.LBB14_5723:
	s_andn2_saveexec_b64 s[48:49], s[48:49]
	s_cbranch_execz .LBB14_5733
; %bb.5724:
	v_mov_b32_e32 v5, 5
	v_cmp_gt_i16_sdwa s[50:51], v11, v5 src0_sel:BYTE_0 src1_sel:DWORD
	s_and_saveexec_b64 s[52:53], s[50:51]
	s_xor_b64 s[50:51], exec, s[52:53]
	s_cbranch_execz .LBB14_5730
; %bb.5725:
	v_mov_b32_e32 v5, 6
	v_cmp_gt_i16_sdwa s[52:53], v11, v5 src0_sel:BYTE_0 src1_sel:DWORD
	s_and_saveexec_b64 s[54:55], s[52:53]
	s_xor_b64 s[52:53], exec, s[54:55]
	s_cbranch_execz .LBB14_5727
; %bb.5726:
	v_cvt_f64_f32_e32 v[4:5], v4
	flat_store_dwordx2 v[2:3], v[4:5]
                                        ; implicit-def: $vgpr2_vgpr3
                                        ; implicit-def: $vgpr4
.LBB14_5727:
	s_andn2_saveexec_b64 s[52:53], s[52:53]
	s_cbranch_execz .LBB14_5729
; %bb.5728:
	flat_store_dword v[2:3], v4
.LBB14_5729:
	s_or_b64 exec, exec, s[52:53]
                                        ; implicit-def: $vgpr4
                                        ; implicit-def: $vgpr2_vgpr3
.LBB14_5730:
	s_andn2_saveexec_b64 s[50:51], s[50:51]
	s_cbranch_execz .LBB14_5732
; %bb.5731:
	v_cvt_f16_f32_e32 v4, v4
	flat_store_short v[2:3], v4
.LBB14_5732:
	s_or_b64 exec, exec, s[50:51]
.LBB14_5733:
	s_or_b64 exec, exec, s[48:49]
                                        ; implicit-def: $vgpr4
                                        ; implicit-def: $vgpr2_vgpr3
.LBB14_5734:
	s_andn2_saveexec_b64 s[48:49], vcc
	s_cbranch_execz .LBB14_5752
; %bb.5735:
	v_mov_b32_e32 v5, 1
	v_cmp_gt_i16_sdwa vcc, v11, v5 src0_sel:BYTE_0 src1_sel:DWORD
	s_and_saveexec_b64 s[50:51], vcc
	s_xor_b64 s[50:51], exec, s[50:51]
	s_cbranch_execz .LBB14_5745
; %bb.5736:
	v_mov_b32_e32 v5, 2
	v_cmp_gt_i16_sdwa vcc, v11, v5 src0_sel:BYTE_0 src1_sel:DWORD
	s_and_saveexec_b64 s[52:53], vcc
	s_xor_b64 s[52:53], exec, s[52:53]
	;; [unrolled: 6-line block ×3, first 2 shown]
	s_cbranch_execz .LBB14_5739
; %bb.5738:
	v_trunc_f32_e32 v4, v4
	s_mov_b32 s56, 0x2f800000
	v_mul_f32_e64 v5, |v4|, s56
	v_floor_f32_e32 v5, v5
	s_mov_b32 s56, 0xcf800000
	v_cvt_u32_f32_e32 v80, v5
	v_fma_f32 v5, v5, s56, |v4|
	v_cvt_u32_f32_e32 v5, v5
	v_ashrrev_i32_e32 v81, 31, v4
	v_xor_b32_e32 v80, v80, v81
	v_xor_b32_e32 v4, v5, v81
	v_sub_co_u32_e32 v4, vcc, v4, v81
	v_subb_co_u32_e32 v5, vcc, v80, v81, vcc
	flat_store_dwordx2 v[2:3], v[4:5]
                                        ; implicit-def: $vgpr4
                                        ; implicit-def: $vgpr2_vgpr3
.LBB14_5739:
	s_andn2_saveexec_b64 vcc, s[54:55]
	s_cbranch_execz .LBB14_5741
; %bb.5740:
	v_cvt_i32_f32_e32 v4, v4
	flat_store_dword v[2:3], v4
.LBB14_5741:
	s_or_b64 exec, exec, vcc
                                        ; implicit-def: $vgpr4
                                        ; implicit-def: $vgpr2_vgpr3
.LBB14_5742:
	s_andn2_saveexec_b64 vcc, s[52:53]
	s_cbranch_execz .LBB14_5744
; %bb.5743:
	v_cvt_i32_f32_e32 v4, v4
	flat_store_short v[2:3], v4
.LBB14_5744:
	s_or_b64 exec, exec, vcc
                                        ; implicit-def: $vgpr4
                                        ; implicit-def: $vgpr2_vgpr3
.LBB14_5745:
	s_andn2_saveexec_b64 vcc, s[50:51]
	s_cbranch_execz .LBB14_5751
; %bb.5746:
	v_mov_b32_e32 v5, 0
	v_cmp_gt_i16_sdwa s[50:51], v11, v5 src0_sel:BYTE_0 src1_sel:DWORD
	s_and_saveexec_b64 s[52:53], s[50:51]
	s_xor_b64 s[50:51], exec, s[52:53]
	s_cbranch_execz .LBB14_5748
; %bb.5747:
	v_cvt_i32_f32_e32 v4, v4
	flat_store_byte v[2:3], v4
                                        ; implicit-def: $vgpr4
                                        ; implicit-def: $vgpr2_vgpr3
.LBB14_5748:
	s_andn2_saveexec_b64 s[50:51], s[50:51]
	s_cbranch_execz .LBB14_5750
; %bb.5749:
	v_trunc_f32_e32 v4, v4
	s_mov_b32 s52, 0x2f800000
	v_mul_f32_e64 v5, |v4|, s52
	v_floor_f32_e32 v5, v5
	s_mov_b32 s52, 0xcf800000
	v_fma_f32 v5, v5, s52, |v4|
	v_cvt_u32_f32_e32 v5, v5
	v_ashrrev_i32_e32 v4, 31, v4
	v_xor_b32_e32 v5, v5, v4
	v_sub_u32_e32 v4, v5, v4
	flat_store_byte v[2:3], v4
.LBB14_5750:
	s_or_b64 exec, exec, s[50:51]
.LBB14_5751:
	s_or_b64 exec, exec, vcc
.LBB14_5752:
	s_or_b64 exec, exec, s[48:49]
	s_or_b64 s[44:45], s[44:45], exec
	s_or_b64 exec, exec, s[42:43]
	s_mov_b64 vcc, 0
	s_and_saveexec_b64 s[42:43], s[44:45]
	s_cbranch_execnz .LBB14_3839
	s_branch .LBB14_3840
.LBB14_5753:
	v_bfe_u32 v5, v4, 21, 1
	s_mov_b32 s38, 0x88fffff
	v_add3_u32 v5, v4, v5, s38
	s_mov_b64 s[36:37], exec
	v_lshrrev_b32_e32 v5, 21, v5
	s_or_saveexec_b64 s[38:39], vcc
                                        ; implicit-def: $sgpr40
	s_xor_b64 exec, exec, s[38:39]
	s_cbranch_execz .LBB14_4932
.LBB14_5754:
	s_mov_b32 s40, 0x42800000
	v_add_f32_e64 v5, |v4|, s40
	v_and_b32_e32 v5, 0xff, v5
	v_cmp_ne_u32_e32 vcc, 0, v5
	s_andn2_b64 s[36:37], s[36:37], exec
	s_and_b64 vcc, vcc, exec
	s_mov_b32 s40, 0
	s_or_b64 s[36:37], s[36:37], vcc
	s_or_b64 exec, exec, s[38:39]
	v_mov_b32_e32 v100, s40
	s_and_saveexec_b64 vcc, s[36:37]
	s_cbranch_execnz .LBB14_4933
	s_branch .LBB14_4934
.LBB14_5755:
	v_bfe_u32 v5, v4, 20, 1
	s_mov_b32 s40, 0x487ffff
	v_add3_u32 v5, v4, v5, s40
	s_mov_b64 s[38:39], exec
	v_lshrrev_b32_e32 v5, 20, v5
	s_or_saveexec_b64 s[40:41], vcc
                                        ; implicit-def: $sgpr42
	s_xor_b64 exec, exec, s[40:41]
	s_cbranch_execz .LBB14_5041
.LBB14_5756:
	s_mov_b32 s42, 0x46000000
	v_add_f32_e64 v5, |v4|, s42
	v_and_b32_e32 v5, 0xff, v5
	v_cmp_ne_u32_e32 vcc, 0, v5
	s_andn2_b64 s[38:39], s[38:39], exec
	s_and_b64 vcc, vcc, exec
	s_mov_b32 s42, 0
	s_or_b64 s[38:39], s[38:39], vcc
	s_or_b64 exec, exec, s[40:41]
	v_mov_b32_e32 v98, s42
	s_and_saveexec_b64 vcc, s[38:39]
	s_cbranch_execnz .LBB14_5042
	s_branch .LBB14_5043
.LBB14_5757:
	v_mov_b32_e32 v5, 25
	v_cmp_gt_i16_sdwa s[48:49], v11, v5 src0_sel:BYTE_0 src1_sel:DWORD
	s_mov_b64 s[46:47], vcc
	s_and_saveexec_b64 s[50:51], s[48:49]
	s_xor_b64 s[48:49], exec, s[50:51]
	s_cbranch_execz .LBB14_5793
; %bb.5758:
	v_mov_b32_e32 v5, 28
	s_mov_b64 s[50:51], s[4:5]
	v_cmp_gt_i16_sdwa s[44:45], v11, v5 src0_sel:BYTE_0 src1_sel:DWORD
	s_mov_b64 s[4:5], 0
	s_mov_b64 s[46:47], vcc
	s_and_saveexec_b64 s[52:53], s[44:45]
	s_xor_b64 s[44:45], exec, s[52:53]
	s_cbranch_execz .LBB14_5776
; %bb.5759:
	v_mov_b32_e32 v5, 43
	v_cmp_gt_i16_sdwa s[46:47], v11, v5 src0_sel:BYTE_0 src1_sel:DWORD
	s_mov_b64 s[54:55], vcc
	s_and_saveexec_b64 vcc, s[46:47]
	s_xor_b64 s[46:47], exec, vcc
	s_cbranch_execz .LBB14_5771
; %bb.5760:
	v_mov_b32_e32 v5, 45
	v_readlane_b32 s54, v44, 58
	v_cmp_gt_i16_sdwa s[4:5], v11, v5 src0_sel:BYTE_0 src1_sel:DWORD
	s_mov_b64 s[52:53], 0
	v_readlane_b32 s55, v44, 59
	s_and_saveexec_b64 vcc, s[4:5]
	s_xor_b64 s[4:5], exec, vcc
	s_cbranch_execz .LBB14_5764
; %bb.5761:
	v_mov_b32_e32 v5, 46
	v_cmp_eq_u16_sdwa s[56:57], v11, v5 src0_sel:BYTE_0 src1_sel:DWORD
	s_mov_b64 vcc, -1
	s_and_saveexec_b64 s[54:55], s[56:57]
	s_cbranch_execz .LBB14_5763
; %bb.5762:
	v_bfe_u32 v5, v4, 16, 1
	s_movk_i32 vcc_lo, 0x7fff
	v_add3_u32 v5, v4, v5, vcc_lo
	v_lshrrev_b32_e32 v5, 16, v5
	v_mov_b32_e32 v70, 0x7fc0
	v_cmp_o_f32_e32 vcc, v4, v4
	v_cndmask_b32_e32 v4, v70, v5, vcc
	s_mov_b64 s[52:53], exec
	flat_store_dword v[2:3], v4
	s_xor_b64 vcc, exec, -1
.LBB14_5763:
	s_or_b64 exec, exec, s[54:55]
	v_readlane_b32 s54, v44, 58
	v_readlane_b32 s55, v44, 59
	s_andn2_b64 s[54:55], s[54:55], exec
	s_and_b64 vcc, vcc, exec
	s_or_b64 s[54:55], s[54:55], vcc
	s_and_b64 s[52:53], s[52:53], exec
                                        ; implicit-def: $vgpr2_vgpr3
                                        ; implicit-def: $vgpr4
.LBB14_5764:
	s_andn2_saveexec_b64 s[56:57], s[4:5]
	s_cbranch_execz .LBB14_5770
; %bb.5765:
	v_mov_b32_e32 v5, 44
	v_cmp_eq_u16_sdwa s[60:61], v11, v5 src0_sel:BYTE_0 src1_sel:DWORD
	s_mov_b64 vcc, -1
	s_mov_b64 s[4:5], s[52:53]
	s_and_saveexec_b64 s[58:59], s[60:61]
	s_cbranch_execz .LBB14_5769
; %bb.5766:
	v_bfe_u32 v5, v4, 23, 8
	s_movk_i32 s4, 0xff
	v_cmp_ne_u32_e32 vcc, s4, v5
	v_mov_b32_e32 v70, 0xff
	s_and_saveexec_b64 s[60:61], vcc
; %bb.5767:
	s_mov_b32 s4, 0x3fffff
	v_lshrrev_b32_e32 v70, 23, v4
	v_and_b32_e32 v71, 0x400000, v4
	v_and_or_b32 v4, v4, s4, v5
	v_cmp_ne_u32_e32 vcc, 0, v71
	v_cmp_ne_u32_e64 s[4:5], 0, v4
	s_and_b64 s[4:5], vcc, s[4:5]
	v_cndmask_b32_e64 v4, 0, 1, s[4:5]
	v_add_u32_e32 v70, v70, v4
; %bb.5768:
	s_or_b64 exec, exec, s[60:61]
	s_xor_b64 vcc, exec, -1
	s_or_b64 s[4:5], s[52:53], exec
	flat_store_byte v[2:3], v70
.LBB14_5769:
	s_or_b64 exec, exec, s[58:59]
	s_andn2_b64 s[54:55], s[54:55], exec
	s_and_b64 vcc, vcc, exec
	s_or_b64 s[54:55], s[54:55], vcc
	s_andn2_b64 vcc, s[52:53], exec
	s_and_b64 s[4:5], s[4:5], exec
	s_or_b64 s[52:53], vcc, s[4:5]
.LBB14_5770:
	s_or_b64 exec, exec, s[56:57]
	v_readlane_b32 s4, v44, 58
	v_readlane_b32 s5, v44, 59
	s_andn2_b64 s[4:5], s[4:5], exec
	s_and_b64 vcc, s[54:55], exec
	s_or_b64 s[54:55], s[4:5], vcc
	s_and_b64 s[4:5], s[52:53], exec
                                        ; implicit-def: $vgpr4
                                        ; implicit-def: $vgpr2_vgpr3
.LBB14_5771:
	s_andn2_saveexec_b64 vcc, s[46:47]
	s_cbranch_execz .LBB14_5775
; %bb.5772:
	v_mov_b32_e32 v5, 29
	v_cmp_eq_u16_sdwa s[58:59], v11, v5 src0_sel:BYTE_0 src1_sel:DWORD
	s_mov_b64 s[56:57], -1
	s_mov_b64 s[52:53], s[4:5]
	s_and_saveexec_b64 s[46:47], s[58:59]
	s_cbranch_execz .LBB14_5774
; %bb.5773:
	v_trunc_f32_e32 v4, v4
	v_mul_f32_e32 v5, 0x2f800000, v4
	v_floor_f32_e32 v70, v5
	v_fmac_f32_e32 v4, 0xcf800000, v70
	v_cvt_u32_f32_e32 v5, v70
	v_cvt_u32_f32_e32 v4, v4
	s_xor_b64 s[56:57], exec, -1
	s_or_b64 s[52:53], s[4:5], exec
	flat_store_dwordx2 v[2:3], v[4:5]
.LBB14_5774:
	s_or_b64 exec, exec, s[46:47]
	s_andn2_b64 s[46:47], s[54:55], exec
	s_and_b64 s[54:55], s[56:57], exec
	s_or_b64 s[54:55], s[46:47], s[54:55]
	s_andn2_b64 s[4:5], s[4:5], exec
	s_and_b64 s[46:47], s[52:53], exec
	s_or_b64 s[4:5], s[4:5], s[46:47]
.LBB14_5775:
	s_or_b64 exec, exec, vcc
	v_readlane_b32 vcc_lo, v44, 58
	v_readlane_b32 vcc_hi, v44, 59
	s_andn2_b64 s[46:47], vcc, exec
	s_and_b64 s[52:53], s[54:55], exec
	s_or_b64 s[46:47], s[46:47], s[52:53]
	s_and_b64 s[4:5], s[4:5], exec
                                        ; implicit-def: $vgpr2_vgpr3
                                        ; implicit-def: $vgpr4
.LBB14_5776:
	s_andn2_saveexec_b64 s[44:45], s[44:45]
	s_cbranch_execz .LBB14_5792
; %bb.5777:
	v_mov_b32_e32 v5, 26
	v_cmp_gt_i16_sdwa vcc, v11, v5 src0_sel:BYTE_0 src1_sel:DWORD
	s_and_saveexec_b64 s[52:53], vcc
	s_xor_b64 vcc, exec, s[52:53]
	s_cbranch_execz .LBB14_5783
; %bb.5778:
	v_cvt_u32_f32_e32 v4, v4
	v_mov_b32_e32 v5, 27
	v_cmp_gt_i16_sdwa s[52:53], v11, v5 src0_sel:BYTE_0 src1_sel:DWORD
	s_and_saveexec_b64 s[54:55], s[52:53]
	s_xor_b64 s[52:53], exec, s[54:55]
	s_cbranch_execz .LBB14_5780
; %bb.5779:
	flat_store_dword v[2:3], v4
                                        ; implicit-def: $vgpr2_vgpr3
                                        ; implicit-def: $vgpr4
.LBB14_5780:
	s_andn2_saveexec_b64 s[52:53], s[52:53]
	s_cbranch_execz .LBB14_5782
; %bb.5781:
	flat_store_short v[2:3], v4
.LBB14_5782:
	s_or_b64 exec, exec, s[52:53]
                                        ; implicit-def: $vgpr2_vgpr3
                                        ; implicit-def: $vgpr4
.LBB14_5783:
	s_andn2_saveexec_b64 s[52:53], vcc
	s_cbranch_execz .LBB14_5791
; %bb.5784:
	v_and_b32_e32 v5, 0x7fffffff, v4
	s_mov_b32 vcc_lo, 0x43800000
	v_cmp_gt_u32_e32 vcc, vcc_lo, v5
	v_mov_b32_e32 v70, 0x80
	s_and_saveexec_b64 s[54:55], vcc
	s_cbranch_execz .LBB14_5790
; %bb.5785:
	s_mov_b32 vcc_lo, 0x3bffffff
	v_cmp_lt_u32_e32 vcc, vcc_lo, v5
	s_mov_b64 s[56:57], 0
                                        ; implicit-def: $vgpr5
	s_and_saveexec_b64 s[58:59], vcc
	s_xor_b64 vcc, exec, s[58:59]
	s_cbranch_execnz .LBB14_6511
; %bb.5786:
	s_or_saveexec_b64 s[58:59], vcc
                                        ; implicit-def: $sgpr60
	s_xor_b64 exec, exec, s[58:59]
	s_cbranch_execnz .LBB14_6512
.LBB14_5787:
	s_or_b64 exec, exec, s[58:59]
	v_mov_b32_e32 v70, s60
	s_and_saveexec_b64 vcc, s[56:57]
.LBB14_5788:
	v_lshrrev_b32_e32 v4, 24, v4
	s_movk_i32 s56, 0x80
	v_and_or_b32 v70, v4, s56, v5
.LBB14_5789:
	s_or_b64 exec, exec, vcc
.LBB14_5790:
	s_or_b64 exec, exec, s[54:55]
	flat_store_byte v[2:3], v70
.LBB14_5791:
	s_or_b64 exec, exec, s[52:53]
	v_readlane_b32 vcc_lo, v44, 58
	s_or_b64 s[4:5], s[4:5], exec
	v_readlane_b32 vcc_hi, v44, 59
.LBB14_5792:
	s_or_b64 exec, exec, s[44:45]
	s_andn2_b64 s[44:45], vcc, exec
	s_and_b64 s[46:47], s[46:47], exec
	s_or_b64 s[46:47], s[44:45], s[46:47]
	s_and_b64 s[44:45], s[4:5], exec
	s_mov_b64 s[4:5], s[50:51]
                                        ; implicit-def: $vgpr4
                                        ; implicit-def: $vgpr2_vgpr3
.LBB14_5793:
	s_andn2_saveexec_b64 s[48:49], s[48:49]
	s_cbranch_execz .LBB14_5837
; %bb.5794:
	v_mov_b32_e32 v5, 22
	v_cmp_gt_i16_sdwa vcc, v11, v5 src0_sel:BYTE_0 src1_sel:DWORD
	s_mov_b64 s[52:53], s[44:45]
	s_and_saveexec_b64 s[50:51], vcc
	s_xor_b64 s[50:51], exec, s[50:51]
	s_cbranch_execz .LBB14_5826
; %bb.5795:
	v_mov_b32_e32 v5, 23
	v_cmp_gt_i16_sdwa vcc, v11, v5 src0_sel:BYTE_0 src1_sel:DWORD
	s_and_saveexec_b64 s[52:53], vcc
	s_xor_b64 s[52:53], exec, s[52:53]
	s_cbranch_execz .LBB14_5815
; %bb.5796:
	v_mov_b32_e32 v5, 24
	v_cmp_gt_i16_sdwa vcc, v11, v5 src0_sel:BYTE_0 src1_sel:DWORD
	s_and_saveexec_b64 s[54:55], vcc
	s_xor_b64 s[54:55], exec, s[54:55]
	s_cbranch_execz .LBB14_5804
; %bb.5797:
	v_and_b32_e32 v5, 0x7fffffff, v4
	s_mov_b32 vcc_lo, 0x47800000
	v_cmp_gt_u32_e32 vcc, vcc_lo, v5
	v_mov_b32_e32 v70, 0x80
	s_and_saveexec_b64 s[56:57], vcc
	s_cbranch_execz .LBB14_5803
; %bb.5798:
	s_mov_b32 vcc_lo, 0x37ffffff
	v_cmp_lt_u32_e32 vcc, vcc_lo, v5
	s_mov_b64 s[58:59], 0
                                        ; implicit-def: $vgpr5
	s_and_saveexec_b64 s[60:61], vcc
	s_xor_b64 vcc, exec, s[60:61]
	s_cbranch_execnz .LBB14_6635
; %bb.5799:
	s_or_saveexec_b64 s[60:61], vcc
                                        ; implicit-def: $sgpr62
	s_xor_b64 exec, exec, s[60:61]
	s_cbranch_execnz .LBB14_6636
.LBB14_5800:
	s_or_b64 exec, exec, s[60:61]
	v_mov_b32_e32 v70, s62
	s_and_saveexec_b64 vcc, s[58:59]
.LBB14_5801:
	v_lshrrev_b32_e32 v4, 24, v4
	s_movk_i32 s58, 0x80
	v_and_or_b32 v70, v4, s58, v5
.LBB14_5802:
	s_or_b64 exec, exec, vcc
.LBB14_5803:
	s_or_b64 exec, exec, s[56:57]
	flat_store_byte v[2:3], v70
                                        ; implicit-def: $vgpr4
                                        ; implicit-def: $vgpr2_vgpr3
.LBB14_5804:
	s_andn2_saveexec_b64 s[54:55], s[54:55]
	s_cbranch_execz .LBB14_5814
; %bb.5805:
	v_and_b32_e32 v70, 0x7fffffff, v4
	s_mov_b32 vcc_lo, 0x43f00000
	v_cmp_gt_u32_e32 vcc, vcc_lo, v70
                                        ; implicit-def: $vgpr5
	s_and_saveexec_b64 s[56:57], vcc
	s_xor_b64 s[56:57], exec, s[56:57]
	s_cbranch_execz .LBB14_5811
; %bb.5806:
	s_mov_b32 vcc_lo, 0x3c7fffff
	v_cmp_lt_u32_e32 vcc, vcc_lo, v70
                                        ; implicit-def: $vgpr5
	s_and_saveexec_b64 s[58:59], vcc
	s_xor_b64 s[58:59], exec, s[58:59]
; %bb.5807:
	v_bfe_u32 v5, v4, 20, 1
	s_mov_b32 vcc_lo, 0x407ffff
	v_add3_u32 v5, v4, v5, vcc_lo
	v_lshrrev_b32_e32 v70, 20, v5
	v_and_b32_e32 v5, 0xff00000, v5
	s_mov_b32 vcc_lo, 0x7f00000
	v_mov_b32_e32 v71, 0x7e
	v_cmp_ne_u32_e32 vcc, vcc_lo, v5
	v_cndmask_b32_e32 v5, v71, v70, vcc
; %bb.5808:
	s_andn2_saveexec_b64 vcc, s[58:59]
; %bb.5809:
	s_mov_b32 s58, 0x46800000
	v_add_f32_e64 v5, |v4|, s58
; %bb.5810:
	s_or_b64 exec, exec, vcc
                                        ; implicit-def: $vgpr70
.LBB14_5811:
	s_andn2_saveexec_b64 s[56:57], s[56:57]
; %bb.5812:
	s_mov_b32 vcc_lo, 0x7f800000
	v_mov_b32_e32 v5, 0x7e
	v_mov_b32_e32 v71, 0x7f
	v_cmp_lt_u32_e32 vcc, vcc_lo, v70
	v_cndmask_b32_e32 v5, v5, v71, vcc
; %bb.5813:
	s_or_b64 exec, exec, s[56:57]
	v_lshrrev_b32_e32 v4, 24, v4
	s_movk_i32 vcc_lo, 0x80
	v_and_or_b32 v4, v4, vcc_lo, v5
	flat_store_byte v[2:3], v4
.LBB14_5814:
	s_or_b64 exec, exec, s[54:55]
                                        ; implicit-def: $vgpr4
                                        ; implicit-def: $vgpr2_vgpr3
.LBB14_5815:
	s_andn2_saveexec_b64 s[52:53], s[52:53]
	s_cbranch_execz .LBB14_5825
; %bb.5816:
	v_and_b32_e32 v70, 0x7fffffff, v4
	s_mov_b32 vcc_lo, 0x47800000
	v_cmp_gt_u32_e32 vcc, vcc_lo, v70
                                        ; implicit-def: $vgpr5
	s_and_saveexec_b64 s[54:55], vcc
	s_xor_b64 s[54:55], exec, s[54:55]
	s_cbranch_execz .LBB14_5822
; %bb.5817:
	s_mov_b32 vcc_lo, 0x387fffff
	v_cmp_lt_u32_e32 vcc, vcc_lo, v70
                                        ; implicit-def: $vgpr5
	s_and_saveexec_b64 s[56:57], vcc
	s_xor_b64 vcc, exec, s[56:57]
; %bb.5818:
	v_bfe_u32 v5, v4, 21, 1
	s_mov_b32 s56, 0x80fffff
	v_add3_u32 v5, v4, v5, s56
	v_lshrrev_b32_e32 v5, 21, v5
; %bb.5819:
	s_andn2_saveexec_b64 vcc, vcc
; %bb.5820:
	s_mov_b32 s56, 0x43000000
	v_add_f32_e64 v5, |v4|, s56
; %bb.5821:
	s_or_b64 exec, exec, vcc
                                        ; implicit-def: $vgpr70
.LBB14_5822:
	s_andn2_saveexec_b64 s[54:55], s[54:55]
; %bb.5823:
	s_mov_b32 vcc_lo, 0x7f800000
	v_mov_b32_e32 v5, 0x7c
	v_mov_b32_e32 v71, 0x7f
	v_cmp_lt_u32_e32 vcc, vcc_lo, v70
	v_cndmask_b32_e32 v5, v5, v71, vcc
; %bb.5824:
	s_or_b64 exec, exec, s[54:55]
	v_lshrrev_b32_e32 v4, 24, v4
	s_movk_i32 vcc_lo, 0x80
	v_and_or_b32 v4, v4, vcc_lo, v5
	flat_store_byte v[2:3], v4
.LBB14_5825:
	s_or_b64 exec, exec, s[52:53]
	s_or_b64 s[52:53], s[44:45], exec
                                        ; implicit-def: $vgpr4
                                        ; implicit-def: $vgpr2_vgpr3
.LBB14_5826:
	s_or_saveexec_b64 s[50:51], s[50:51]
	s_mov_b64 vcc, s[46:47]
	s_xor_b64 exec, exec, s[50:51]
	s_cbranch_execz .LBB14_5836
; %bb.5827:
	v_mov_b32_e32 v5, 14
	v_cmp_gt_i16_sdwa vcc, v11, v5 src0_sel:BYTE_0 src1_sel:DWORD
	s_mov_b64 s[54:55], s[52:53]
	s_mov_b64 s[56:57], s[46:47]
	s_and_saveexec_b64 s[58:59], vcc
	s_xor_b64 s[58:59], exec, s[58:59]
	s_cbranch_execz .LBB14_5831
; %bb.5828:
	v_mov_b32_e32 v5, 15
	v_cmp_eq_u16_sdwa s[60:61], v11, v5 src0_sel:BYTE_0 src1_sel:DWORD
	s_mov_b64 s[56:57], -1
	s_mov_b64 vcc, s[52:53]
	s_and_saveexec_b64 s[54:55], s[60:61]
	s_cbranch_execz .LBB14_5830
; %bb.5829:
	v_bfe_u32 v5, v4, 16, 1
	s_movk_i32 vcc_lo, 0x7fff
	v_add3_u32 v5, v4, v5, vcc_lo
	v_lshrrev_b32_e32 v5, 16, v5
	v_mov_b32_e32 v70, 0x7fc0
	v_cmp_o_f32_e32 vcc, v4, v4
	v_cndmask_b32_e32 v4, v70, v5, vcc
	flat_store_short v[2:3], v4
	s_xor_b64 s[56:57], exec, -1
	s_or_b64 vcc, s[52:53], exec
.LBB14_5830:
	s_or_b64 exec, exec, s[54:55]
	s_andn2_b64 s[54:55], s[46:47], exec
	s_and_b64 s[56:57], s[56:57], exec
	s_or_b64 s[56:57], s[54:55], s[56:57]
	s_andn2_b64 s[54:55], s[52:53], exec
	s_and_b64 vcc, vcc, exec
	s_or_b64 s[54:55], s[54:55], vcc
                                        ; implicit-def: $vgpr4
                                        ; implicit-def: $vgpr2_vgpr3
.LBB14_5831:
	s_andn2_saveexec_b64 s[58:59], s[58:59]
	s_cbranch_execz .LBB14_5835
; %bb.5832:
	v_mov_b32_e32 v5, 11
	v_cmp_eq_u16_sdwa s[64:65], v11, v5 src0_sel:BYTE_0 src1_sel:DWORD
	s_mov_b64 s[60:61], -1
	s_mov_b64 vcc, s[54:55]
	s_and_saveexec_b64 s[62:63], s[64:65]
	s_cbranch_execz .LBB14_5834
; %bb.5833:
	v_cmp_neq_f32_e32 vcc, 0, v4
	v_cndmask_b32_e64 v4, 0, 1, vcc
	flat_store_byte v[2:3], v4
	s_xor_b64 s[60:61], exec, -1
	s_or_b64 vcc, s[54:55], exec
.LBB14_5834:
	s_or_b64 exec, exec, s[62:63]
	s_andn2_b64 s[56:57], s[56:57], exec
	s_and_b64 s[60:61], s[60:61], exec
	s_andn2_b64 s[54:55], s[54:55], exec
	s_and_b64 vcc, vcc, exec
	s_or_b64 s[56:57], s[56:57], s[60:61]
	s_or_b64 s[54:55], s[54:55], vcc
.LBB14_5835:
	s_or_b64 exec, exec, s[58:59]
	s_andn2_b64 vcc, s[46:47], exec
	s_and_b64 s[56:57], s[56:57], exec
	s_andn2_b64 s[52:53], s[52:53], exec
	s_and_b64 s[54:55], s[54:55], exec
	s_or_b64 vcc, vcc, s[56:57]
	s_or_b64 s[52:53], s[52:53], s[54:55]
.LBB14_5836:
	s_or_b64 exec, exec, s[50:51]
	s_andn2_b64 s[46:47], s[46:47], exec
	s_and_b64 vcc, vcc, exec
	s_or_b64 s[46:47], s[46:47], vcc
	s_andn2_b64 vcc, s[44:45], exec
	s_and_b64 s[44:45], s[52:53], exec
	s_or_b64 s[44:45], vcc, s[44:45]
	v_readlane_b32 vcc_lo, v44, 58
	v_readlane_b32 vcc_hi, v44, 59
.LBB14_5837:
	s_or_b64 exec, exec, s[48:49]
	s_andn2_b64 s[48:49], vcc, exec
	s_and_b64 s[46:47], s[46:47], exec
	s_or_b64 s[46:47], s[48:49], s[46:47]
	s_and_b64 s[44:45], s[44:45], exec
                                        ; implicit-def: $vgpr4
                                        ; implicit-def: $vgpr2_vgpr3
	s_andn2_saveexec_b64 s[42:43], s[42:43]
	s_cbranch_execz .LBB14_3845
.LBB14_5838:
	v_mov_b32_e32 v5, 4
	v_cmp_gt_i16_sdwa s[48:49], v11, v5 src0_sel:BYTE_0 src1_sel:DWORD
	s_and_saveexec_b64 s[50:51], s[48:49]
	s_xor_b64 s[48:49], exec, s[50:51]
	s_cbranch_execz .LBB14_5860
; %bb.5839:
	v_mov_b32_e32 v5, 7
	v_cmp_gt_i16_sdwa vcc, v11, v5 src0_sel:BYTE_0 src1_sel:DWORD
	s_and_saveexec_b64 s[50:51], vcc
	s_xor_b64 vcc, exec, s[50:51]
	s_cbranch_execz .LBB14_5849
; %bb.5840:
	v_mov_b32_e32 v5, 8
	v_cmp_gt_i16_sdwa s[50:51], v11, v5 src0_sel:BYTE_0 src1_sel:DWORD
	s_and_saveexec_b64 s[52:53], s[50:51]
	s_xor_b64 s[50:51], exec, s[52:53]
	s_cbranch_execz .LBB14_5846
; %bb.5841:
	v_mov_b32_e32 v5, 9
	v_cmp_gt_i16_sdwa s[52:53], v11, v5 src0_sel:BYTE_0 src1_sel:DWORD
	s_and_saveexec_b64 s[54:55], s[52:53]
	s_xor_b64 s[52:53], exec, s[54:55]
	s_cbranch_execz .LBB14_5843
; %bb.5842:
	v_mov_b32_e32 v82, 0
	v_cvt_f64_f32_e32 v[80:81], v4
	v_mov_b32_e32 v83, v82
	flat_store_dwordx4 v[2:3], v[80:83]
                                        ; implicit-def: $vgpr4
                                        ; implicit-def: $vgpr2_vgpr3
.LBB14_5843:
	s_andn2_saveexec_b64 s[52:53], s[52:53]
	s_cbranch_execz .LBB14_5845
; %bb.5844:
	v_mov_b32_e32 v5, 0
	flat_store_dwordx2 v[2:3], v[4:5]
.LBB14_5845:
	s_or_b64 exec, exec, s[52:53]
                                        ; implicit-def: $vgpr4
                                        ; implicit-def: $vgpr2_vgpr3
.LBB14_5846:
	s_andn2_saveexec_b64 s[50:51], s[50:51]
	s_cbranch_execz .LBB14_5848
; %bb.5847:
	v_cvt_f16_f32_e32 v4, v4
	flat_store_dword v[2:3], v4
.LBB14_5848:
	s_or_b64 exec, exec, s[50:51]
                                        ; implicit-def: $vgpr4
                                        ; implicit-def: $vgpr2_vgpr3
.LBB14_5849:
	s_andn2_saveexec_b64 vcc, vcc
	s_cbranch_execz .LBB14_5859
; %bb.5850:
	v_mov_b32_e32 v5, 5
	v_cmp_gt_i16_sdwa s[50:51], v11, v5 src0_sel:BYTE_0 src1_sel:DWORD
	s_and_saveexec_b64 s[52:53], s[50:51]
	s_xor_b64 s[50:51], exec, s[52:53]
	s_cbranch_execz .LBB14_5856
; %bb.5851:
	v_mov_b32_e32 v5, 6
	v_cmp_gt_i16_sdwa s[52:53], v11, v5 src0_sel:BYTE_0 src1_sel:DWORD
	s_and_saveexec_b64 s[54:55], s[52:53]
	s_xor_b64 s[52:53], exec, s[54:55]
	s_cbranch_execz .LBB14_5853
; %bb.5852:
	v_cvt_f64_f32_e32 v[4:5], v4
	flat_store_dwordx2 v[2:3], v[4:5]
                                        ; implicit-def: $vgpr2_vgpr3
                                        ; implicit-def: $vgpr4
.LBB14_5853:
	s_andn2_saveexec_b64 s[52:53], s[52:53]
	s_cbranch_execz .LBB14_5855
; %bb.5854:
	flat_store_dword v[2:3], v4
.LBB14_5855:
	s_or_b64 exec, exec, s[52:53]
                                        ; implicit-def: $vgpr4
                                        ; implicit-def: $vgpr2_vgpr3
.LBB14_5856:
	s_andn2_saveexec_b64 s[50:51], s[50:51]
	s_cbranch_execz .LBB14_5858
; %bb.5857:
	v_cvt_f16_f32_e32 v4, v4
	flat_store_short v[2:3], v4
.LBB14_5858:
	s_or_b64 exec, exec, s[50:51]
.LBB14_5859:
	s_or_b64 exec, exec, vcc
	v_readlane_b32 vcc_lo, v44, 58
	v_readlane_b32 vcc_hi, v44, 59
                                        ; implicit-def: $vgpr4
                                        ; implicit-def: $vgpr2_vgpr3
.LBB14_5860:
	s_andn2_saveexec_b64 s[48:49], s[48:49]
	s_cbranch_execz .LBB14_5878
; %bb.5861:
	v_mov_b32_e32 v5, 1
	v_cmp_gt_i16_sdwa vcc, v11, v5 src0_sel:BYTE_0 src1_sel:DWORD
	s_and_saveexec_b64 s[50:51], vcc
	s_xor_b64 s[50:51], exec, s[50:51]
	s_cbranch_execz .LBB14_5871
; %bb.5862:
	v_mov_b32_e32 v5, 2
	v_cmp_gt_i16_sdwa vcc, v11, v5 src0_sel:BYTE_0 src1_sel:DWORD
	s_and_saveexec_b64 s[52:53], vcc
	s_xor_b64 s[52:53], exec, s[52:53]
	;; [unrolled: 6-line block ×3, first 2 shown]
	s_cbranch_execz .LBB14_5865
; %bb.5864:
	v_trunc_f32_e32 v4, v4
	s_mov_b32 s56, 0x2f800000
	v_mul_f32_e64 v5, |v4|, s56
	v_floor_f32_e32 v5, v5
	s_mov_b32 s56, 0xcf800000
	v_cvt_u32_f32_e32 v70, v5
	v_fma_f32 v5, v5, s56, |v4|
	v_cvt_u32_f32_e32 v5, v5
	v_ashrrev_i32_e32 v71, 31, v4
	v_xor_b32_e32 v70, v70, v71
	v_xor_b32_e32 v4, v5, v71
	v_sub_co_u32_e32 v4, vcc, v4, v71
	v_subb_co_u32_e32 v5, vcc, v70, v71, vcc
	flat_store_dwordx2 v[2:3], v[4:5]
                                        ; implicit-def: $vgpr4
                                        ; implicit-def: $vgpr2_vgpr3
.LBB14_5865:
	s_andn2_saveexec_b64 vcc, s[54:55]
	s_cbranch_execz .LBB14_5867
; %bb.5866:
	v_cvt_i32_f32_e32 v4, v4
	flat_store_dword v[2:3], v4
.LBB14_5867:
	s_or_b64 exec, exec, vcc
                                        ; implicit-def: $vgpr4
                                        ; implicit-def: $vgpr2_vgpr3
.LBB14_5868:
	s_andn2_saveexec_b64 vcc, s[52:53]
	s_cbranch_execz .LBB14_5870
; %bb.5869:
	v_cvt_i32_f32_e32 v4, v4
	flat_store_short v[2:3], v4
.LBB14_5870:
	s_or_b64 exec, exec, vcc
                                        ; implicit-def: $vgpr4
                                        ; implicit-def: $vgpr2_vgpr3
.LBB14_5871:
	s_andn2_saveexec_b64 vcc, s[50:51]
	s_cbranch_execz .LBB14_5877
; %bb.5872:
	v_mov_b32_e32 v5, 0
	v_cmp_gt_i16_sdwa s[50:51], v11, v5 src0_sel:BYTE_0 src1_sel:DWORD
	s_and_saveexec_b64 s[52:53], s[50:51]
	s_xor_b64 s[50:51], exec, s[52:53]
	s_cbranch_execz .LBB14_5874
; %bb.5873:
	v_cvt_i32_f32_e32 v4, v4
	flat_store_byte v[2:3], v4
                                        ; implicit-def: $vgpr4
                                        ; implicit-def: $vgpr2_vgpr3
.LBB14_5874:
	s_andn2_saveexec_b64 s[50:51], s[50:51]
	s_cbranch_execz .LBB14_5876
; %bb.5875:
	v_trunc_f32_e32 v4, v4
	s_mov_b32 s52, 0x2f800000
	v_mul_f32_e64 v5, |v4|, s52
	v_floor_f32_e32 v5, v5
	s_mov_b32 s52, 0xcf800000
	v_fma_f32 v5, v5, s52, |v4|
	v_cvt_u32_f32_e32 v5, v5
	v_ashrrev_i32_e32 v4, 31, v4
	v_xor_b32_e32 v5, v5, v4
	v_sub_u32_e32 v4, v5, v4
	flat_store_byte v[2:3], v4
.LBB14_5876:
	s_or_b64 exec, exec, s[50:51]
.LBB14_5877:
	s_or_b64 exec, exec, vcc
	v_readlane_b32 vcc_lo, v44, 58
	v_readlane_b32 vcc_hi, v44, 59
.LBB14_5878:
	s_or_b64 exec, exec, s[48:49]
	s_or_b64 s[44:45], s[44:45], exec
	s_or_b64 exec, exec, s[42:43]
	s_mov_b64 s[42:43], 0
	s_and_saveexec_b64 s[48:49], s[44:45]
	s_cbranch_execnz .LBB14_3846
	s_branch .LBB14_3847
.LBB14_5879:
	v_bfe_u32 v5, v4, 21, 1
	s_mov_b32 s42, 0x88fffff
	v_add3_u32 v5, v4, v5, s42
	s_mov_b64 s[40:41], exec
	v_lshrrev_b32_e32 v5, 21, v5
	s_or_saveexec_b64 s[42:43], vcc
                                        ; implicit-def: $sgpr44
	s_xor_b64 exec, exec, s[42:43]
	s_cbranch_execz .LBB14_5054
.LBB14_5880:
	s_mov_b32 s44, 0x42800000
	v_add_f32_e64 v5, |v4|, s44
	v_and_b32_e32 v5, 0xff, v5
	v_cmp_ne_u32_e32 vcc, 0, v5
	s_andn2_b64 s[40:41], s[40:41], exec
	s_and_b64 vcc, vcc, exec
	s_mov_b32 s44, 0
	s_or_b64 s[40:41], s[40:41], vcc
	s_or_b64 exec, exec, s[42:43]
	v_mov_b32_e32 v98, s44
	s_and_saveexec_b64 vcc, s[40:41]
	s_cbranch_execnz .LBB14_5055
	s_branch .LBB14_5056
.LBB14_5881:
	v_bfe_u32 v5, v4, 20, 1
	s_mov_b32 s44, 0x487ffff
	v_add3_u32 v5, v4, v5, s44
	s_mov_b64 s[42:43], exec
	v_lshrrev_b32_e32 v5, 20, v5
	s_or_saveexec_b64 s[44:45], vcc
                                        ; implicit-def: $sgpr46
	s_xor_b64 exec, exec, s[44:45]
	s_cbranch_execz .LBB14_5163
.LBB14_5882:
	s_mov_b32 s46, 0x46000000
	v_add_f32_e64 v5, |v4|, s46
	v_and_b32_e32 v5, 0xff, v5
	v_cmp_ne_u32_e32 vcc, 0, v5
	s_andn2_b64 s[42:43], s[42:43], exec
	s_and_b64 vcc, vcc, exec
	s_mov_b32 s46, 0
	s_or_b64 s[42:43], s[42:43], vcc
	s_or_b64 exec, exec, s[44:45]
	v_mov_b32_e32 v96, s46
	s_and_saveexec_b64 vcc, s[42:43]
	s_cbranch_execnz .LBB14_5164
	s_branch .LBB14_5165
.LBB14_5883:
	v_mov_b32_e32 v5, 25
	s_mov_b64 s[44:45], s[4:5]
	v_cmp_gt_i16_sdwa s[48:49], v11, v5 src0_sel:BYTE_0 src1_sel:DWORD
	s_mov_b64 s[4:5], 0
	s_mov_b64 s[46:47], vcc
	s_and_saveexec_b64 s[50:51], s[48:49]
	s_xor_b64 s[48:49], exec, s[50:51]
	s_cbranch_execz .LBB14_5919
; %bb.5884:
	v_mov_b32_e32 v5, 28
	v_cmp_gt_i16_sdwa s[46:47], v11, v5 src0_sel:BYTE_0 src1_sel:DWORD
	s_mov_b64 s[50:51], vcc
	s_and_saveexec_b64 vcc, s[46:47]
	s_xor_b64 s[46:47], exec, vcc
	s_cbranch_execz .LBB14_5902
; %bb.5885:
	v_mov_b32_e32 v5, 43
	v_readlane_b32 vcc_lo, v44, 62
	v_cmp_gt_i16_sdwa s[50:51], v11, v5 src0_sel:BYTE_0 src1_sel:DWORD
	v_readlane_b32 vcc_hi, v44, 63
	s_and_saveexec_b64 s[52:53], s[50:51]
	s_xor_b64 s[50:51], exec, s[52:53]
	s_cbranch_execz .LBB14_5897
; %bb.5886:
	v_mov_b32_e32 v5, 45
	v_readlane_b32 s54, v44, 62
	v_cmp_gt_i16_sdwa s[4:5], v11, v5 src0_sel:BYTE_0 src1_sel:DWORD
	s_mov_b64 s[52:53], 0
	v_readlane_b32 s55, v44, 63
	s_and_saveexec_b64 vcc, s[4:5]
	s_xor_b64 s[4:5], exec, vcc
	s_cbranch_execz .LBB14_5890
; %bb.5887:
	v_mov_b32_e32 v5, 46
	v_cmp_eq_u16_sdwa s[56:57], v11, v5 src0_sel:BYTE_0 src1_sel:DWORD
	s_mov_b64 vcc, -1
	s_and_saveexec_b64 s[54:55], s[56:57]
	s_cbranch_execz .LBB14_5889
; %bb.5888:
	v_bfe_u32 v5, v4, 16, 1
	s_movk_i32 vcc_lo, 0x7fff
	v_add3_u32 v5, v4, v5, vcc_lo
	v_lshrrev_b32_e32 v5, 16, v5
	v_mov_b32_e32 v68, 0x7fc0
	v_cmp_o_f32_e32 vcc, v4, v4
	v_cndmask_b32_e32 v4, v68, v5, vcc
	s_mov_b64 s[52:53], exec
	flat_store_dword v[2:3], v4
	s_xor_b64 vcc, exec, -1
.LBB14_5889:
	s_or_b64 exec, exec, s[54:55]
	v_readlane_b32 s54, v44, 62
	v_readlane_b32 s55, v44, 63
	s_andn2_b64 s[54:55], s[54:55], exec
	s_and_b64 vcc, vcc, exec
	s_or_b64 s[54:55], s[54:55], vcc
	s_and_b64 s[52:53], s[52:53], exec
                                        ; implicit-def: $vgpr2_vgpr3
                                        ; implicit-def: $vgpr4
.LBB14_5890:
	s_andn2_saveexec_b64 s[56:57], s[4:5]
	s_cbranch_execz .LBB14_5896
; %bb.5891:
	v_mov_b32_e32 v5, 44
	v_cmp_eq_u16_sdwa s[60:61], v11, v5 src0_sel:BYTE_0 src1_sel:DWORD
	s_mov_b64 vcc, -1
	s_mov_b64 s[4:5], s[52:53]
	s_and_saveexec_b64 s[58:59], s[60:61]
	s_cbranch_execz .LBB14_5895
; %bb.5892:
	v_bfe_u32 v5, v4, 23, 8
	s_movk_i32 s4, 0xff
	v_cmp_ne_u32_e32 vcc, s4, v5
	v_mov_b32_e32 v68, 0xff
	s_and_saveexec_b64 s[60:61], vcc
; %bb.5893:
	s_mov_b32 s4, 0x3fffff
	v_lshrrev_b32_e32 v68, 23, v4
	v_and_b32_e32 v69, 0x400000, v4
	v_and_or_b32 v4, v4, s4, v5
	v_cmp_ne_u32_e32 vcc, 0, v69
	v_cmp_ne_u32_e64 s[4:5], 0, v4
	s_and_b64 s[4:5], vcc, s[4:5]
	v_cndmask_b32_e64 v4, 0, 1, s[4:5]
	v_add_u32_e32 v68, v68, v4
; %bb.5894:
	s_or_b64 exec, exec, s[60:61]
	s_xor_b64 vcc, exec, -1
	s_or_b64 s[4:5], s[52:53], exec
	flat_store_byte v[2:3], v68
.LBB14_5895:
	s_or_b64 exec, exec, s[58:59]
	s_andn2_b64 s[54:55], s[54:55], exec
	s_and_b64 vcc, vcc, exec
	s_or_b64 s[54:55], s[54:55], vcc
	s_andn2_b64 vcc, s[52:53], exec
	s_and_b64 s[4:5], s[4:5], exec
	s_or_b64 s[52:53], vcc, s[4:5]
.LBB14_5896:
	s_or_b64 exec, exec, s[56:57]
	v_readlane_b32 s4, v44, 62
	v_readlane_b32 s5, v44, 63
	s_andn2_b64 s[4:5], s[4:5], exec
	s_and_b64 vcc, s[54:55], exec
	s_or_b64 vcc, s[4:5], vcc
	s_and_b64 s[4:5], s[52:53], exec
                                        ; implicit-def: $vgpr4
                                        ; implicit-def: $vgpr2_vgpr3
.LBB14_5897:
	s_andn2_saveexec_b64 s[50:51], s[50:51]
	s_cbranch_execz .LBB14_5901
; %bb.5898:
	v_mov_b32_e32 v5, 29
	v_cmp_eq_u16_sdwa s[58:59], v11, v5 src0_sel:BYTE_0 src1_sel:DWORD
	s_mov_b64 s[56:57], -1
	s_mov_b64 s[54:55], s[4:5]
	s_and_saveexec_b64 s[52:53], s[58:59]
	s_cbranch_execz .LBB14_5900
; %bb.5899:
	v_trunc_f32_e32 v4, v4
	v_mul_f32_e32 v5, 0x2f800000, v4
	v_floor_f32_e32 v68, v5
	v_fmac_f32_e32 v4, 0xcf800000, v68
	v_cvt_u32_f32_e32 v5, v68
	v_cvt_u32_f32_e32 v4, v4
	s_xor_b64 s[56:57], exec, -1
	s_or_b64 s[54:55], s[4:5], exec
	flat_store_dwordx2 v[2:3], v[4:5]
.LBB14_5900:
	s_or_b64 exec, exec, s[52:53]
	s_andn2_b64 vcc, vcc, exec
	s_and_b64 s[52:53], s[56:57], exec
	s_or_b64 vcc, vcc, s[52:53]
	s_andn2_b64 s[4:5], s[4:5], exec
	s_and_b64 s[52:53], s[54:55], exec
	s_or_b64 s[4:5], s[4:5], s[52:53]
.LBB14_5901:
	s_or_b64 exec, exec, s[50:51]
	v_readlane_b32 s50, v44, 62
	v_readlane_b32 s51, v44, 63
	s_andn2_b64 s[50:51], s[50:51], exec
	s_and_b64 vcc, vcc, exec
	s_or_b64 s[50:51], s[50:51], vcc
	s_and_b64 s[4:5], s[4:5], exec
                                        ; implicit-def: $vgpr2_vgpr3
                                        ; implicit-def: $vgpr4
.LBB14_5902:
	s_andn2_saveexec_b64 s[46:47], s[46:47]
	s_cbranch_execz .LBB14_5918
; %bb.5903:
	v_mov_b32_e32 v5, 26
	v_cmp_gt_i16_sdwa vcc, v11, v5 src0_sel:BYTE_0 src1_sel:DWORD
	s_and_saveexec_b64 s[52:53], vcc
	s_xor_b64 vcc, exec, s[52:53]
	s_cbranch_execz .LBB14_5909
; %bb.5904:
	v_cvt_u32_f32_e32 v4, v4
	v_mov_b32_e32 v5, 27
	v_cmp_gt_i16_sdwa s[52:53], v11, v5 src0_sel:BYTE_0 src1_sel:DWORD
	s_and_saveexec_b64 s[54:55], s[52:53]
	s_xor_b64 s[52:53], exec, s[54:55]
	s_cbranch_execz .LBB14_5906
; %bb.5905:
	flat_store_dword v[2:3], v4
                                        ; implicit-def: $vgpr2_vgpr3
                                        ; implicit-def: $vgpr4
.LBB14_5906:
	s_andn2_saveexec_b64 s[52:53], s[52:53]
	s_cbranch_execz .LBB14_5908
; %bb.5907:
	flat_store_short v[2:3], v4
.LBB14_5908:
	s_or_b64 exec, exec, s[52:53]
                                        ; implicit-def: $vgpr2_vgpr3
                                        ; implicit-def: $vgpr4
.LBB14_5909:
	s_andn2_saveexec_b64 s[52:53], vcc
	s_cbranch_execz .LBB14_5917
; %bb.5910:
	v_and_b32_e32 v5, 0x7fffffff, v4
	s_mov_b32 vcc_lo, 0x43800000
	v_cmp_gt_u32_e32 vcc, vcc_lo, v5
	v_mov_b32_e32 v68, 0x80
	s_and_saveexec_b64 s[54:55], vcc
	s_cbranch_execz .LBB14_5916
; %bb.5911:
	s_mov_b32 vcc_lo, 0x3bffffff
	v_cmp_lt_u32_e32 vcc, vcc_lo, v5
	s_mov_b64 s[56:57], 0
                                        ; implicit-def: $vgpr5
	s_and_saveexec_b64 s[58:59], vcc
	s_xor_b64 vcc, exec, s[58:59]
	s_cbranch_execnz .LBB14_6637
; %bb.5912:
	s_or_saveexec_b64 s[58:59], vcc
                                        ; implicit-def: $sgpr60
	s_xor_b64 exec, exec, s[58:59]
	s_cbranch_execnz .LBB14_6638
.LBB14_5913:
	s_or_b64 exec, exec, s[58:59]
	v_mov_b32_e32 v68, s60
	s_and_saveexec_b64 vcc, s[56:57]
.LBB14_5914:
	v_lshrrev_b32_e32 v4, 24, v4
	s_movk_i32 s56, 0x80
	v_and_or_b32 v68, v4, s56, v5
.LBB14_5915:
	s_or_b64 exec, exec, vcc
.LBB14_5916:
	s_or_b64 exec, exec, s[54:55]
	flat_store_byte v[2:3], v68
.LBB14_5917:
	s_or_b64 exec, exec, s[52:53]
	s_or_b64 s[4:5], s[4:5], exec
.LBB14_5918:
	s_or_b64 exec, exec, s[46:47]
	v_readlane_b32 vcc_lo, v44, 62
	v_readlane_b32 vcc_hi, v44, 63
	s_andn2_b64 s[46:47], vcc, exec
	s_and_b64 s[50:51], s[50:51], exec
	s_or_b64 s[46:47], s[46:47], s[50:51]
	s_and_b64 s[4:5], s[4:5], exec
                                        ; implicit-def: $vgpr4
                                        ; implicit-def: $vgpr2_vgpr3
.LBB14_5919:
	s_andn2_saveexec_b64 s[48:49], s[48:49]
	s_cbranch_execz .LBB14_5963
; %bb.5920:
	v_mov_b32_e32 v5, 22
	v_cmp_gt_i16_sdwa vcc, v11, v5 src0_sel:BYTE_0 src1_sel:DWORD
	s_mov_b64 s[52:53], s[4:5]
	s_and_saveexec_b64 s[50:51], vcc
	s_xor_b64 s[50:51], exec, s[50:51]
	s_cbranch_execz .LBB14_5952
; %bb.5921:
	v_mov_b32_e32 v5, 23
	v_cmp_gt_i16_sdwa vcc, v11, v5 src0_sel:BYTE_0 src1_sel:DWORD
	s_and_saveexec_b64 s[52:53], vcc
	s_xor_b64 s[52:53], exec, s[52:53]
	s_cbranch_execz .LBB14_5941
; %bb.5922:
	v_mov_b32_e32 v5, 24
	v_cmp_gt_i16_sdwa vcc, v11, v5 src0_sel:BYTE_0 src1_sel:DWORD
	s_and_saveexec_b64 s[54:55], vcc
	s_xor_b64 s[54:55], exec, s[54:55]
	s_cbranch_execz .LBB14_5930
; %bb.5923:
	v_and_b32_e32 v5, 0x7fffffff, v4
	s_mov_b32 vcc_lo, 0x47800000
	v_cmp_gt_u32_e32 vcc, vcc_lo, v5
	v_mov_b32_e32 v68, 0x80
	s_and_saveexec_b64 s[56:57], vcc
	s_cbranch_execz .LBB14_5929
; %bb.5924:
	s_mov_b32 vcc_lo, 0x37ffffff
	v_cmp_lt_u32_e32 vcc, vcc_lo, v5
	s_mov_b64 s[58:59], 0
                                        ; implicit-def: $vgpr5
	s_and_saveexec_b64 s[60:61], vcc
	s_xor_b64 vcc, exec, s[60:61]
	s_cbranch_execnz .LBB14_6761
; %bb.5925:
	s_or_saveexec_b64 s[60:61], vcc
                                        ; implicit-def: $sgpr62
	s_xor_b64 exec, exec, s[60:61]
	s_cbranch_execnz .LBB14_6762
.LBB14_5926:
	s_or_b64 exec, exec, s[60:61]
	v_mov_b32_e32 v68, s62
	s_and_saveexec_b64 vcc, s[58:59]
.LBB14_5927:
	v_lshrrev_b32_e32 v4, 24, v4
	s_movk_i32 s58, 0x80
	v_and_or_b32 v68, v4, s58, v5
.LBB14_5928:
	s_or_b64 exec, exec, vcc
.LBB14_5929:
	s_or_b64 exec, exec, s[56:57]
	flat_store_byte v[2:3], v68
                                        ; implicit-def: $vgpr4
                                        ; implicit-def: $vgpr2_vgpr3
.LBB14_5930:
	s_andn2_saveexec_b64 s[54:55], s[54:55]
	s_cbranch_execz .LBB14_5940
; %bb.5931:
	v_and_b32_e32 v68, 0x7fffffff, v4
	s_mov_b32 vcc_lo, 0x43f00000
	v_cmp_gt_u32_e32 vcc, vcc_lo, v68
                                        ; implicit-def: $vgpr5
	s_and_saveexec_b64 s[56:57], vcc
	s_xor_b64 s[56:57], exec, s[56:57]
	s_cbranch_execz .LBB14_5937
; %bb.5932:
	s_mov_b32 vcc_lo, 0x3c7fffff
	v_cmp_lt_u32_e32 vcc, vcc_lo, v68
                                        ; implicit-def: $vgpr5
	s_and_saveexec_b64 s[58:59], vcc
	s_xor_b64 s[58:59], exec, s[58:59]
; %bb.5933:
	v_bfe_u32 v5, v4, 20, 1
	s_mov_b32 vcc_lo, 0x407ffff
	v_add3_u32 v5, v4, v5, vcc_lo
	v_lshrrev_b32_e32 v68, 20, v5
	v_and_b32_e32 v5, 0xff00000, v5
	s_mov_b32 vcc_lo, 0x7f00000
	v_mov_b32_e32 v69, 0x7e
	v_cmp_ne_u32_e32 vcc, vcc_lo, v5
	v_cndmask_b32_e32 v5, v69, v68, vcc
; %bb.5934:
	s_andn2_saveexec_b64 vcc, s[58:59]
; %bb.5935:
	s_mov_b32 s58, 0x46800000
	v_add_f32_e64 v5, |v4|, s58
; %bb.5936:
	s_or_b64 exec, exec, vcc
                                        ; implicit-def: $vgpr68
.LBB14_5937:
	s_andn2_saveexec_b64 s[56:57], s[56:57]
; %bb.5938:
	s_mov_b32 vcc_lo, 0x7f800000
	v_mov_b32_e32 v5, 0x7e
	v_mov_b32_e32 v69, 0x7f
	v_cmp_lt_u32_e32 vcc, vcc_lo, v68
	v_cndmask_b32_e32 v5, v5, v69, vcc
; %bb.5939:
	s_or_b64 exec, exec, s[56:57]
	v_lshrrev_b32_e32 v4, 24, v4
	s_movk_i32 vcc_lo, 0x80
	v_and_or_b32 v4, v4, vcc_lo, v5
	flat_store_byte v[2:3], v4
.LBB14_5940:
	s_or_b64 exec, exec, s[54:55]
                                        ; implicit-def: $vgpr4
                                        ; implicit-def: $vgpr2_vgpr3
.LBB14_5941:
	s_andn2_saveexec_b64 s[52:53], s[52:53]
	s_cbranch_execz .LBB14_5951
; %bb.5942:
	v_and_b32_e32 v68, 0x7fffffff, v4
	s_mov_b32 vcc_lo, 0x47800000
	v_cmp_gt_u32_e32 vcc, vcc_lo, v68
                                        ; implicit-def: $vgpr5
	s_and_saveexec_b64 s[54:55], vcc
	s_xor_b64 s[54:55], exec, s[54:55]
	s_cbranch_execz .LBB14_5948
; %bb.5943:
	s_mov_b32 vcc_lo, 0x387fffff
	v_cmp_lt_u32_e32 vcc, vcc_lo, v68
                                        ; implicit-def: $vgpr5
	s_and_saveexec_b64 s[56:57], vcc
	s_xor_b64 vcc, exec, s[56:57]
; %bb.5944:
	v_bfe_u32 v5, v4, 21, 1
	s_mov_b32 s56, 0x80fffff
	v_add3_u32 v5, v4, v5, s56
	v_lshrrev_b32_e32 v5, 21, v5
; %bb.5945:
	s_andn2_saveexec_b64 vcc, vcc
; %bb.5946:
	s_mov_b32 s56, 0x43000000
	v_add_f32_e64 v5, |v4|, s56
; %bb.5947:
	s_or_b64 exec, exec, vcc
                                        ; implicit-def: $vgpr68
.LBB14_5948:
	s_andn2_saveexec_b64 s[54:55], s[54:55]
; %bb.5949:
	s_mov_b32 vcc_lo, 0x7f800000
	v_mov_b32_e32 v5, 0x7c
	v_mov_b32_e32 v69, 0x7f
	v_cmp_lt_u32_e32 vcc, vcc_lo, v68
	v_cndmask_b32_e32 v5, v5, v69, vcc
; %bb.5950:
	s_or_b64 exec, exec, s[54:55]
	v_lshrrev_b32_e32 v4, 24, v4
	s_movk_i32 vcc_lo, 0x80
	v_and_or_b32 v4, v4, vcc_lo, v5
	flat_store_byte v[2:3], v4
.LBB14_5951:
	s_or_b64 exec, exec, s[52:53]
	s_or_b64 s[52:53], s[4:5], exec
                                        ; implicit-def: $vgpr4
                                        ; implicit-def: $vgpr2_vgpr3
.LBB14_5952:
	s_or_saveexec_b64 s[50:51], s[50:51]
	s_mov_b64 vcc, s[46:47]
	s_xor_b64 exec, exec, s[50:51]
	s_cbranch_execz .LBB14_5962
; %bb.5953:
	v_mov_b32_e32 v5, 14
	v_cmp_gt_i16_sdwa vcc, v11, v5 src0_sel:BYTE_0 src1_sel:DWORD
	s_mov_b64 s[54:55], s[52:53]
	s_mov_b64 s[56:57], s[46:47]
	s_and_saveexec_b64 s[58:59], vcc
	s_xor_b64 s[58:59], exec, s[58:59]
	s_cbranch_execz .LBB14_5957
; %bb.5954:
	v_mov_b32_e32 v5, 15
	v_cmp_eq_u16_sdwa s[60:61], v11, v5 src0_sel:BYTE_0 src1_sel:DWORD
	s_mov_b64 s[56:57], -1
	s_mov_b64 vcc, s[52:53]
	s_and_saveexec_b64 s[54:55], s[60:61]
	s_cbranch_execz .LBB14_5956
; %bb.5955:
	v_bfe_u32 v5, v4, 16, 1
	s_movk_i32 vcc_lo, 0x7fff
	v_add3_u32 v5, v4, v5, vcc_lo
	v_lshrrev_b32_e32 v5, 16, v5
	v_mov_b32_e32 v68, 0x7fc0
	v_cmp_o_f32_e32 vcc, v4, v4
	v_cndmask_b32_e32 v4, v68, v5, vcc
	flat_store_short v[2:3], v4
	s_xor_b64 s[56:57], exec, -1
	s_or_b64 vcc, s[52:53], exec
.LBB14_5956:
	s_or_b64 exec, exec, s[54:55]
	s_andn2_b64 s[54:55], s[46:47], exec
	s_and_b64 s[56:57], s[56:57], exec
	s_or_b64 s[56:57], s[54:55], s[56:57]
	s_andn2_b64 s[54:55], s[52:53], exec
	s_and_b64 vcc, vcc, exec
	s_or_b64 s[54:55], s[54:55], vcc
                                        ; implicit-def: $vgpr4
                                        ; implicit-def: $vgpr2_vgpr3
.LBB14_5957:
	s_andn2_saveexec_b64 s[58:59], s[58:59]
	s_cbranch_execz .LBB14_5961
; %bb.5958:
	v_mov_b32_e32 v5, 11
	v_cmp_eq_u16_sdwa s[64:65], v11, v5 src0_sel:BYTE_0 src1_sel:DWORD
	s_mov_b64 s[60:61], -1
	s_mov_b64 vcc, s[54:55]
	s_and_saveexec_b64 s[62:63], s[64:65]
	s_cbranch_execz .LBB14_5960
; %bb.5959:
	v_cmp_neq_f32_e32 vcc, 0, v4
	v_cndmask_b32_e64 v4, 0, 1, vcc
	flat_store_byte v[2:3], v4
	s_xor_b64 s[60:61], exec, -1
	s_or_b64 vcc, s[54:55], exec
.LBB14_5960:
	s_or_b64 exec, exec, s[62:63]
	s_andn2_b64 s[56:57], s[56:57], exec
	s_and_b64 s[60:61], s[60:61], exec
	s_andn2_b64 s[54:55], s[54:55], exec
	s_and_b64 vcc, vcc, exec
	s_or_b64 s[56:57], s[56:57], s[60:61]
	s_or_b64 s[54:55], s[54:55], vcc
.LBB14_5961:
	s_or_b64 exec, exec, s[58:59]
	s_andn2_b64 vcc, s[46:47], exec
	s_and_b64 s[56:57], s[56:57], exec
	s_andn2_b64 s[52:53], s[52:53], exec
	s_and_b64 s[54:55], s[54:55], exec
	s_or_b64 vcc, vcc, s[56:57]
	s_or_b64 s[52:53], s[52:53], s[54:55]
.LBB14_5962:
	s_or_b64 exec, exec, s[50:51]
	s_andn2_b64 s[46:47], s[46:47], exec
	s_and_b64 vcc, vcc, exec
	s_or_b64 s[46:47], s[46:47], vcc
	s_andn2_b64 s[4:5], s[4:5], exec
	s_and_b64 vcc, s[52:53], exec
	s_or_b64 s[4:5], s[4:5], vcc
	v_readlane_b32 vcc_lo, v44, 62
	v_readlane_b32 vcc_hi, v44, 63
.LBB14_5963:
	s_or_b64 exec, exec, s[48:49]
	s_andn2_b64 s[48:49], vcc, exec
	s_and_b64 s[46:47], s[46:47], exec
	s_or_b64 s[46:47], s[48:49], s[46:47]
	s_and_b64 s[48:49], s[4:5], exec
	s_mov_b64 s[4:5], s[44:45]
                                        ; implicit-def: $vgpr4
                                        ; implicit-def: $vgpr2_vgpr3
	s_andn2_saveexec_b64 s[42:43], s[42:43]
	s_cbranch_execz .LBB14_3852
.LBB14_5964:
	v_mov_b32_e32 v5, 4
	v_cmp_gt_i16_sdwa vcc, v11, v5 src0_sel:BYTE_0 src1_sel:DWORD
	s_and_saveexec_b64 s[44:45], vcc
	s_xor_b64 vcc, exec, s[44:45]
	s_cbranch_execz .LBB14_5986
; %bb.5965:
	v_mov_b32_e32 v5, 7
	v_cmp_gt_i16_sdwa s[44:45], v11, v5 src0_sel:BYTE_0 src1_sel:DWORD
	s_and_saveexec_b64 s[50:51], s[44:45]
	s_xor_b64 s[44:45], exec, s[50:51]
	s_cbranch_execz .LBB14_5975
; %bb.5966:
	v_mov_b32_e32 v5, 8
	v_cmp_gt_i16_sdwa s[50:51], v11, v5 src0_sel:BYTE_0 src1_sel:DWORD
	s_and_saveexec_b64 s[52:53], s[50:51]
	s_xor_b64 s[50:51], exec, s[52:53]
	;; [unrolled: 6-line block ×3, first 2 shown]
	s_cbranch_execz .LBB14_5969
; %bb.5968:
	v_mov_b32_e32 v70, 0
	v_cvt_f64_f32_e32 v[68:69], v4
	v_mov_b32_e32 v71, v70
	flat_store_dwordx4 v[2:3], v[68:71]
                                        ; implicit-def: $vgpr4
                                        ; implicit-def: $vgpr2_vgpr3
.LBB14_5969:
	s_andn2_saveexec_b64 s[52:53], s[52:53]
	s_cbranch_execz .LBB14_5971
; %bb.5970:
	v_mov_b32_e32 v5, 0
	flat_store_dwordx2 v[2:3], v[4:5]
.LBB14_5971:
	s_or_b64 exec, exec, s[52:53]
                                        ; implicit-def: $vgpr4
                                        ; implicit-def: $vgpr2_vgpr3
.LBB14_5972:
	s_andn2_saveexec_b64 s[50:51], s[50:51]
	s_cbranch_execz .LBB14_5974
; %bb.5973:
	v_cvt_f16_f32_e32 v4, v4
	flat_store_dword v[2:3], v4
.LBB14_5974:
	s_or_b64 exec, exec, s[50:51]
                                        ; implicit-def: $vgpr4
                                        ; implicit-def: $vgpr2_vgpr3
.LBB14_5975:
	s_andn2_saveexec_b64 s[44:45], s[44:45]
	s_cbranch_execz .LBB14_5985
; %bb.5976:
	v_mov_b32_e32 v5, 5
	v_cmp_gt_i16_sdwa s[50:51], v11, v5 src0_sel:BYTE_0 src1_sel:DWORD
	s_and_saveexec_b64 s[52:53], s[50:51]
	s_xor_b64 s[50:51], exec, s[52:53]
	s_cbranch_execz .LBB14_5982
; %bb.5977:
	v_mov_b32_e32 v5, 6
	v_cmp_gt_i16_sdwa s[52:53], v11, v5 src0_sel:BYTE_0 src1_sel:DWORD
	s_and_saveexec_b64 s[54:55], s[52:53]
	s_xor_b64 s[52:53], exec, s[54:55]
	s_cbranch_execz .LBB14_5979
; %bb.5978:
	v_cvt_f64_f32_e32 v[4:5], v4
	flat_store_dwordx2 v[2:3], v[4:5]
                                        ; implicit-def: $vgpr2_vgpr3
                                        ; implicit-def: $vgpr4
.LBB14_5979:
	s_andn2_saveexec_b64 s[52:53], s[52:53]
	s_cbranch_execz .LBB14_5981
; %bb.5980:
	flat_store_dword v[2:3], v4
.LBB14_5981:
	s_or_b64 exec, exec, s[52:53]
                                        ; implicit-def: $vgpr4
                                        ; implicit-def: $vgpr2_vgpr3
.LBB14_5982:
	s_andn2_saveexec_b64 s[50:51], s[50:51]
	s_cbranch_execz .LBB14_5984
; %bb.5983:
	v_cvt_f16_f32_e32 v4, v4
	flat_store_short v[2:3], v4
.LBB14_5984:
	s_or_b64 exec, exec, s[50:51]
.LBB14_5985:
	s_or_b64 exec, exec, s[44:45]
                                        ; implicit-def: $vgpr4
                                        ; implicit-def: $vgpr2_vgpr3
.LBB14_5986:
	s_andn2_saveexec_b64 s[44:45], vcc
	s_cbranch_execz .LBB14_6004
; %bb.5987:
	v_mov_b32_e32 v5, 1
	v_cmp_gt_i16_sdwa vcc, v11, v5 src0_sel:BYTE_0 src1_sel:DWORD
	s_and_saveexec_b64 s[50:51], vcc
	s_xor_b64 s[50:51], exec, s[50:51]
	s_cbranch_execz .LBB14_5997
; %bb.5988:
	v_mov_b32_e32 v5, 2
	v_cmp_gt_i16_sdwa vcc, v11, v5 src0_sel:BYTE_0 src1_sel:DWORD
	s_and_saveexec_b64 s[52:53], vcc
	s_xor_b64 s[52:53], exec, s[52:53]
	;; [unrolled: 6-line block ×3, first 2 shown]
	s_cbranch_execz .LBB14_5991
; %bb.5990:
	v_trunc_f32_e32 v4, v4
	s_mov_b32 s56, 0x2f800000
	v_mul_f32_e64 v5, |v4|, s56
	v_floor_f32_e32 v5, v5
	s_mov_b32 s56, 0xcf800000
	v_cvt_u32_f32_e32 v68, v5
	v_fma_f32 v5, v5, s56, |v4|
	v_cvt_u32_f32_e32 v5, v5
	v_ashrrev_i32_e32 v69, 31, v4
	v_xor_b32_e32 v68, v68, v69
	v_xor_b32_e32 v4, v5, v69
	v_sub_co_u32_e32 v4, vcc, v4, v69
	v_subb_co_u32_e32 v5, vcc, v68, v69, vcc
	flat_store_dwordx2 v[2:3], v[4:5]
                                        ; implicit-def: $vgpr4
                                        ; implicit-def: $vgpr2_vgpr3
.LBB14_5991:
	s_andn2_saveexec_b64 vcc, s[54:55]
	s_cbranch_execz .LBB14_5993
; %bb.5992:
	v_cvt_i32_f32_e32 v4, v4
	flat_store_dword v[2:3], v4
.LBB14_5993:
	s_or_b64 exec, exec, vcc
                                        ; implicit-def: $vgpr4
                                        ; implicit-def: $vgpr2_vgpr3
.LBB14_5994:
	s_andn2_saveexec_b64 vcc, s[52:53]
	s_cbranch_execz .LBB14_5996
; %bb.5995:
	v_cvt_i32_f32_e32 v4, v4
	flat_store_short v[2:3], v4
.LBB14_5996:
	s_or_b64 exec, exec, vcc
                                        ; implicit-def: $vgpr4
                                        ; implicit-def: $vgpr2_vgpr3
.LBB14_5997:
	s_andn2_saveexec_b64 vcc, s[50:51]
	s_cbranch_execz .LBB14_6003
; %bb.5998:
	v_mov_b32_e32 v5, 0
	v_cmp_gt_i16_sdwa s[50:51], v11, v5 src0_sel:BYTE_0 src1_sel:DWORD
	s_and_saveexec_b64 s[52:53], s[50:51]
	s_xor_b64 s[50:51], exec, s[52:53]
	s_cbranch_execz .LBB14_6000
; %bb.5999:
	v_cvt_i32_f32_e32 v4, v4
	flat_store_byte v[2:3], v4
                                        ; implicit-def: $vgpr4
                                        ; implicit-def: $vgpr2_vgpr3
.LBB14_6000:
	s_andn2_saveexec_b64 s[50:51], s[50:51]
	s_cbranch_execz .LBB14_6002
; %bb.6001:
	v_trunc_f32_e32 v4, v4
	s_mov_b32 s52, 0x2f800000
	v_mul_f32_e64 v5, |v4|, s52
	v_floor_f32_e32 v5, v5
	s_mov_b32 s52, 0xcf800000
	v_fma_f32 v5, v5, s52, |v4|
	v_cvt_u32_f32_e32 v5, v5
	v_ashrrev_i32_e32 v4, 31, v4
	v_xor_b32_e32 v5, v5, v4
	v_sub_u32_e32 v4, v5, v4
	flat_store_byte v[2:3], v4
.LBB14_6002:
	s_or_b64 exec, exec, s[50:51]
.LBB14_6003:
	s_or_b64 exec, exec, vcc
.LBB14_6004:
	s_or_b64 exec, exec, s[44:45]
	v_readlane_b32 vcc_lo, v44, 62
	s_or_b64 s[48:49], s[48:49], exec
	v_readlane_b32 vcc_hi, v44, 63
	s_or_b64 exec, exec, s[42:43]
	s_mov_b64 s[42:43], 0
	s_and_saveexec_b64 s[44:45], s[48:49]
	s_cbranch_execnz .LBB14_3853
	s_branch .LBB14_3854
.LBB14_6005:
	v_bfe_u32 v5, v4, 21, 1
	s_mov_b32 s46, 0x88fffff
	v_add3_u32 v5, v4, v5, s46
	s_mov_b64 s[44:45], exec
	v_lshrrev_b32_e32 v5, 21, v5
	s_or_saveexec_b64 s[46:47], vcc
                                        ; implicit-def: $sgpr48
	s_xor_b64 exec, exec, s[46:47]
	s_cbranch_execz .LBB14_5176
.LBB14_6006:
	s_mov_b32 s48, 0x42800000
	v_add_f32_e64 v5, |v4|, s48
	v_and_b32_e32 v5, 0xff, v5
	v_cmp_ne_u32_e32 vcc, 0, v5
	s_andn2_b64 s[44:45], s[44:45], exec
	s_and_b64 vcc, vcc, exec
	s_mov_b32 s48, 0
	s_or_b64 s[44:45], s[44:45], vcc
	s_or_b64 exec, exec, s[46:47]
	v_mov_b32_e32 v96, s48
	s_and_saveexec_b64 vcc, s[44:45]
	s_cbranch_execnz .LBB14_5177
	s_branch .LBB14_5178
.LBB14_6007:
	v_bfe_u32 v5, v4, 20, 1
	s_mov_b32 s48, 0x487ffff
	v_add3_u32 v5, v4, v5, s48
	s_mov_b64 s[46:47], exec
	v_lshrrev_b32_e32 v5, 20, v5
	s_or_saveexec_b64 s[48:49], vcc
                                        ; implicit-def: $sgpr50
	s_xor_b64 exec, exec, s[48:49]
	s_cbranch_execz .LBB14_5287
.LBB14_6008:
	s_mov_b32 s50, 0x46000000
	v_add_f32_e64 v5, |v4|, s50
	v_and_b32_e32 v5, 0xff, v5
	v_cmp_ne_u32_e32 vcc, 0, v5
	s_andn2_b64 s[46:47], s[46:47], exec
	s_and_b64 vcc, vcc, exec
	s_mov_b32 s50, 0
	s_or_b64 s[46:47], s[46:47], vcc
	s_or_b64 exec, exec, s[48:49]
	v_mov_b32_e32 v86, s50
	s_and_saveexec_b64 vcc, s[46:47]
	s_cbranch_execnz .LBB14_5288
	s_branch .LBB14_5289
.LBB14_6009:
	v_mov_b32_e32 v5, 25
	v_cmp_gt_i16_sdwa s[48:49], v11, v5 src0_sel:BYTE_0 src1_sel:DWORD
	s_mov_b64 s[46:47], vcc
	s_and_saveexec_b64 vcc, s[48:49]
	s_xor_b64 s[48:49], exec, vcc
	s_cbranch_execz .LBB14_6045
; %bb.6010:
	v_mov_b32_e32 v5, 28
	v_readlane_b32 s50, v43, 2
	v_cmp_gt_i16_sdwa vcc, v11, v5 src0_sel:BYTE_0 src1_sel:DWORD
	v_readlane_b32 s51, v43, 3
	s_and_saveexec_b64 s[46:47], vcc
	s_xor_b64 s[46:47], exec, s[46:47]
	s_cbranch_execz .LBB14_6028
; %bb.6011:
	v_mov_b32_e32 v5, 43
	v_readlane_b32 vcc_lo, v43, 2
	v_cmp_gt_i16_sdwa s[50:51], v11, v5 src0_sel:BYTE_0 src1_sel:DWORD
	v_readlane_b32 vcc_hi, v43, 3
	s_and_saveexec_b64 s[52:53], s[50:51]
	s_xor_b64 s[50:51], exec, s[52:53]
	s_cbranch_execz .LBB14_6023
; %bb.6012:
	v_mov_b32_e32 v5, 45
	v_readlane_b32 s54, v43, 2
	v_cmp_gt_i16_sdwa s[4:5], v11, v5 src0_sel:BYTE_0 src1_sel:DWORD
	s_mov_b64 s[52:53], 0
	v_readlane_b32 s55, v43, 3
	s_and_saveexec_b64 vcc, s[4:5]
	s_xor_b64 s[4:5], exec, vcc
	s_cbranch_execz .LBB14_6016
; %bb.6013:
	v_mov_b32_e32 v5, 46
	v_cmp_eq_u16_sdwa s[56:57], v11, v5 src0_sel:BYTE_0 src1_sel:DWORD
	s_mov_b64 vcc, -1
	s_and_saveexec_b64 s[54:55], s[56:57]
	s_cbranch_execz .LBB14_6015
; %bb.6014:
	v_bfe_u32 v5, v4, 16, 1
	s_movk_i32 vcc_lo, 0x7fff
	v_add3_u32 v5, v4, v5, vcc_lo
	v_lshrrev_b32_e32 v5, 16, v5
	v_mov_b32_e32 v66, 0x7fc0
	v_cmp_o_f32_e32 vcc, v4, v4
	v_cndmask_b32_e32 v4, v66, v5, vcc
	s_mov_b64 s[52:53], exec
	flat_store_dword v[2:3], v4
	s_xor_b64 vcc, exec, -1
.LBB14_6015:
	s_or_b64 exec, exec, s[54:55]
	v_readlane_b32 s54, v43, 2
	v_readlane_b32 s55, v43, 3
	s_andn2_b64 s[54:55], s[54:55], exec
	s_and_b64 vcc, vcc, exec
	s_or_b64 s[54:55], s[54:55], vcc
	s_and_b64 s[52:53], s[52:53], exec
                                        ; implicit-def: $vgpr2_vgpr3
                                        ; implicit-def: $vgpr4
.LBB14_6016:
	s_andn2_saveexec_b64 s[56:57], s[4:5]
	s_cbranch_execz .LBB14_6022
; %bb.6017:
	v_mov_b32_e32 v5, 44
	v_cmp_eq_u16_sdwa s[60:61], v11, v5 src0_sel:BYTE_0 src1_sel:DWORD
	s_mov_b64 vcc, -1
	s_mov_b64 s[4:5], s[52:53]
	s_and_saveexec_b64 s[58:59], s[60:61]
	s_cbranch_execz .LBB14_6021
; %bb.6018:
	v_bfe_u32 v5, v4, 23, 8
	s_movk_i32 s4, 0xff
	v_cmp_ne_u32_e32 vcc, s4, v5
	v_mov_b32_e32 v66, 0xff
	s_and_saveexec_b64 s[60:61], vcc
; %bb.6019:
	s_mov_b32 s4, 0x3fffff
	v_lshrrev_b32_e32 v66, 23, v4
	v_and_b32_e32 v67, 0x400000, v4
	v_and_or_b32 v4, v4, s4, v5
	v_cmp_ne_u32_e32 vcc, 0, v67
	v_cmp_ne_u32_e64 s[4:5], 0, v4
	s_and_b64 s[4:5], vcc, s[4:5]
	v_cndmask_b32_e64 v4, 0, 1, s[4:5]
	v_add_u32_e32 v66, v66, v4
; %bb.6020:
	s_or_b64 exec, exec, s[60:61]
	s_xor_b64 vcc, exec, -1
	s_or_b64 s[4:5], s[52:53], exec
	flat_store_byte v[2:3], v66
.LBB14_6021:
	s_or_b64 exec, exec, s[58:59]
	s_andn2_b64 s[54:55], s[54:55], exec
	s_and_b64 vcc, vcc, exec
	s_or_b64 s[54:55], s[54:55], vcc
	s_andn2_b64 vcc, s[52:53], exec
	s_and_b64 s[4:5], s[4:5], exec
	s_or_b64 s[52:53], vcc, s[4:5]
.LBB14_6022:
	s_or_b64 exec, exec, s[56:57]
	v_readlane_b32 s4, v43, 2
	v_readlane_b32 s5, v43, 3
	s_andn2_b64 s[4:5], s[4:5], exec
	s_and_b64 vcc, s[54:55], exec
	s_or_b64 vcc, s[4:5], vcc
	s_and_b64 s[4:5], s[52:53], exec
                                        ; implicit-def: $vgpr4
                                        ; implicit-def: $vgpr2_vgpr3
.LBB14_6023:
	s_andn2_saveexec_b64 s[50:51], s[50:51]
	s_cbranch_execz .LBB14_6027
; %bb.6024:
	v_mov_b32_e32 v5, 29
	v_cmp_eq_u16_sdwa s[58:59], v11, v5 src0_sel:BYTE_0 src1_sel:DWORD
	s_mov_b64 s[56:57], -1
	s_mov_b64 s[54:55], s[4:5]
	s_and_saveexec_b64 s[52:53], s[58:59]
	s_cbranch_execz .LBB14_6026
; %bb.6025:
	v_trunc_f32_e32 v4, v4
	v_mul_f32_e32 v5, 0x2f800000, v4
	v_floor_f32_e32 v66, v5
	v_fmac_f32_e32 v4, 0xcf800000, v66
	v_cvt_u32_f32_e32 v5, v66
	v_cvt_u32_f32_e32 v4, v4
	s_xor_b64 s[56:57], exec, -1
	s_or_b64 s[54:55], s[4:5], exec
	flat_store_dwordx2 v[2:3], v[4:5]
.LBB14_6026:
	s_or_b64 exec, exec, s[52:53]
	s_andn2_b64 vcc, vcc, exec
	s_and_b64 s[52:53], s[56:57], exec
	s_or_b64 vcc, vcc, s[52:53]
	s_andn2_b64 s[4:5], s[4:5], exec
	s_and_b64 s[52:53], s[54:55], exec
	s_or_b64 s[4:5], s[4:5], s[52:53]
.LBB14_6027:
	s_or_b64 exec, exec, s[50:51]
	v_readlane_b32 s50, v43, 2
	v_readlane_b32 s51, v43, 3
	s_andn2_b64 s[50:51], s[50:51], exec
	s_and_b64 vcc, vcc, exec
	s_or_b64 s[50:51], s[50:51], vcc
	s_and_b64 s[4:5], s[4:5], exec
                                        ; implicit-def: $vgpr2_vgpr3
                                        ; implicit-def: $vgpr4
.LBB14_6028:
	s_andn2_saveexec_b64 s[46:47], s[46:47]
	s_cbranch_execz .LBB14_6044
; %bb.6029:
	v_mov_b32_e32 v5, 26
	v_cmp_gt_i16_sdwa vcc, v11, v5 src0_sel:BYTE_0 src1_sel:DWORD
	s_and_saveexec_b64 s[52:53], vcc
	s_xor_b64 vcc, exec, s[52:53]
	s_cbranch_execz .LBB14_6035
; %bb.6030:
	v_cvt_u32_f32_e32 v4, v4
	v_mov_b32_e32 v5, 27
	v_cmp_gt_i16_sdwa s[52:53], v11, v5 src0_sel:BYTE_0 src1_sel:DWORD
	s_and_saveexec_b64 s[54:55], s[52:53]
	s_xor_b64 s[52:53], exec, s[54:55]
	s_cbranch_execz .LBB14_6032
; %bb.6031:
	flat_store_dword v[2:3], v4
                                        ; implicit-def: $vgpr2_vgpr3
                                        ; implicit-def: $vgpr4
.LBB14_6032:
	s_andn2_saveexec_b64 s[52:53], s[52:53]
	s_cbranch_execz .LBB14_6034
; %bb.6033:
	flat_store_short v[2:3], v4
.LBB14_6034:
	s_or_b64 exec, exec, s[52:53]
                                        ; implicit-def: $vgpr2_vgpr3
                                        ; implicit-def: $vgpr4
.LBB14_6035:
	s_andn2_saveexec_b64 s[52:53], vcc
	s_cbranch_execz .LBB14_6043
; %bb.6036:
	v_and_b32_e32 v5, 0x7fffffff, v4
	s_mov_b32 vcc_lo, 0x43800000
	v_cmp_gt_u32_e32 vcc, vcc_lo, v5
	v_mov_b32_e32 v66, 0x80
	s_and_saveexec_b64 s[54:55], vcc
	s_cbranch_execz .LBB14_6042
; %bb.6037:
	s_mov_b32 vcc_lo, 0x3bffffff
	v_cmp_lt_u32_e32 vcc, vcc_lo, v5
	s_mov_b64 s[56:57], 0
                                        ; implicit-def: $vgpr5
	s_and_saveexec_b64 s[58:59], vcc
	s_xor_b64 vcc, exec, s[58:59]
	s_cbranch_execnz .LBB14_6763
; %bb.6038:
	s_or_saveexec_b64 s[58:59], vcc
                                        ; implicit-def: $sgpr60
	s_xor_b64 exec, exec, s[58:59]
	s_cbranch_execnz .LBB14_6764
.LBB14_6039:
	s_or_b64 exec, exec, s[58:59]
	v_mov_b32_e32 v66, s60
	s_and_saveexec_b64 vcc, s[56:57]
.LBB14_6040:
	v_lshrrev_b32_e32 v4, 24, v4
	s_movk_i32 s56, 0x80
	v_and_or_b32 v66, v4, s56, v5
.LBB14_6041:
	s_or_b64 exec, exec, vcc
.LBB14_6042:
	s_or_b64 exec, exec, s[54:55]
	flat_store_byte v[2:3], v66
.LBB14_6043:
	s_or_b64 exec, exec, s[52:53]
	s_or_b64 s[4:5], s[4:5], exec
.LBB14_6044:
	s_or_b64 exec, exec, s[46:47]
	v_readlane_b32 vcc_lo, v43, 2
	v_readlane_b32 vcc_hi, v43, 3
	s_andn2_b64 vcc, vcc, exec
	s_and_b64 s[46:47], s[50:51], exec
	s_or_b64 s[46:47], vcc, s[46:47]
	s_and_b64 s[4:5], s[4:5], exec
                                        ; implicit-def: $vgpr4
                                        ; implicit-def: $vgpr2_vgpr3
.LBB14_6045:
	s_andn2_saveexec_b64 s[48:49], s[48:49]
	s_cbranch_execz .LBB14_6089
; %bb.6046:
	v_mov_b32_e32 v5, 22
	v_cmp_gt_i16_sdwa vcc, v11, v5 src0_sel:BYTE_0 src1_sel:DWORD
	s_mov_b64 s[52:53], s[4:5]
	s_and_saveexec_b64 s[50:51], vcc
	s_xor_b64 s[50:51], exec, s[50:51]
	s_cbranch_execz .LBB14_6078
; %bb.6047:
	v_mov_b32_e32 v5, 23
	v_cmp_gt_i16_sdwa vcc, v11, v5 src0_sel:BYTE_0 src1_sel:DWORD
	s_and_saveexec_b64 s[52:53], vcc
	s_xor_b64 s[52:53], exec, s[52:53]
	s_cbranch_execz .LBB14_6067
; %bb.6048:
	v_mov_b32_e32 v5, 24
	v_cmp_gt_i16_sdwa vcc, v11, v5 src0_sel:BYTE_0 src1_sel:DWORD
	s_and_saveexec_b64 s[54:55], vcc
	s_xor_b64 s[54:55], exec, s[54:55]
	s_cbranch_execz .LBB14_6056
; %bb.6049:
	v_and_b32_e32 v5, 0x7fffffff, v4
	s_mov_b32 vcc_lo, 0x47800000
	v_cmp_gt_u32_e32 vcc, vcc_lo, v5
	v_mov_b32_e32 v66, 0x80
	s_and_saveexec_b64 s[56:57], vcc
	s_cbranch_execz .LBB14_6055
; %bb.6050:
	s_mov_b32 vcc_lo, 0x37ffffff
	v_cmp_lt_u32_e32 vcc, vcc_lo, v5
	s_mov_b64 s[58:59], 0
                                        ; implicit-def: $vgpr5
	s_and_saveexec_b64 s[60:61], vcc
	s_xor_b64 vcc, exec, s[60:61]
	s_cbranch_execnz .LBB14_6887
; %bb.6051:
	s_or_saveexec_b64 s[60:61], vcc
                                        ; implicit-def: $sgpr62
	s_xor_b64 exec, exec, s[60:61]
	s_cbranch_execnz .LBB14_6888
.LBB14_6052:
	s_or_b64 exec, exec, s[60:61]
	v_mov_b32_e32 v66, s62
	s_and_saveexec_b64 vcc, s[58:59]
.LBB14_6053:
	v_lshrrev_b32_e32 v4, 24, v4
	s_movk_i32 s58, 0x80
	v_and_or_b32 v66, v4, s58, v5
.LBB14_6054:
	s_or_b64 exec, exec, vcc
.LBB14_6055:
	s_or_b64 exec, exec, s[56:57]
	flat_store_byte v[2:3], v66
                                        ; implicit-def: $vgpr4
                                        ; implicit-def: $vgpr2_vgpr3
.LBB14_6056:
	s_andn2_saveexec_b64 s[54:55], s[54:55]
	s_cbranch_execz .LBB14_6066
; %bb.6057:
	v_and_b32_e32 v66, 0x7fffffff, v4
	s_mov_b32 vcc_lo, 0x43f00000
	v_cmp_gt_u32_e32 vcc, vcc_lo, v66
                                        ; implicit-def: $vgpr5
	s_and_saveexec_b64 s[56:57], vcc
	s_xor_b64 s[56:57], exec, s[56:57]
	s_cbranch_execz .LBB14_6063
; %bb.6058:
	s_mov_b32 vcc_lo, 0x3c7fffff
	v_cmp_lt_u32_e32 vcc, vcc_lo, v66
                                        ; implicit-def: $vgpr5
	s_and_saveexec_b64 s[58:59], vcc
	s_xor_b64 s[58:59], exec, s[58:59]
; %bb.6059:
	v_bfe_u32 v5, v4, 20, 1
	s_mov_b32 vcc_lo, 0x407ffff
	v_add3_u32 v5, v4, v5, vcc_lo
	v_lshrrev_b32_e32 v66, 20, v5
	v_and_b32_e32 v5, 0xff00000, v5
	s_mov_b32 vcc_lo, 0x7f00000
	v_mov_b32_e32 v67, 0x7e
	v_cmp_ne_u32_e32 vcc, vcc_lo, v5
	v_cndmask_b32_e32 v5, v67, v66, vcc
; %bb.6060:
	s_andn2_saveexec_b64 vcc, s[58:59]
; %bb.6061:
	s_mov_b32 s58, 0x46800000
	v_add_f32_e64 v5, |v4|, s58
; %bb.6062:
	s_or_b64 exec, exec, vcc
                                        ; implicit-def: $vgpr66
.LBB14_6063:
	s_andn2_saveexec_b64 s[56:57], s[56:57]
; %bb.6064:
	s_mov_b32 vcc_lo, 0x7f800000
	v_mov_b32_e32 v5, 0x7e
	v_mov_b32_e32 v67, 0x7f
	v_cmp_lt_u32_e32 vcc, vcc_lo, v66
	v_cndmask_b32_e32 v5, v5, v67, vcc
; %bb.6065:
	s_or_b64 exec, exec, s[56:57]
	v_lshrrev_b32_e32 v4, 24, v4
	s_movk_i32 vcc_lo, 0x80
	v_and_or_b32 v4, v4, vcc_lo, v5
	flat_store_byte v[2:3], v4
.LBB14_6066:
	s_or_b64 exec, exec, s[54:55]
                                        ; implicit-def: $vgpr4
                                        ; implicit-def: $vgpr2_vgpr3
.LBB14_6067:
	s_andn2_saveexec_b64 s[52:53], s[52:53]
	s_cbranch_execz .LBB14_6077
; %bb.6068:
	v_and_b32_e32 v66, 0x7fffffff, v4
	s_mov_b32 vcc_lo, 0x47800000
	v_cmp_gt_u32_e32 vcc, vcc_lo, v66
                                        ; implicit-def: $vgpr5
	s_and_saveexec_b64 s[54:55], vcc
	s_xor_b64 s[54:55], exec, s[54:55]
	s_cbranch_execz .LBB14_6074
; %bb.6069:
	s_mov_b32 vcc_lo, 0x387fffff
	v_cmp_lt_u32_e32 vcc, vcc_lo, v66
                                        ; implicit-def: $vgpr5
	s_and_saveexec_b64 s[56:57], vcc
	s_xor_b64 vcc, exec, s[56:57]
; %bb.6070:
	v_bfe_u32 v5, v4, 21, 1
	s_mov_b32 s56, 0x80fffff
	v_add3_u32 v5, v4, v5, s56
	v_lshrrev_b32_e32 v5, 21, v5
; %bb.6071:
	s_andn2_saveexec_b64 vcc, vcc
; %bb.6072:
	s_mov_b32 s56, 0x43000000
	v_add_f32_e64 v5, |v4|, s56
; %bb.6073:
	s_or_b64 exec, exec, vcc
                                        ; implicit-def: $vgpr66
.LBB14_6074:
	s_andn2_saveexec_b64 s[54:55], s[54:55]
; %bb.6075:
	s_mov_b32 vcc_lo, 0x7f800000
	v_mov_b32_e32 v5, 0x7c
	v_mov_b32_e32 v67, 0x7f
	v_cmp_lt_u32_e32 vcc, vcc_lo, v66
	v_cndmask_b32_e32 v5, v5, v67, vcc
; %bb.6076:
	s_or_b64 exec, exec, s[54:55]
	v_lshrrev_b32_e32 v4, 24, v4
	s_movk_i32 vcc_lo, 0x80
	v_and_or_b32 v4, v4, vcc_lo, v5
	flat_store_byte v[2:3], v4
.LBB14_6077:
	s_or_b64 exec, exec, s[52:53]
	s_or_b64 s[52:53], s[4:5], exec
                                        ; implicit-def: $vgpr4
                                        ; implicit-def: $vgpr2_vgpr3
.LBB14_6078:
	s_or_saveexec_b64 s[50:51], s[50:51]
	s_mov_b64 vcc, s[46:47]
	s_xor_b64 exec, exec, s[50:51]
	s_cbranch_execz .LBB14_6088
; %bb.6079:
	v_mov_b32_e32 v5, 14
	v_cmp_gt_i16_sdwa vcc, v11, v5 src0_sel:BYTE_0 src1_sel:DWORD
	s_mov_b64 s[54:55], s[52:53]
	s_mov_b64 s[56:57], s[46:47]
	s_and_saveexec_b64 s[58:59], vcc
	s_xor_b64 s[58:59], exec, s[58:59]
	s_cbranch_execz .LBB14_6083
; %bb.6080:
	v_mov_b32_e32 v5, 15
	v_cmp_eq_u16_sdwa s[60:61], v11, v5 src0_sel:BYTE_0 src1_sel:DWORD
	s_mov_b64 s[56:57], -1
	s_mov_b64 vcc, s[52:53]
	s_and_saveexec_b64 s[54:55], s[60:61]
	s_cbranch_execz .LBB14_6082
; %bb.6081:
	v_bfe_u32 v5, v4, 16, 1
	s_movk_i32 vcc_lo, 0x7fff
	v_add3_u32 v5, v4, v5, vcc_lo
	v_lshrrev_b32_e32 v5, 16, v5
	v_mov_b32_e32 v66, 0x7fc0
	v_cmp_o_f32_e32 vcc, v4, v4
	v_cndmask_b32_e32 v4, v66, v5, vcc
	flat_store_short v[2:3], v4
	s_xor_b64 s[56:57], exec, -1
	s_or_b64 vcc, s[52:53], exec
.LBB14_6082:
	s_or_b64 exec, exec, s[54:55]
	s_andn2_b64 s[54:55], s[46:47], exec
	s_and_b64 s[56:57], s[56:57], exec
	s_or_b64 s[56:57], s[54:55], s[56:57]
	s_andn2_b64 s[54:55], s[52:53], exec
	s_and_b64 vcc, vcc, exec
	s_or_b64 s[54:55], s[54:55], vcc
                                        ; implicit-def: $vgpr4
                                        ; implicit-def: $vgpr2_vgpr3
.LBB14_6083:
	s_andn2_saveexec_b64 s[58:59], s[58:59]
	s_cbranch_execz .LBB14_6087
; %bb.6084:
	v_mov_b32_e32 v5, 11
	v_cmp_eq_u16_sdwa s[64:65], v11, v5 src0_sel:BYTE_0 src1_sel:DWORD
	s_mov_b64 s[60:61], -1
	s_mov_b64 vcc, s[54:55]
	s_and_saveexec_b64 s[62:63], s[64:65]
	s_cbranch_execz .LBB14_6086
; %bb.6085:
	v_cmp_neq_f32_e32 vcc, 0, v4
	v_cndmask_b32_e64 v4, 0, 1, vcc
	flat_store_byte v[2:3], v4
	s_xor_b64 s[60:61], exec, -1
	s_or_b64 vcc, s[54:55], exec
.LBB14_6086:
	s_or_b64 exec, exec, s[62:63]
	s_andn2_b64 s[56:57], s[56:57], exec
	s_and_b64 s[60:61], s[60:61], exec
	s_andn2_b64 s[54:55], s[54:55], exec
	s_and_b64 vcc, vcc, exec
	s_or_b64 s[56:57], s[56:57], s[60:61]
	s_or_b64 s[54:55], s[54:55], vcc
.LBB14_6087:
	s_or_b64 exec, exec, s[58:59]
	s_andn2_b64 vcc, s[46:47], exec
	s_and_b64 s[56:57], s[56:57], exec
	s_andn2_b64 s[52:53], s[52:53], exec
	s_and_b64 s[54:55], s[54:55], exec
	s_or_b64 vcc, vcc, s[56:57]
	s_or_b64 s[52:53], s[52:53], s[54:55]
.LBB14_6088:
	s_or_b64 exec, exec, s[50:51]
	s_andn2_b64 s[46:47], s[46:47], exec
	s_and_b64 vcc, vcc, exec
	s_or_b64 s[46:47], s[46:47], vcc
	s_andn2_b64 s[4:5], s[4:5], exec
	s_and_b64 vcc, s[52:53], exec
	s_or_b64 s[4:5], s[4:5], vcc
.LBB14_6089:
	s_or_b64 exec, exec, s[48:49]
	v_readlane_b32 vcc_lo, v43, 2
	v_readlane_b32 vcc_hi, v43, 3
	s_andn2_b64 vcc, vcc, exec
	s_and_b64 s[46:47], s[46:47], exec
	s_or_b64 s[46:47], vcc, s[46:47]
	s_and_b64 s[4:5], s[4:5], exec
                                        ; implicit-def: $vgpr4
                                        ; implicit-def: $vgpr2_vgpr3
	s_andn2_saveexec_b64 s[40:41], s[40:41]
	s_cbranch_execz .LBB14_3859
.LBB14_6090:
	v_mov_b32_e32 v5, 4
	v_cmp_gt_i16_sdwa vcc, v11, v5 src0_sel:BYTE_0 src1_sel:DWORD
	s_and_saveexec_b64 s[48:49], vcc
	s_xor_b64 vcc, exec, s[48:49]
	s_cbranch_execz .LBB14_6112
; %bb.6091:
	v_mov_b32_e32 v5, 7
	v_cmp_gt_i16_sdwa s[48:49], v11, v5 src0_sel:BYTE_0 src1_sel:DWORD
	s_and_saveexec_b64 s[50:51], s[48:49]
	s_xor_b64 s[48:49], exec, s[50:51]
	s_cbranch_execz .LBB14_6101
; %bb.6092:
	v_mov_b32_e32 v5, 8
	v_cmp_gt_i16_sdwa s[50:51], v11, v5 src0_sel:BYTE_0 src1_sel:DWORD
	s_and_saveexec_b64 s[52:53], s[50:51]
	s_xor_b64 s[50:51], exec, s[52:53]
	;; [unrolled: 6-line block ×3, first 2 shown]
	s_cbranch_execz .LBB14_6095
; %bb.6094:
	v_mov_b32_e32 v68, 0
	v_cvt_f64_f32_e32 v[66:67], v4
	v_mov_b32_e32 v69, v68
	flat_store_dwordx4 v[2:3], v[66:69]
                                        ; implicit-def: $vgpr4
                                        ; implicit-def: $vgpr2_vgpr3
.LBB14_6095:
	s_andn2_saveexec_b64 s[52:53], s[52:53]
	s_cbranch_execz .LBB14_6097
; %bb.6096:
	v_mov_b32_e32 v5, 0
	flat_store_dwordx2 v[2:3], v[4:5]
.LBB14_6097:
	s_or_b64 exec, exec, s[52:53]
                                        ; implicit-def: $vgpr4
                                        ; implicit-def: $vgpr2_vgpr3
.LBB14_6098:
	s_andn2_saveexec_b64 s[50:51], s[50:51]
	s_cbranch_execz .LBB14_6100
; %bb.6099:
	v_cvt_f16_f32_e32 v4, v4
	flat_store_dword v[2:3], v4
.LBB14_6100:
	s_or_b64 exec, exec, s[50:51]
                                        ; implicit-def: $vgpr4
                                        ; implicit-def: $vgpr2_vgpr3
.LBB14_6101:
	s_andn2_saveexec_b64 s[48:49], s[48:49]
	s_cbranch_execz .LBB14_6111
; %bb.6102:
	v_mov_b32_e32 v5, 5
	v_cmp_gt_i16_sdwa s[50:51], v11, v5 src0_sel:BYTE_0 src1_sel:DWORD
	s_and_saveexec_b64 s[52:53], s[50:51]
	s_xor_b64 s[50:51], exec, s[52:53]
	s_cbranch_execz .LBB14_6108
; %bb.6103:
	v_mov_b32_e32 v5, 6
	v_cmp_gt_i16_sdwa s[52:53], v11, v5 src0_sel:BYTE_0 src1_sel:DWORD
	s_and_saveexec_b64 s[54:55], s[52:53]
	s_xor_b64 s[52:53], exec, s[54:55]
	s_cbranch_execz .LBB14_6105
; %bb.6104:
	v_cvt_f64_f32_e32 v[4:5], v4
	flat_store_dwordx2 v[2:3], v[4:5]
                                        ; implicit-def: $vgpr2_vgpr3
                                        ; implicit-def: $vgpr4
.LBB14_6105:
	s_andn2_saveexec_b64 s[52:53], s[52:53]
	s_cbranch_execz .LBB14_6107
; %bb.6106:
	flat_store_dword v[2:3], v4
.LBB14_6107:
	s_or_b64 exec, exec, s[52:53]
                                        ; implicit-def: $vgpr4
                                        ; implicit-def: $vgpr2_vgpr3
.LBB14_6108:
	s_andn2_saveexec_b64 s[50:51], s[50:51]
	s_cbranch_execz .LBB14_6110
; %bb.6109:
	v_cvt_f16_f32_e32 v4, v4
	flat_store_short v[2:3], v4
.LBB14_6110:
	s_or_b64 exec, exec, s[50:51]
.LBB14_6111:
	s_or_b64 exec, exec, s[48:49]
                                        ; implicit-def: $vgpr4
                                        ; implicit-def: $vgpr2_vgpr3
.LBB14_6112:
	s_andn2_saveexec_b64 s[48:49], vcc
	s_cbranch_execz .LBB14_6130
; %bb.6113:
	v_mov_b32_e32 v5, 1
	v_cmp_gt_i16_sdwa vcc, v11, v5 src0_sel:BYTE_0 src1_sel:DWORD
	s_and_saveexec_b64 s[50:51], vcc
	s_xor_b64 s[50:51], exec, s[50:51]
	s_cbranch_execz .LBB14_6123
; %bb.6114:
	v_mov_b32_e32 v5, 2
	v_cmp_gt_i16_sdwa vcc, v11, v5 src0_sel:BYTE_0 src1_sel:DWORD
	s_and_saveexec_b64 s[52:53], vcc
	s_xor_b64 s[52:53], exec, s[52:53]
	;; [unrolled: 6-line block ×3, first 2 shown]
	s_cbranch_execz .LBB14_6117
; %bb.6116:
	v_trunc_f32_e32 v4, v4
	s_mov_b32 s56, 0x2f800000
	v_mul_f32_e64 v5, |v4|, s56
	v_floor_f32_e32 v5, v5
	s_mov_b32 s56, 0xcf800000
	v_cvt_u32_f32_e32 v66, v5
	v_fma_f32 v5, v5, s56, |v4|
	v_cvt_u32_f32_e32 v5, v5
	v_ashrrev_i32_e32 v67, 31, v4
	v_xor_b32_e32 v66, v66, v67
	v_xor_b32_e32 v4, v5, v67
	v_sub_co_u32_e32 v4, vcc, v4, v67
	v_subb_co_u32_e32 v5, vcc, v66, v67, vcc
	flat_store_dwordx2 v[2:3], v[4:5]
                                        ; implicit-def: $vgpr4
                                        ; implicit-def: $vgpr2_vgpr3
.LBB14_6117:
	s_andn2_saveexec_b64 vcc, s[54:55]
	s_cbranch_execz .LBB14_6119
; %bb.6118:
	v_cvt_i32_f32_e32 v4, v4
	flat_store_dword v[2:3], v4
.LBB14_6119:
	s_or_b64 exec, exec, vcc
                                        ; implicit-def: $vgpr4
                                        ; implicit-def: $vgpr2_vgpr3
.LBB14_6120:
	s_andn2_saveexec_b64 vcc, s[52:53]
	s_cbranch_execz .LBB14_6122
; %bb.6121:
	v_cvt_i32_f32_e32 v4, v4
	flat_store_short v[2:3], v4
.LBB14_6122:
	s_or_b64 exec, exec, vcc
                                        ; implicit-def: $vgpr4
                                        ; implicit-def: $vgpr2_vgpr3
.LBB14_6123:
	s_andn2_saveexec_b64 vcc, s[50:51]
	s_cbranch_execz .LBB14_6129
; %bb.6124:
	v_mov_b32_e32 v5, 0
	v_cmp_gt_i16_sdwa s[50:51], v11, v5 src0_sel:BYTE_0 src1_sel:DWORD
	s_and_saveexec_b64 s[52:53], s[50:51]
	s_xor_b64 s[50:51], exec, s[52:53]
	s_cbranch_execz .LBB14_6126
; %bb.6125:
	v_cvt_i32_f32_e32 v4, v4
	flat_store_byte v[2:3], v4
                                        ; implicit-def: $vgpr4
                                        ; implicit-def: $vgpr2_vgpr3
.LBB14_6126:
	s_andn2_saveexec_b64 s[50:51], s[50:51]
	s_cbranch_execz .LBB14_6128
; %bb.6127:
	v_trunc_f32_e32 v4, v4
	s_mov_b32 s52, 0x2f800000
	v_mul_f32_e64 v5, |v4|, s52
	v_floor_f32_e32 v5, v5
	s_mov_b32 s52, 0xcf800000
	v_fma_f32 v5, v5, s52, |v4|
	v_cvt_u32_f32_e32 v5, v5
	v_ashrrev_i32_e32 v4, 31, v4
	v_xor_b32_e32 v5, v5, v4
	v_sub_u32_e32 v4, v5, v4
	flat_store_byte v[2:3], v4
.LBB14_6128:
	s_or_b64 exec, exec, s[50:51]
.LBB14_6129:
	s_or_b64 exec, exec, vcc
.LBB14_6130:
	s_or_b64 exec, exec, s[48:49]
	s_or_b64 s[4:5], s[4:5], exec
	s_or_b64 exec, exec, s[40:41]
	s_mov_b64 vcc, 0
	s_and_saveexec_b64 s[40:41], s[4:5]
	s_cbranch_execnz .LBB14_3860
	s_branch .LBB14_3861
.LBB14_6131:
	v_bfe_u32 v5, v4, 21, 1
	s_mov_b32 s50, 0x88fffff
	v_add3_u32 v5, v4, v5, s50
	s_mov_b64 s[48:49], exec
	v_lshrrev_b32_e32 v5, 21, v5
	s_or_saveexec_b64 s[50:51], vcc
                                        ; implicit-def: $sgpr52
	s_xor_b64 exec, exec, s[50:51]
	s_cbranch_execz .LBB14_5300
.LBB14_6132:
	s_mov_b32 s52, 0x42800000
	v_add_f32_e64 v5, |v4|, s52
	v_and_b32_e32 v5, 0xff, v5
	v_cmp_ne_u32_e32 vcc, 0, v5
	s_andn2_b64 s[48:49], s[48:49], exec
	s_and_b64 vcc, vcc, exec
	s_mov_b32 s52, 0
	s_or_b64 s[48:49], s[48:49], vcc
	s_or_b64 exec, exec, s[50:51]
	v_mov_b32_e32 v86, s52
	s_and_saveexec_b64 vcc, s[48:49]
	s_cbranch_execnz .LBB14_5301
	s_branch .LBB14_5302
.LBB14_6133:
	v_bfe_u32 v5, v4, 20, 1
	s_mov_b32 s52, 0x487ffff
	v_add3_u32 v5, v4, v5, s52
	s_mov_b64 s[50:51], exec
	v_lshrrev_b32_e32 v5, 20, v5
	s_or_saveexec_b64 s[52:53], vcc
                                        ; implicit-def: $sgpr54
	s_xor_b64 exec, exec, s[52:53]
	s_cbranch_execz .LBB14_5411
.LBB14_6134:
	s_mov_b32 s54, 0x46000000
	v_add_f32_e64 v5, |v4|, s54
	v_and_b32_e32 v5, 0xff, v5
	v_cmp_ne_u32_e32 vcc, 0, v5
	s_andn2_b64 s[50:51], s[50:51], exec
	s_and_b64 vcc, vcc, exec
	s_mov_b32 s54, 0
	s_or_b64 s[50:51], s[50:51], vcc
	s_or_b64 exec, exec, s[52:53]
	v_mov_b32_e32 v84, s54
	s_and_saveexec_b64 vcc, s[50:51]
	s_cbranch_execnz .LBB14_5412
	s_branch .LBB14_5413
.LBB14_6135:
	v_mov_b32_e32 v5, 25
	v_cmp_gt_i16_sdwa vcc, v11, v5 src0_sel:BYTE_0 src1_sel:DWORD
	s_mov_b64 s[46:47], s[40:41]
	s_and_saveexec_b64 s[48:49], vcc
	s_xor_b64 s[48:49], exec, s[48:49]
	s_cbranch_execz .LBB14_6171
; %bb.6136:
	v_mov_b32_e32 v5, 28
	v_cmp_gt_i16_sdwa vcc, v11, v5 src0_sel:BYTE_0 src1_sel:DWORD
	s_mov_b64 s[50:51], s[40:41]
	s_and_saveexec_b64 s[46:47], vcc
	s_xor_b64 s[46:47], exec, s[46:47]
	s_cbranch_execz .LBB14_6154
; %bb.6137:
	v_mov_b32_e32 v5, 43
	v_cmp_gt_i16_sdwa s[50:51], v11, v5 src0_sel:BYTE_0 src1_sel:DWORD
	s_mov_b64 vcc, s[40:41]
	s_and_saveexec_b64 s[52:53], s[50:51]
	s_xor_b64 s[50:51], exec, s[52:53]
	s_cbranch_execz .LBB14_6149
; %bb.6138:
	v_mov_b32_e32 v5, 45
	v_cmp_gt_i16_sdwa s[4:5], v11, v5 src0_sel:BYTE_0 src1_sel:DWORD
	s_mov_b64 s[52:53], 0
	s_mov_b64 s[54:55], s[40:41]
	s_and_saveexec_b64 vcc, s[4:5]
	s_xor_b64 s[4:5], exec, vcc
	s_cbranch_execz .LBB14_6142
; %bb.6139:
	v_mov_b32_e32 v5, 46
	v_cmp_eq_u16_sdwa s[56:57], v11, v5 src0_sel:BYTE_0 src1_sel:DWORD
	s_mov_b64 vcc, -1
	s_and_saveexec_b64 s[54:55], s[56:57]
	s_cbranch_execz .LBB14_6141
; %bb.6140:
	v_bfe_u32 v5, v4, 16, 1
	s_movk_i32 vcc_lo, 0x7fff
	v_add3_u32 v5, v4, v5, vcc_lo
	v_lshrrev_b32_e32 v5, 16, v5
	v_mov_b32_e32 v64, 0x7fc0
	v_cmp_o_f32_e32 vcc, v4, v4
	v_cndmask_b32_e32 v4, v64, v5, vcc
	s_mov_b64 s[52:53], exec
	flat_store_dword v[2:3], v4
	s_xor_b64 vcc, exec, -1
.LBB14_6141:
	s_or_b64 exec, exec, s[54:55]
	s_andn2_b64 s[54:55], s[40:41], exec
	s_and_b64 vcc, vcc, exec
	s_or_b64 s[54:55], s[54:55], vcc
	s_and_b64 s[52:53], s[52:53], exec
                                        ; implicit-def: $vgpr2_vgpr3
                                        ; implicit-def: $vgpr4
.LBB14_6142:
	s_andn2_saveexec_b64 s[56:57], s[4:5]
	s_cbranch_execz .LBB14_6148
; %bb.6143:
	v_mov_b32_e32 v5, 44
	v_cmp_eq_u16_sdwa s[60:61], v11, v5 src0_sel:BYTE_0 src1_sel:DWORD
	s_mov_b64 vcc, -1
	s_mov_b64 s[4:5], s[52:53]
	s_and_saveexec_b64 s[58:59], s[60:61]
	s_cbranch_execz .LBB14_6147
; %bb.6144:
	v_bfe_u32 v5, v4, 23, 8
	s_movk_i32 s4, 0xff
	v_cmp_ne_u32_e32 vcc, s4, v5
	v_mov_b32_e32 v64, 0xff
	s_and_saveexec_b64 s[60:61], vcc
; %bb.6145:
	s_mov_b32 s4, 0x3fffff
	v_lshrrev_b32_e32 v64, 23, v4
	v_and_b32_e32 v65, 0x400000, v4
	v_and_or_b32 v4, v4, s4, v5
	v_cmp_ne_u32_e32 vcc, 0, v65
	v_cmp_ne_u32_e64 s[4:5], 0, v4
	s_and_b64 s[4:5], vcc, s[4:5]
	v_cndmask_b32_e64 v4, 0, 1, s[4:5]
	v_add_u32_e32 v64, v64, v4
; %bb.6146:
	s_or_b64 exec, exec, s[60:61]
	s_xor_b64 vcc, exec, -1
	s_or_b64 s[4:5], s[52:53], exec
	flat_store_byte v[2:3], v64
.LBB14_6147:
	s_or_b64 exec, exec, s[58:59]
	s_andn2_b64 s[54:55], s[54:55], exec
	s_and_b64 vcc, vcc, exec
	s_or_b64 s[54:55], s[54:55], vcc
	s_andn2_b64 vcc, s[52:53], exec
	s_and_b64 s[4:5], s[4:5], exec
	s_or_b64 s[52:53], vcc, s[4:5]
.LBB14_6148:
	s_or_b64 exec, exec, s[56:57]
	s_andn2_b64 s[4:5], s[40:41], exec
	s_and_b64 vcc, s[54:55], exec
	s_or_b64 vcc, s[4:5], vcc
	s_and_b64 s[4:5], s[52:53], exec
                                        ; implicit-def: $vgpr4
                                        ; implicit-def: $vgpr2_vgpr3
.LBB14_6149:
	s_andn2_saveexec_b64 s[50:51], s[50:51]
	s_cbranch_execz .LBB14_6153
; %bb.6150:
	v_mov_b32_e32 v5, 29
	v_cmp_eq_u16_sdwa s[58:59], v11, v5 src0_sel:BYTE_0 src1_sel:DWORD
	s_mov_b64 s[56:57], -1
	s_mov_b64 s[54:55], s[4:5]
	s_and_saveexec_b64 s[52:53], s[58:59]
	s_cbranch_execz .LBB14_6152
; %bb.6151:
	v_trunc_f32_e32 v4, v4
	v_mul_f32_e32 v5, 0x2f800000, v4
	v_floor_f32_e32 v64, v5
	v_fmac_f32_e32 v4, 0xcf800000, v64
	v_cvt_u32_f32_e32 v5, v64
	v_cvt_u32_f32_e32 v4, v4
	s_xor_b64 s[56:57], exec, -1
	s_or_b64 s[54:55], s[4:5], exec
	flat_store_dwordx2 v[2:3], v[4:5]
.LBB14_6152:
	s_or_b64 exec, exec, s[52:53]
	s_andn2_b64 vcc, vcc, exec
	s_and_b64 s[52:53], s[56:57], exec
	s_or_b64 vcc, vcc, s[52:53]
	s_andn2_b64 s[4:5], s[4:5], exec
	s_and_b64 s[52:53], s[54:55], exec
	s_or_b64 s[4:5], s[4:5], s[52:53]
.LBB14_6153:
	s_or_b64 exec, exec, s[50:51]
	s_andn2_b64 s[50:51], s[40:41], exec
	s_and_b64 vcc, vcc, exec
	s_or_b64 s[50:51], s[50:51], vcc
	s_and_b64 s[4:5], s[4:5], exec
                                        ; implicit-def: $vgpr2_vgpr3
                                        ; implicit-def: $vgpr4
.LBB14_6154:
	s_andn2_saveexec_b64 s[46:47], s[46:47]
	s_cbranch_execz .LBB14_6170
; %bb.6155:
	v_mov_b32_e32 v5, 26
	v_cmp_gt_i16_sdwa vcc, v11, v5 src0_sel:BYTE_0 src1_sel:DWORD
	s_and_saveexec_b64 s[52:53], vcc
	s_xor_b64 vcc, exec, s[52:53]
	s_cbranch_execz .LBB14_6161
; %bb.6156:
	v_cvt_u32_f32_e32 v4, v4
	v_mov_b32_e32 v5, 27
	v_cmp_gt_i16_sdwa s[52:53], v11, v5 src0_sel:BYTE_0 src1_sel:DWORD
	s_and_saveexec_b64 s[54:55], s[52:53]
	s_xor_b64 s[52:53], exec, s[54:55]
	s_cbranch_execz .LBB14_6158
; %bb.6157:
	flat_store_dword v[2:3], v4
                                        ; implicit-def: $vgpr2_vgpr3
                                        ; implicit-def: $vgpr4
.LBB14_6158:
	s_andn2_saveexec_b64 s[52:53], s[52:53]
	s_cbranch_execz .LBB14_6160
; %bb.6159:
	flat_store_short v[2:3], v4
.LBB14_6160:
	s_or_b64 exec, exec, s[52:53]
                                        ; implicit-def: $vgpr2_vgpr3
                                        ; implicit-def: $vgpr4
.LBB14_6161:
	s_andn2_saveexec_b64 s[52:53], vcc
	s_cbranch_execz .LBB14_6169
; %bb.6162:
	v_and_b32_e32 v5, 0x7fffffff, v4
	s_mov_b32 vcc_lo, 0x43800000
	v_cmp_gt_u32_e32 vcc, vcc_lo, v5
	v_mov_b32_e32 v64, 0x80
	s_and_saveexec_b64 s[54:55], vcc
	s_cbranch_execz .LBB14_6168
; %bb.6163:
	s_mov_b32 vcc_lo, 0x3bffffff
	v_cmp_lt_u32_e32 vcc, vcc_lo, v5
	s_mov_b64 s[56:57], 0
                                        ; implicit-def: $vgpr5
	s_and_saveexec_b64 s[58:59], vcc
	s_xor_b64 vcc, exec, s[58:59]
	s_cbranch_execnz .LBB14_6889
; %bb.6164:
	s_or_saveexec_b64 s[58:59], vcc
                                        ; implicit-def: $sgpr60
	s_xor_b64 exec, exec, s[58:59]
	s_cbranch_execnz .LBB14_6890
.LBB14_6165:
	s_or_b64 exec, exec, s[58:59]
	v_mov_b32_e32 v64, s60
	s_and_saveexec_b64 vcc, s[56:57]
.LBB14_6166:
	v_lshrrev_b32_e32 v4, 24, v4
	s_movk_i32 s56, 0x80
	v_and_or_b32 v64, v4, s56, v5
.LBB14_6167:
	s_or_b64 exec, exec, vcc
.LBB14_6168:
	s_or_b64 exec, exec, s[54:55]
	flat_store_byte v[2:3], v64
.LBB14_6169:
	s_or_b64 exec, exec, s[52:53]
	s_or_b64 s[4:5], s[4:5], exec
.LBB14_6170:
	s_or_b64 exec, exec, s[46:47]
	s_andn2_b64 vcc, s[40:41], exec
	s_and_b64 s[46:47], s[50:51], exec
	s_or_b64 s[46:47], vcc, s[46:47]
	s_and_b64 s[4:5], s[4:5], exec
                                        ; implicit-def: $vgpr4
                                        ; implicit-def: $vgpr2_vgpr3
.LBB14_6171:
	s_andn2_saveexec_b64 s[48:49], s[48:49]
	s_cbranch_execz .LBB14_6215
; %bb.6172:
	v_mov_b32_e32 v5, 22
	v_cmp_gt_i16_sdwa vcc, v11, v5 src0_sel:BYTE_0 src1_sel:DWORD
	s_mov_b64 s[52:53], s[4:5]
	s_and_saveexec_b64 s[50:51], vcc
	s_xor_b64 s[50:51], exec, s[50:51]
	s_cbranch_execz .LBB14_6204
; %bb.6173:
	v_mov_b32_e32 v5, 23
	v_cmp_gt_i16_sdwa vcc, v11, v5 src0_sel:BYTE_0 src1_sel:DWORD
	s_and_saveexec_b64 s[52:53], vcc
	s_xor_b64 s[52:53], exec, s[52:53]
	s_cbranch_execz .LBB14_6193
; %bb.6174:
	v_mov_b32_e32 v5, 24
	v_cmp_gt_i16_sdwa vcc, v11, v5 src0_sel:BYTE_0 src1_sel:DWORD
	s_and_saveexec_b64 s[54:55], vcc
	s_xor_b64 s[54:55], exec, s[54:55]
	s_cbranch_execz .LBB14_6182
; %bb.6175:
	v_and_b32_e32 v5, 0x7fffffff, v4
	s_mov_b32 vcc_lo, 0x47800000
	v_cmp_gt_u32_e32 vcc, vcc_lo, v5
	v_mov_b32_e32 v64, 0x80
	s_and_saveexec_b64 s[56:57], vcc
	s_cbranch_execz .LBB14_6181
; %bb.6176:
	s_mov_b32 vcc_lo, 0x37ffffff
	v_cmp_lt_u32_e32 vcc, vcc_lo, v5
	s_mov_b64 s[58:59], 0
                                        ; implicit-def: $vgpr5
	s_and_saveexec_b64 s[60:61], vcc
	s_xor_b64 vcc, exec, s[60:61]
	s_cbranch_execnz .LBB14_7013
; %bb.6177:
	s_or_saveexec_b64 s[60:61], vcc
                                        ; implicit-def: $sgpr62
	s_xor_b64 exec, exec, s[60:61]
	s_cbranch_execnz .LBB14_7014
.LBB14_6178:
	s_or_b64 exec, exec, s[60:61]
	v_mov_b32_e32 v64, s62
	s_and_saveexec_b64 vcc, s[58:59]
.LBB14_6179:
	v_lshrrev_b32_e32 v4, 24, v4
	s_movk_i32 s58, 0x80
	v_and_or_b32 v64, v4, s58, v5
.LBB14_6180:
	s_or_b64 exec, exec, vcc
.LBB14_6181:
	s_or_b64 exec, exec, s[56:57]
	flat_store_byte v[2:3], v64
                                        ; implicit-def: $vgpr4
                                        ; implicit-def: $vgpr2_vgpr3
.LBB14_6182:
	s_andn2_saveexec_b64 s[54:55], s[54:55]
	s_cbranch_execz .LBB14_6192
; %bb.6183:
	v_and_b32_e32 v64, 0x7fffffff, v4
	s_mov_b32 vcc_lo, 0x43f00000
	v_cmp_gt_u32_e32 vcc, vcc_lo, v64
                                        ; implicit-def: $vgpr5
	s_and_saveexec_b64 s[56:57], vcc
	s_xor_b64 s[56:57], exec, s[56:57]
	s_cbranch_execz .LBB14_6189
; %bb.6184:
	s_mov_b32 vcc_lo, 0x3c7fffff
	v_cmp_lt_u32_e32 vcc, vcc_lo, v64
                                        ; implicit-def: $vgpr5
	s_and_saveexec_b64 s[58:59], vcc
	s_xor_b64 s[58:59], exec, s[58:59]
; %bb.6185:
	v_bfe_u32 v5, v4, 20, 1
	s_mov_b32 vcc_lo, 0x407ffff
	v_add3_u32 v5, v4, v5, vcc_lo
	v_lshrrev_b32_e32 v64, 20, v5
	v_and_b32_e32 v5, 0xff00000, v5
	s_mov_b32 vcc_lo, 0x7f00000
	v_mov_b32_e32 v65, 0x7e
	v_cmp_ne_u32_e32 vcc, vcc_lo, v5
	v_cndmask_b32_e32 v5, v65, v64, vcc
; %bb.6186:
	s_andn2_saveexec_b64 vcc, s[58:59]
; %bb.6187:
	s_mov_b32 s58, 0x46800000
	v_add_f32_e64 v5, |v4|, s58
; %bb.6188:
	s_or_b64 exec, exec, vcc
                                        ; implicit-def: $vgpr64
.LBB14_6189:
	s_andn2_saveexec_b64 s[56:57], s[56:57]
; %bb.6190:
	s_mov_b32 vcc_lo, 0x7f800000
	v_mov_b32_e32 v5, 0x7e
	v_mov_b32_e32 v65, 0x7f
	v_cmp_lt_u32_e32 vcc, vcc_lo, v64
	v_cndmask_b32_e32 v5, v5, v65, vcc
; %bb.6191:
	s_or_b64 exec, exec, s[56:57]
	v_lshrrev_b32_e32 v4, 24, v4
	s_movk_i32 vcc_lo, 0x80
	v_and_or_b32 v4, v4, vcc_lo, v5
	flat_store_byte v[2:3], v4
.LBB14_6192:
	s_or_b64 exec, exec, s[54:55]
                                        ; implicit-def: $vgpr4
                                        ; implicit-def: $vgpr2_vgpr3
.LBB14_6193:
	s_andn2_saveexec_b64 s[52:53], s[52:53]
	s_cbranch_execz .LBB14_6203
; %bb.6194:
	v_and_b32_e32 v64, 0x7fffffff, v4
	s_mov_b32 vcc_lo, 0x47800000
	v_cmp_gt_u32_e32 vcc, vcc_lo, v64
                                        ; implicit-def: $vgpr5
	s_and_saveexec_b64 s[54:55], vcc
	s_xor_b64 s[54:55], exec, s[54:55]
	s_cbranch_execz .LBB14_6200
; %bb.6195:
	s_mov_b32 vcc_lo, 0x387fffff
	v_cmp_lt_u32_e32 vcc, vcc_lo, v64
                                        ; implicit-def: $vgpr5
	s_and_saveexec_b64 s[56:57], vcc
	s_xor_b64 vcc, exec, s[56:57]
; %bb.6196:
	v_bfe_u32 v5, v4, 21, 1
	s_mov_b32 s56, 0x80fffff
	v_add3_u32 v5, v4, v5, s56
	v_lshrrev_b32_e32 v5, 21, v5
; %bb.6197:
	s_andn2_saveexec_b64 vcc, vcc
; %bb.6198:
	s_mov_b32 s56, 0x43000000
	v_add_f32_e64 v5, |v4|, s56
; %bb.6199:
	s_or_b64 exec, exec, vcc
                                        ; implicit-def: $vgpr64
.LBB14_6200:
	s_andn2_saveexec_b64 s[54:55], s[54:55]
; %bb.6201:
	s_mov_b32 vcc_lo, 0x7f800000
	v_mov_b32_e32 v5, 0x7c
	v_mov_b32_e32 v65, 0x7f
	v_cmp_lt_u32_e32 vcc, vcc_lo, v64
	v_cndmask_b32_e32 v5, v5, v65, vcc
; %bb.6202:
	s_or_b64 exec, exec, s[54:55]
	v_lshrrev_b32_e32 v4, 24, v4
	s_movk_i32 vcc_lo, 0x80
	v_and_or_b32 v4, v4, vcc_lo, v5
	flat_store_byte v[2:3], v4
.LBB14_6203:
	s_or_b64 exec, exec, s[52:53]
	s_or_b64 s[52:53], s[4:5], exec
                                        ; implicit-def: $vgpr4
                                        ; implicit-def: $vgpr2_vgpr3
.LBB14_6204:
	s_or_saveexec_b64 s[50:51], s[50:51]
	s_mov_b64 vcc, s[46:47]
	s_xor_b64 exec, exec, s[50:51]
	s_cbranch_execz .LBB14_6214
; %bb.6205:
	v_mov_b32_e32 v5, 14
	v_cmp_gt_i16_sdwa vcc, v11, v5 src0_sel:BYTE_0 src1_sel:DWORD
	s_mov_b64 s[54:55], s[52:53]
	s_mov_b64 s[56:57], s[46:47]
	s_and_saveexec_b64 s[58:59], vcc
	s_xor_b64 s[58:59], exec, s[58:59]
	s_cbranch_execz .LBB14_6209
; %bb.6206:
	v_mov_b32_e32 v5, 15
	v_cmp_eq_u16_sdwa s[60:61], v11, v5 src0_sel:BYTE_0 src1_sel:DWORD
	s_mov_b64 s[56:57], -1
	s_mov_b64 vcc, s[52:53]
	s_and_saveexec_b64 s[54:55], s[60:61]
	s_cbranch_execz .LBB14_6208
; %bb.6207:
	v_bfe_u32 v5, v4, 16, 1
	s_movk_i32 vcc_lo, 0x7fff
	v_add3_u32 v5, v4, v5, vcc_lo
	v_lshrrev_b32_e32 v5, 16, v5
	v_mov_b32_e32 v64, 0x7fc0
	v_cmp_o_f32_e32 vcc, v4, v4
	v_cndmask_b32_e32 v4, v64, v5, vcc
	flat_store_short v[2:3], v4
	s_xor_b64 s[56:57], exec, -1
	s_or_b64 vcc, s[52:53], exec
.LBB14_6208:
	s_or_b64 exec, exec, s[54:55]
	s_andn2_b64 s[54:55], s[46:47], exec
	s_and_b64 s[56:57], s[56:57], exec
	s_or_b64 s[56:57], s[54:55], s[56:57]
	s_andn2_b64 s[54:55], s[52:53], exec
	s_and_b64 vcc, vcc, exec
	s_or_b64 s[54:55], s[54:55], vcc
                                        ; implicit-def: $vgpr4
                                        ; implicit-def: $vgpr2_vgpr3
.LBB14_6209:
	s_andn2_saveexec_b64 s[58:59], s[58:59]
	s_cbranch_execz .LBB14_6213
; %bb.6210:
	v_mov_b32_e32 v5, 11
	v_cmp_eq_u16_sdwa s[64:65], v11, v5 src0_sel:BYTE_0 src1_sel:DWORD
	s_mov_b64 s[60:61], -1
	s_mov_b64 vcc, s[54:55]
	s_and_saveexec_b64 s[62:63], s[64:65]
	s_cbranch_execz .LBB14_6212
; %bb.6211:
	v_cmp_neq_f32_e32 vcc, 0, v4
	v_cndmask_b32_e64 v4, 0, 1, vcc
	flat_store_byte v[2:3], v4
	s_xor_b64 s[60:61], exec, -1
	s_or_b64 vcc, s[54:55], exec
.LBB14_6212:
	s_or_b64 exec, exec, s[62:63]
	s_andn2_b64 s[56:57], s[56:57], exec
	s_and_b64 s[60:61], s[60:61], exec
	s_andn2_b64 s[54:55], s[54:55], exec
	s_and_b64 vcc, vcc, exec
	s_or_b64 s[56:57], s[56:57], s[60:61]
	s_or_b64 s[54:55], s[54:55], vcc
.LBB14_6213:
	s_or_b64 exec, exec, s[58:59]
	s_andn2_b64 vcc, s[46:47], exec
	s_and_b64 s[56:57], s[56:57], exec
	s_andn2_b64 s[52:53], s[52:53], exec
	s_and_b64 s[54:55], s[54:55], exec
	s_or_b64 vcc, vcc, s[56:57]
	s_or_b64 s[52:53], s[52:53], s[54:55]
.LBB14_6214:
	s_or_b64 exec, exec, s[50:51]
	s_andn2_b64 s[46:47], s[46:47], exec
	s_and_b64 vcc, vcc, exec
	s_or_b64 s[46:47], s[46:47], vcc
	s_andn2_b64 s[4:5], s[4:5], exec
	s_and_b64 vcc, s[52:53], exec
	s_or_b64 s[4:5], s[4:5], vcc
.LBB14_6215:
	s_or_b64 exec, exec, s[48:49]
	s_andn2_b64 vcc, s[40:41], exec
	s_and_b64 s[46:47], s[46:47], exec
	s_or_b64 s[46:47], vcc, s[46:47]
	s_and_b64 s[4:5], s[4:5], exec
                                        ; implicit-def: $vgpr4
                                        ; implicit-def: $vgpr2_vgpr3
	s_andn2_saveexec_b64 s[44:45], s[44:45]
	s_cbranch_execz .LBB14_3866
.LBB14_6216:
	v_mov_b32_e32 v5, 4
	v_cmp_gt_i16_sdwa vcc, v11, v5 src0_sel:BYTE_0 src1_sel:DWORD
	s_and_saveexec_b64 s[48:49], vcc
	s_xor_b64 vcc, exec, s[48:49]
	s_cbranch_execz .LBB14_6238
; %bb.6217:
	v_mov_b32_e32 v5, 7
	v_cmp_gt_i16_sdwa s[48:49], v11, v5 src0_sel:BYTE_0 src1_sel:DWORD
	s_and_saveexec_b64 s[50:51], s[48:49]
	s_xor_b64 s[48:49], exec, s[50:51]
	s_cbranch_execz .LBB14_6227
; %bb.6218:
	v_mov_b32_e32 v5, 8
	v_cmp_gt_i16_sdwa s[50:51], v11, v5 src0_sel:BYTE_0 src1_sel:DWORD
	s_and_saveexec_b64 s[52:53], s[50:51]
	s_xor_b64 s[50:51], exec, s[52:53]
	;; [unrolled: 6-line block ×3, first 2 shown]
	s_cbranch_execz .LBB14_6221
; %bb.6220:
	v_mov_b32_e32 v66, 0
	v_cvt_f64_f32_e32 v[64:65], v4
	v_mov_b32_e32 v67, v66
	flat_store_dwordx4 v[2:3], v[64:67]
                                        ; implicit-def: $vgpr4
                                        ; implicit-def: $vgpr2_vgpr3
.LBB14_6221:
	s_andn2_saveexec_b64 s[52:53], s[52:53]
	s_cbranch_execz .LBB14_6223
; %bb.6222:
	v_mov_b32_e32 v5, 0
	flat_store_dwordx2 v[2:3], v[4:5]
.LBB14_6223:
	s_or_b64 exec, exec, s[52:53]
                                        ; implicit-def: $vgpr4
                                        ; implicit-def: $vgpr2_vgpr3
.LBB14_6224:
	s_andn2_saveexec_b64 s[50:51], s[50:51]
	s_cbranch_execz .LBB14_6226
; %bb.6225:
	v_cvt_f16_f32_e32 v4, v4
	flat_store_dword v[2:3], v4
.LBB14_6226:
	s_or_b64 exec, exec, s[50:51]
                                        ; implicit-def: $vgpr4
                                        ; implicit-def: $vgpr2_vgpr3
.LBB14_6227:
	s_andn2_saveexec_b64 s[48:49], s[48:49]
	s_cbranch_execz .LBB14_6237
; %bb.6228:
	v_mov_b32_e32 v5, 5
	v_cmp_gt_i16_sdwa s[50:51], v11, v5 src0_sel:BYTE_0 src1_sel:DWORD
	s_and_saveexec_b64 s[52:53], s[50:51]
	s_xor_b64 s[50:51], exec, s[52:53]
	s_cbranch_execz .LBB14_6234
; %bb.6229:
	v_mov_b32_e32 v5, 6
	v_cmp_gt_i16_sdwa s[52:53], v11, v5 src0_sel:BYTE_0 src1_sel:DWORD
	s_and_saveexec_b64 s[54:55], s[52:53]
	s_xor_b64 s[52:53], exec, s[54:55]
	s_cbranch_execz .LBB14_6231
; %bb.6230:
	v_cvt_f64_f32_e32 v[4:5], v4
	flat_store_dwordx2 v[2:3], v[4:5]
                                        ; implicit-def: $vgpr2_vgpr3
                                        ; implicit-def: $vgpr4
.LBB14_6231:
	s_andn2_saveexec_b64 s[52:53], s[52:53]
	s_cbranch_execz .LBB14_6233
; %bb.6232:
	flat_store_dword v[2:3], v4
.LBB14_6233:
	s_or_b64 exec, exec, s[52:53]
                                        ; implicit-def: $vgpr4
                                        ; implicit-def: $vgpr2_vgpr3
.LBB14_6234:
	s_andn2_saveexec_b64 s[50:51], s[50:51]
	s_cbranch_execz .LBB14_6236
; %bb.6235:
	v_cvt_f16_f32_e32 v4, v4
	flat_store_short v[2:3], v4
.LBB14_6236:
	s_or_b64 exec, exec, s[50:51]
.LBB14_6237:
	s_or_b64 exec, exec, s[48:49]
                                        ; implicit-def: $vgpr4
                                        ; implicit-def: $vgpr2_vgpr3
.LBB14_6238:
	s_andn2_saveexec_b64 s[48:49], vcc
	s_cbranch_execz .LBB14_6256
; %bb.6239:
	v_mov_b32_e32 v5, 1
	v_cmp_gt_i16_sdwa vcc, v11, v5 src0_sel:BYTE_0 src1_sel:DWORD
	s_and_saveexec_b64 s[50:51], vcc
	s_xor_b64 s[50:51], exec, s[50:51]
	s_cbranch_execz .LBB14_6249
; %bb.6240:
	v_mov_b32_e32 v5, 2
	v_cmp_gt_i16_sdwa vcc, v11, v5 src0_sel:BYTE_0 src1_sel:DWORD
	s_and_saveexec_b64 s[52:53], vcc
	s_xor_b64 s[52:53], exec, s[52:53]
	;; [unrolled: 6-line block ×3, first 2 shown]
	s_cbranch_execz .LBB14_6243
; %bb.6242:
	v_trunc_f32_e32 v4, v4
	s_mov_b32 s56, 0x2f800000
	v_mul_f32_e64 v5, |v4|, s56
	v_floor_f32_e32 v5, v5
	s_mov_b32 s56, 0xcf800000
	v_cvt_u32_f32_e32 v64, v5
	v_fma_f32 v5, v5, s56, |v4|
	v_cvt_u32_f32_e32 v5, v5
	v_ashrrev_i32_e32 v65, 31, v4
	v_xor_b32_e32 v64, v64, v65
	v_xor_b32_e32 v4, v5, v65
	v_sub_co_u32_e32 v4, vcc, v4, v65
	v_subb_co_u32_e32 v5, vcc, v64, v65, vcc
	flat_store_dwordx2 v[2:3], v[4:5]
                                        ; implicit-def: $vgpr4
                                        ; implicit-def: $vgpr2_vgpr3
.LBB14_6243:
	s_andn2_saveexec_b64 vcc, s[54:55]
	s_cbranch_execz .LBB14_6245
; %bb.6244:
	v_cvt_i32_f32_e32 v4, v4
	flat_store_dword v[2:3], v4
.LBB14_6245:
	s_or_b64 exec, exec, vcc
                                        ; implicit-def: $vgpr4
                                        ; implicit-def: $vgpr2_vgpr3
.LBB14_6246:
	s_andn2_saveexec_b64 vcc, s[52:53]
	s_cbranch_execz .LBB14_6248
; %bb.6247:
	v_cvt_i32_f32_e32 v4, v4
	flat_store_short v[2:3], v4
.LBB14_6248:
	s_or_b64 exec, exec, vcc
                                        ; implicit-def: $vgpr4
                                        ; implicit-def: $vgpr2_vgpr3
.LBB14_6249:
	s_andn2_saveexec_b64 vcc, s[50:51]
	s_cbranch_execz .LBB14_6255
; %bb.6250:
	v_mov_b32_e32 v5, 0
	v_cmp_gt_i16_sdwa s[50:51], v11, v5 src0_sel:BYTE_0 src1_sel:DWORD
	s_and_saveexec_b64 s[52:53], s[50:51]
	s_xor_b64 s[50:51], exec, s[52:53]
	s_cbranch_execz .LBB14_6252
; %bb.6251:
	v_cvt_i32_f32_e32 v4, v4
	flat_store_byte v[2:3], v4
                                        ; implicit-def: $vgpr4
                                        ; implicit-def: $vgpr2_vgpr3
.LBB14_6252:
	s_andn2_saveexec_b64 s[50:51], s[50:51]
	s_cbranch_execz .LBB14_6254
; %bb.6253:
	v_trunc_f32_e32 v4, v4
	s_mov_b32 s52, 0x2f800000
	v_mul_f32_e64 v5, |v4|, s52
	v_floor_f32_e32 v5, v5
	s_mov_b32 s52, 0xcf800000
	v_fma_f32 v5, v5, s52, |v4|
	v_cvt_u32_f32_e32 v5, v5
	v_ashrrev_i32_e32 v4, 31, v4
	v_xor_b32_e32 v5, v5, v4
	v_sub_u32_e32 v4, v5, v4
	flat_store_byte v[2:3], v4
.LBB14_6254:
	s_or_b64 exec, exec, s[50:51]
.LBB14_6255:
	s_or_b64 exec, exec, vcc
.LBB14_6256:
	s_or_b64 exec, exec, s[48:49]
	s_or_b64 s[4:5], s[4:5], exec
	s_or_b64 exec, exec, s[44:45]
	s_mov_b64 vcc, 0
	s_and_saveexec_b64 s[44:45], s[4:5]
	s_cbranch_execnz .LBB14_3867
	s_branch .LBB14_3868
.LBB14_6257:
	v_bfe_u32 v5, v4, 21, 1
	s_mov_b32 s54, 0x88fffff
	v_add3_u32 v5, v4, v5, s54
	s_mov_b64 s[52:53], exec
	v_lshrrev_b32_e32 v5, 21, v5
	s_or_saveexec_b64 s[54:55], vcc
                                        ; implicit-def: $sgpr56
	s_xor_b64 exec, exec, s[54:55]
	s_cbranch_execz .LBB14_5424
.LBB14_6258:
	s_mov_b32 s56, 0x42800000
	v_add_f32_e64 v5, |v4|, s56
	v_and_b32_e32 v5, 0xff, v5
	v_cmp_ne_u32_e32 vcc, 0, v5
	s_andn2_b64 s[52:53], s[52:53], exec
	s_and_b64 vcc, vcc, exec
	s_mov_b32 s56, 0
	s_or_b64 s[52:53], s[52:53], vcc
	s_or_b64 exec, exec, s[54:55]
	v_mov_b32_e32 v84, s56
	s_and_saveexec_b64 vcc, s[52:53]
	s_cbranch_execnz .LBB14_5425
	s_branch .LBB14_5426
.LBB14_6259:
	v_bfe_u32 v5, v4, 20, 1
	s_mov_b32 s56, 0x487ffff
	v_add3_u32 v5, v4, v5, s56
	s_mov_b64 s[54:55], exec
	v_lshrrev_b32_e32 v5, 20, v5
	s_or_saveexec_b64 s[56:57], vcc
                                        ; implicit-def: $sgpr58
	s_xor_b64 exec, exec, s[56:57]
	s_cbranch_execz .LBB14_5535
.LBB14_6260:
	s_mov_b32 s58, 0x46000000
	v_add_f32_e64 v5, |v4|, s58
	v_and_b32_e32 v5, 0xff, v5
	v_cmp_ne_u32_e32 vcc, 0, v5
	s_andn2_b64 s[54:55], s[54:55], exec
	s_and_b64 vcc, vcc, exec
	s_mov_b32 s58, 0
	s_or_b64 s[54:55], s[54:55], vcc
	s_or_b64 exec, exec, s[56:57]
	v_mov_b32_e32 v82, s58
	s_and_saveexec_b64 vcc, s[54:55]
	s_cbranch_execnz .LBB14_5536
	s_branch .LBB14_5537
.LBB14_6261:
	v_mov_b32_e32 v5, 25
	v_cmp_gt_i16_sdwa vcc, v11, v5 src0_sel:BYTE_0 src1_sel:DWORD
	s_mov_b64 s[50:51], s[44:45]
	s_and_saveexec_b64 s[52:53], vcc
	s_xor_b64 s[52:53], exec, s[52:53]
	s_cbranch_execz .LBB14_6297
; %bb.6262:
	v_mov_b32_e32 v5, 28
	v_cmp_gt_i16_sdwa vcc, v11, v5 src0_sel:BYTE_0 src1_sel:DWORD
	s_mov_b64 s[54:55], s[44:45]
	s_and_saveexec_b64 s[50:51], vcc
	s_xor_b64 s[50:51], exec, s[50:51]
	s_cbranch_execz .LBB14_6280
; %bb.6263:
	v_mov_b32_e32 v5, 43
	v_cmp_gt_i16_sdwa s[54:55], v11, v5 src0_sel:BYTE_0 src1_sel:DWORD
	s_mov_b64 vcc, s[44:45]
	s_and_saveexec_b64 s[56:57], s[54:55]
	s_xor_b64 s[54:55], exec, s[56:57]
	s_cbranch_execz .LBB14_6275
; %bb.6264:
	v_mov_b32_e32 v5, 45
	v_cmp_gt_i16_sdwa s[4:5], v11, v5 src0_sel:BYTE_0 src1_sel:DWORD
	s_mov_b64 s[56:57], 0
	s_mov_b64 s[58:59], s[44:45]
	s_and_saveexec_b64 vcc, s[4:5]
	s_xor_b64 s[4:5], exec, vcc
	s_cbranch_execz .LBB14_6268
; %bb.6265:
	v_mov_b32_e32 v5, 46
	v_cmp_eq_u16_sdwa s[60:61], v11, v5 src0_sel:BYTE_0 src1_sel:DWORD
	s_mov_b64 vcc, -1
	s_and_saveexec_b64 s[58:59], s[60:61]
	s_cbranch_execz .LBB14_6267
; %bb.6266:
	v_bfe_u32 v5, v4, 16, 1
	s_movk_i32 vcc_lo, 0x7fff
	v_add3_u32 v5, v4, v5, vcc_lo
	v_lshrrev_b32_e32 v5, 16, v5
	v_mov_b32_e32 v54, 0x7fc0
	v_cmp_o_f32_e32 vcc, v4, v4
	v_cndmask_b32_e32 v4, v54, v5, vcc
	s_mov_b64 s[56:57], exec
	flat_store_dword v[2:3], v4
	s_xor_b64 vcc, exec, -1
.LBB14_6267:
	s_or_b64 exec, exec, s[58:59]
	s_andn2_b64 s[58:59], s[44:45], exec
	s_and_b64 vcc, vcc, exec
	s_or_b64 s[58:59], s[58:59], vcc
	s_and_b64 s[56:57], s[56:57], exec
                                        ; implicit-def: $vgpr2_vgpr3
                                        ; implicit-def: $vgpr4
.LBB14_6268:
	s_andn2_saveexec_b64 s[60:61], s[4:5]
	s_cbranch_execz .LBB14_6274
; %bb.6269:
	v_mov_b32_e32 v5, 44
	v_cmp_eq_u16_sdwa s[64:65], v11, v5 src0_sel:BYTE_0 src1_sel:DWORD
	s_mov_b64 vcc, -1
	s_mov_b64 s[4:5], s[56:57]
	s_and_saveexec_b64 s[62:63], s[64:65]
	s_cbranch_execz .LBB14_6273
; %bb.6270:
	v_bfe_u32 v5, v4, 23, 8
	s_movk_i32 s4, 0xff
	v_cmp_ne_u32_e32 vcc, s4, v5
	v_mov_b32_e32 v54, 0xff
	s_and_saveexec_b64 s[64:65], vcc
; %bb.6271:
	s_mov_b32 s4, 0x3fffff
	v_lshrrev_b32_e32 v54, 23, v4
	v_and_b32_e32 v55, 0x400000, v4
	v_and_or_b32 v4, v4, s4, v5
	v_cmp_ne_u32_e32 vcc, 0, v55
	v_cmp_ne_u32_e64 s[4:5], 0, v4
	s_and_b64 s[4:5], vcc, s[4:5]
	v_cndmask_b32_e64 v4, 0, 1, s[4:5]
	v_add_u32_e32 v54, v54, v4
; %bb.6272:
	s_or_b64 exec, exec, s[64:65]
	s_xor_b64 vcc, exec, -1
	s_or_b64 s[4:5], s[56:57], exec
	flat_store_byte v[2:3], v54
.LBB14_6273:
	s_or_b64 exec, exec, s[62:63]
	s_andn2_b64 s[58:59], s[58:59], exec
	s_and_b64 vcc, vcc, exec
	s_or_b64 s[58:59], s[58:59], vcc
	s_andn2_b64 vcc, s[56:57], exec
	s_and_b64 s[4:5], s[4:5], exec
	s_or_b64 s[56:57], vcc, s[4:5]
.LBB14_6274:
	s_or_b64 exec, exec, s[60:61]
	s_andn2_b64 s[4:5], s[44:45], exec
	s_and_b64 vcc, s[58:59], exec
	s_or_b64 vcc, s[4:5], vcc
	s_and_b64 s[4:5], s[56:57], exec
                                        ; implicit-def: $vgpr4
                                        ; implicit-def: $vgpr2_vgpr3
.LBB14_6275:
	s_andn2_saveexec_b64 s[54:55], s[54:55]
	s_cbranch_execz .LBB14_6279
; %bb.6276:
	v_mov_b32_e32 v5, 29
	v_cmp_eq_u16_sdwa s[62:63], v11, v5 src0_sel:BYTE_0 src1_sel:DWORD
	s_mov_b64 s[60:61], -1
	s_mov_b64 s[58:59], s[4:5]
	s_and_saveexec_b64 s[56:57], s[62:63]
	s_cbranch_execz .LBB14_6278
; %bb.6277:
	v_trunc_f32_e32 v4, v4
	v_mul_f32_e32 v5, 0x2f800000, v4
	v_floor_f32_e32 v54, v5
	v_fmac_f32_e32 v4, 0xcf800000, v54
	v_cvt_u32_f32_e32 v5, v54
	v_cvt_u32_f32_e32 v4, v4
	s_xor_b64 s[60:61], exec, -1
	s_or_b64 s[58:59], s[4:5], exec
	flat_store_dwordx2 v[2:3], v[4:5]
.LBB14_6278:
	s_or_b64 exec, exec, s[56:57]
	s_andn2_b64 vcc, vcc, exec
	s_and_b64 s[56:57], s[60:61], exec
	s_or_b64 vcc, vcc, s[56:57]
	s_andn2_b64 s[4:5], s[4:5], exec
	s_and_b64 s[56:57], s[58:59], exec
	s_or_b64 s[4:5], s[4:5], s[56:57]
.LBB14_6279:
	s_or_b64 exec, exec, s[54:55]
	s_andn2_b64 s[54:55], s[44:45], exec
	s_and_b64 vcc, vcc, exec
	s_or_b64 s[54:55], s[54:55], vcc
	s_and_b64 s[4:5], s[4:5], exec
                                        ; implicit-def: $vgpr2_vgpr3
                                        ; implicit-def: $vgpr4
.LBB14_6280:
	s_andn2_saveexec_b64 s[50:51], s[50:51]
	s_cbranch_execz .LBB14_6296
; %bb.6281:
	v_mov_b32_e32 v5, 26
	v_cmp_gt_i16_sdwa vcc, v11, v5 src0_sel:BYTE_0 src1_sel:DWORD
	s_and_saveexec_b64 s[56:57], vcc
	s_xor_b64 vcc, exec, s[56:57]
	s_cbranch_execz .LBB14_6287
; %bb.6282:
	v_cvt_u32_f32_e32 v4, v4
	v_mov_b32_e32 v5, 27
	v_cmp_gt_i16_sdwa s[56:57], v11, v5 src0_sel:BYTE_0 src1_sel:DWORD
	s_and_saveexec_b64 s[58:59], s[56:57]
	s_xor_b64 s[56:57], exec, s[58:59]
	s_cbranch_execz .LBB14_6284
; %bb.6283:
	flat_store_dword v[2:3], v4
                                        ; implicit-def: $vgpr2_vgpr3
                                        ; implicit-def: $vgpr4
.LBB14_6284:
	s_andn2_saveexec_b64 s[56:57], s[56:57]
	s_cbranch_execz .LBB14_6286
; %bb.6285:
	flat_store_short v[2:3], v4
.LBB14_6286:
	s_or_b64 exec, exec, s[56:57]
                                        ; implicit-def: $vgpr2_vgpr3
                                        ; implicit-def: $vgpr4
.LBB14_6287:
	s_andn2_saveexec_b64 s[56:57], vcc
	s_cbranch_execz .LBB14_6295
; %bb.6288:
	v_and_b32_e32 v5, 0x7fffffff, v4
	s_mov_b32 vcc_lo, 0x43800000
	v_cmp_gt_u32_e32 vcc, vcc_lo, v5
	v_mov_b32_e32 v54, 0x80
	s_and_saveexec_b64 s[58:59], vcc
	s_cbranch_execz .LBB14_6294
; %bb.6289:
	s_mov_b32 vcc_lo, 0x3bffffff
	v_cmp_lt_u32_e32 vcc, vcc_lo, v5
	s_mov_b64 s[60:61], 0
                                        ; implicit-def: $vgpr5
	s_and_saveexec_b64 s[62:63], vcc
	s_xor_b64 vcc, exec, s[62:63]
	s_cbranch_execnz .LBB14_7015
; %bb.6290:
	s_or_saveexec_b64 s[62:63], vcc
                                        ; implicit-def: $sgpr64
	s_xor_b64 exec, exec, s[62:63]
	s_cbranch_execnz .LBB14_7016
.LBB14_6291:
	s_or_b64 exec, exec, s[62:63]
	v_mov_b32_e32 v54, s64
	s_and_saveexec_b64 vcc, s[60:61]
.LBB14_6292:
	v_lshrrev_b32_e32 v4, 24, v4
	s_movk_i32 s60, 0x80
	v_and_or_b32 v54, v4, s60, v5
.LBB14_6293:
	s_or_b64 exec, exec, vcc
.LBB14_6294:
	s_or_b64 exec, exec, s[58:59]
	flat_store_byte v[2:3], v54
.LBB14_6295:
	s_or_b64 exec, exec, s[56:57]
	s_or_b64 s[4:5], s[4:5], exec
.LBB14_6296:
	s_or_b64 exec, exec, s[50:51]
	s_andn2_b64 vcc, s[44:45], exec
	s_and_b64 s[50:51], s[54:55], exec
	s_or_b64 s[50:51], vcc, s[50:51]
	s_and_b64 s[4:5], s[4:5], exec
                                        ; implicit-def: $vgpr4
                                        ; implicit-def: $vgpr2_vgpr3
.LBB14_6297:
	s_andn2_saveexec_b64 s[52:53], s[52:53]
	s_cbranch_execz .LBB14_6341
; %bb.6298:
	v_mov_b32_e32 v5, 22
	v_cmp_gt_i16_sdwa vcc, v11, v5 src0_sel:BYTE_0 src1_sel:DWORD
	s_mov_b64 s[56:57], s[4:5]
	s_and_saveexec_b64 s[54:55], vcc
	s_xor_b64 s[54:55], exec, s[54:55]
	s_cbranch_execz .LBB14_6330
; %bb.6299:
	v_mov_b32_e32 v5, 23
	v_cmp_gt_i16_sdwa vcc, v11, v5 src0_sel:BYTE_0 src1_sel:DWORD
	s_and_saveexec_b64 s[56:57], vcc
	s_xor_b64 s[56:57], exec, s[56:57]
	s_cbranch_execz .LBB14_6319
; %bb.6300:
	v_mov_b32_e32 v5, 24
	v_cmp_gt_i16_sdwa vcc, v11, v5 src0_sel:BYTE_0 src1_sel:DWORD
	s_and_saveexec_b64 s[58:59], vcc
	s_xor_b64 s[58:59], exec, s[58:59]
	s_cbranch_execz .LBB14_6308
; %bb.6301:
	v_and_b32_e32 v5, 0x7fffffff, v4
	s_mov_b32 vcc_lo, 0x47800000
	v_cmp_gt_u32_e32 vcc, vcc_lo, v5
	v_mov_b32_e32 v54, 0x80
	s_and_saveexec_b64 s[60:61], vcc
	s_cbranch_execz .LBB14_6307
; %bb.6302:
	s_mov_b32 vcc_lo, 0x37ffffff
	v_cmp_lt_u32_e32 vcc, vcc_lo, v5
	s_mov_b64 s[62:63], 0
                                        ; implicit-def: $vgpr5
	s_and_saveexec_b64 s[64:65], vcc
	s_xor_b64 vcc, exec, s[64:65]
	s_cbranch_execnz .LBB14_7139
; %bb.6303:
	s_or_saveexec_b64 s[64:65], vcc
                                        ; implicit-def: $sgpr66
	s_xor_b64 exec, exec, s[64:65]
	s_cbranch_execnz .LBB14_7140
.LBB14_6304:
	s_or_b64 exec, exec, s[64:65]
	v_mov_b32_e32 v54, s66
	s_and_saveexec_b64 vcc, s[62:63]
.LBB14_6305:
	v_lshrrev_b32_e32 v4, 24, v4
	s_movk_i32 s62, 0x80
	v_and_or_b32 v54, v4, s62, v5
.LBB14_6306:
	s_or_b64 exec, exec, vcc
.LBB14_6307:
	s_or_b64 exec, exec, s[60:61]
	flat_store_byte v[2:3], v54
                                        ; implicit-def: $vgpr4
                                        ; implicit-def: $vgpr2_vgpr3
.LBB14_6308:
	s_andn2_saveexec_b64 s[58:59], s[58:59]
	s_cbranch_execz .LBB14_6318
; %bb.6309:
	v_and_b32_e32 v54, 0x7fffffff, v4
	s_mov_b32 vcc_lo, 0x43f00000
	v_cmp_gt_u32_e32 vcc, vcc_lo, v54
                                        ; implicit-def: $vgpr5
	s_and_saveexec_b64 s[60:61], vcc
	s_xor_b64 s[60:61], exec, s[60:61]
	s_cbranch_execz .LBB14_6315
; %bb.6310:
	s_mov_b32 vcc_lo, 0x3c7fffff
	v_cmp_lt_u32_e32 vcc, vcc_lo, v54
                                        ; implicit-def: $vgpr5
	s_and_saveexec_b64 s[62:63], vcc
	s_xor_b64 s[62:63], exec, s[62:63]
; %bb.6311:
	v_bfe_u32 v5, v4, 20, 1
	s_mov_b32 vcc_lo, 0x407ffff
	v_add3_u32 v5, v4, v5, vcc_lo
	v_lshrrev_b32_e32 v54, 20, v5
	v_and_b32_e32 v5, 0xff00000, v5
	s_mov_b32 vcc_lo, 0x7f00000
	v_mov_b32_e32 v55, 0x7e
	v_cmp_ne_u32_e32 vcc, vcc_lo, v5
	v_cndmask_b32_e32 v5, v55, v54, vcc
; %bb.6312:
	s_andn2_saveexec_b64 vcc, s[62:63]
; %bb.6313:
	s_mov_b32 s62, 0x46800000
	v_add_f32_e64 v5, |v4|, s62
; %bb.6314:
	s_or_b64 exec, exec, vcc
                                        ; implicit-def: $vgpr54
.LBB14_6315:
	s_andn2_saveexec_b64 s[60:61], s[60:61]
; %bb.6316:
	s_mov_b32 vcc_lo, 0x7f800000
	v_mov_b32_e32 v5, 0x7e
	v_mov_b32_e32 v55, 0x7f
	v_cmp_lt_u32_e32 vcc, vcc_lo, v54
	v_cndmask_b32_e32 v5, v5, v55, vcc
; %bb.6317:
	s_or_b64 exec, exec, s[60:61]
	v_lshrrev_b32_e32 v4, 24, v4
	s_movk_i32 vcc_lo, 0x80
	v_and_or_b32 v4, v4, vcc_lo, v5
	flat_store_byte v[2:3], v4
.LBB14_6318:
	s_or_b64 exec, exec, s[58:59]
                                        ; implicit-def: $vgpr4
                                        ; implicit-def: $vgpr2_vgpr3
.LBB14_6319:
	s_andn2_saveexec_b64 s[56:57], s[56:57]
	s_cbranch_execz .LBB14_6329
; %bb.6320:
	v_and_b32_e32 v54, 0x7fffffff, v4
	s_mov_b32 vcc_lo, 0x47800000
	v_cmp_gt_u32_e32 vcc, vcc_lo, v54
                                        ; implicit-def: $vgpr5
	s_and_saveexec_b64 s[58:59], vcc
	s_xor_b64 s[58:59], exec, s[58:59]
	s_cbranch_execz .LBB14_6326
; %bb.6321:
	s_mov_b32 vcc_lo, 0x387fffff
	v_cmp_lt_u32_e32 vcc, vcc_lo, v54
                                        ; implicit-def: $vgpr5
	s_and_saveexec_b64 s[60:61], vcc
	s_xor_b64 vcc, exec, s[60:61]
; %bb.6322:
	v_bfe_u32 v5, v4, 21, 1
	s_mov_b32 s60, 0x80fffff
	v_add3_u32 v5, v4, v5, s60
	v_lshrrev_b32_e32 v5, 21, v5
; %bb.6323:
	s_andn2_saveexec_b64 vcc, vcc
; %bb.6324:
	s_mov_b32 s60, 0x43000000
	v_add_f32_e64 v5, |v4|, s60
; %bb.6325:
	s_or_b64 exec, exec, vcc
                                        ; implicit-def: $vgpr54
.LBB14_6326:
	s_andn2_saveexec_b64 s[58:59], s[58:59]
; %bb.6327:
	s_mov_b32 vcc_lo, 0x7f800000
	v_mov_b32_e32 v5, 0x7c
	v_mov_b32_e32 v55, 0x7f
	v_cmp_lt_u32_e32 vcc, vcc_lo, v54
	v_cndmask_b32_e32 v5, v5, v55, vcc
; %bb.6328:
	s_or_b64 exec, exec, s[58:59]
	v_lshrrev_b32_e32 v4, 24, v4
	s_movk_i32 vcc_lo, 0x80
	v_and_or_b32 v4, v4, vcc_lo, v5
	flat_store_byte v[2:3], v4
.LBB14_6329:
	s_or_b64 exec, exec, s[56:57]
	s_or_b64 s[56:57], s[4:5], exec
                                        ; implicit-def: $vgpr4
                                        ; implicit-def: $vgpr2_vgpr3
.LBB14_6330:
	s_or_saveexec_b64 s[54:55], s[54:55]
	s_mov_b64 vcc, s[50:51]
	s_xor_b64 exec, exec, s[54:55]
	s_cbranch_execz .LBB14_6340
; %bb.6331:
	v_mov_b32_e32 v5, 14
	v_cmp_gt_i16_sdwa vcc, v11, v5 src0_sel:BYTE_0 src1_sel:DWORD
	s_mov_b64 s[58:59], s[56:57]
	s_mov_b64 s[60:61], s[50:51]
	s_and_saveexec_b64 s[62:63], vcc
	s_xor_b64 s[62:63], exec, s[62:63]
	s_cbranch_execz .LBB14_6335
; %bb.6332:
	v_mov_b32_e32 v5, 15
	v_cmp_eq_u16_sdwa s[64:65], v11, v5 src0_sel:BYTE_0 src1_sel:DWORD
	s_mov_b64 s[60:61], -1
	s_mov_b64 vcc, s[56:57]
	s_and_saveexec_b64 s[58:59], s[64:65]
	s_cbranch_execz .LBB14_6334
; %bb.6333:
	v_bfe_u32 v5, v4, 16, 1
	s_movk_i32 vcc_lo, 0x7fff
	v_add3_u32 v5, v4, v5, vcc_lo
	v_lshrrev_b32_e32 v5, 16, v5
	v_mov_b32_e32 v54, 0x7fc0
	v_cmp_o_f32_e32 vcc, v4, v4
	v_cndmask_b32_e32 v4, v54, v5, vcc
	flat_store_short v[2:3], v4
	s_xor_b64 s[60:61], exec, -1
	s_or_b64 vcc, s[56:57], exec
.LBB14_6334:
	s_or_b64 exec, exec, s[58:59]
	s_andn2_b64 s[58:59], s[50:51], exec
	s_and_b64 s[60:61], s[60:61], exec
	s_or_b64 s[60:61], s[58:59], s[60:61]
	s_andn2_b64 s[58:59], s[56:57], exec
	s_and_b64 vcc, vcc, exec
	s_or_b64 s[58:59], s[58:59], vcc
                                        ; implicit-def: $vgpr4
                                        ; implicit-def: $vgpr2_vgpr3
.LBB14_6335:
	s_andn2_saveexec_b64 s[62:63], s[62:63]
	s_cbranch_execz .LBB14_6339
; %bb.6336:
	v_mov_b32_e32 v5, 11
	v_cmp_eq_u16_sdwa s[68:69], v11, v5 src0_sel:BYTE_0 src1_sel:DWORD
	s_mov_b64 s[64:65], -1
	s_mov_b64 vcc, s[58:59]
	s_and_saveexec_b64 s[66:67], s[68:69]
	s_cbranch_execz .LBB14_6338
; %bb.6337:
	v_cmp_neq_f32_e32 vcc, 0, v4
	v_cndmask_b32_e64 v4, 0, 1, vcc
	flat_store_byte v[2:3], v4
	s_xor_b64 s[64:65], exec, -1
	s_or_b64 vcc, s[58:59], exec
.LBB14_6338:
	s_or_b64 exec, exec, s[66:67]
	s_andn2_b64 s[60:61], s[60:61], exec
	s_and_b64 s[64:65], s[64:65], exec
	s_andn2_b64 s[58:59], s[58:59], exec
	s_and_b64 vcc, vcc, exec
	s_or_b64 s[60:61], s[60:61], s[64:65]
	s_or_b64 s[58:59], s[58:59], vcc
.LBB14_6339:
	s_or_b64 exec, exec, s[62:63]
	s_andn2_b64 vcc, s[50:51], exec
	s_and_b64 s[60:61], s[60:61], exec
	s_andn2_b64 s[56:57], s[56:57], exec
	s_and_b64 s[58:59], s[58:59], exec
	s_or_b64 vcc, vcc, s[60:61]
	s_or_b64 s[56:57], s[56:57], s[58:59]
.LBB14_6340:
	s_or_b64 exec, exec, s[54:55]
	s_andn2_b64 s[50:51], s[50:51], exec
	s_and_b64 vcc, vcc, exec
	s_or_b64 s[50:51], s[50:51], vcc
	s_andn2_b64 s[4:5], s[4:5], exec
	s_and_b64 vcc, s[56:57], exec
	s_or_b64 s[4:5], s[4:5], vcc
.LBB14_6341:
	s_or_b64 exec, exec, s[52:53]
	s_andn2_b64 vcc, s[44:45], exec
	s_and_b64 s[50:51], s[50:51], exec
	s_or_b64 s[50:51], vcc, s[50:51]
	s_and_b64 s[4:5], s[4:5], exec
                                        ; implicit-def: $vgpr4
                                        ; implicit-def: $vgpr2_vgpr3
	s_andn2_saveexec_b64 s[46:47], s[46:47]
	s_cbranch_execz .LBB14_3873
.LBB14_6342:
	v_mov_b32_e32 v5, 4
	v_cmp_gt_i16_sdwa vcc, v11, v5 src0_sel:BYTE_0 src1_sel:DWORD
	s_and_saveexec_b64 s[52:53], vcc
	s_xor_b64 vcc, exec, s[52:53]
	s_cbranch_execz .LBB14_6364
; %bb.6343:
	v_mov_b32_e32 v5, 7
	v_cmp_gt_i16_sdwa s[52:53], v11, v5 src0_sel:BYTE_0 src1_sel:DWORD
	s_and_saveexec_b64 s[54:55], s[52:53]
	s_xor_b64 s[52:53], exec, s[54:55]
	s_cbranch_execz .LBB14_6353
; %bb.6344:
	v_mov_b32_e32 v5, 8
	v_cmp_gt_i16_sdwa s[54:55], v11, v5 src0_sel:BYTE_0 src1_sel:DWORD
	s_and_saveexec_b64 s[56:57], s[54:55]
	s_xor_b64 s[54:55], exec, s[56:57]
	;; [unrolled: 6-line block ×3, first 2 shown]
	s_cbranch_execz .LBB14_6347
; %bb.6346:
	v_mov_b32_e32 v66, 0
	v_cvt_f64_f32_e32 v[64:65], v4
	v_mov_b32_e32 v67, v66
	flat_store_dwordx4 v[2:3], v[64:67]
                                        ; implicit-def: $vgpr4
                                        ; implicit-def: $vgpr2_vgpr3
.LBB14_6347:
	s_andn2_saveexec_b64 s[56:57], s[56:57]
	s_cbranch_execz .LBB14_6349
; %bb.6348:
	v_mov_b32_e32 v5, 0
	flat_store_dwordx2 v[2:3], v[4:5]
.LBB14_6349:
	s_or_b64 exec, exec, s[56:57]
                                        ; implicit-def: $vgpr4
                                        ; implicit-def: $vgpr2_vgpr3
.LBB14_6350:
	s_andn2_saveexec_b64 s[54:55], s[54:55]
	s_cbranch_execz .LBB14_6352
; %bb.6351:
	v_cvt_f16_f32_e32 v4, v4
	flat_store_dword v[2:3], v4
.LBB14_6352:
	s_or_b64 exec, exec, s[54:55]
                                        ; implicit-def: $vgpr4
                                        ; implicit-def: $vgpr2_vgpr3
.LBB14_6353:
	s_andn2_saveexec_b64 s[52:53], s[52:53]
	s_cbranch_execz .LBB14_6363
; %bb.6354:
	v_mov_b32_e32 v5, 5
	v_cmp_gt_i16_sdwa s[54:55], v11, v5 src0_sel:BYTE_0 src1_sel:DWORD
	s_and_saveexec_b64 s[56:57], s[54:55]
	s_xor_b64 s[54:55], exec, s[56:57]
	s_cbranch_execz .LBB14_6360
; %bb.6355:
	v_mov_b32_e32 v5, 6
	v_cmp_gt_i16_sdwa s[56:57], v11, v5 src0_sel:BYTE_0 src1_sel:DWORD
	s_and_saveexec_b64 s[58:59], s[56:57]
	s_xor_b64 s[56:57], exec, s[58:59]
	s_cbranch_execz .LBB14_6357
; %bb.6356:
	v_cvt_f64_f32_e32 v[4:5], v4
	flat_store_dwordx2 v[2:3], v[4:5]
                                        ; implicit-def: $vgpr2_vgpr3
                                        ; implicit-def: $vgpr4
.LBB14_6357:
	s_andn2_saveexec_b64 s[56:57], s[56:57]
	s_cbranch_execz .LBB14_6359
; %bb.6358:
	flat_store_dword v[2:3], v4
.LBB14_6359:
	s_or_b64 exec, exec, s[56:57]
                                        ; implicit-def: $vgpr4
                                        ; implicit-def: $vgpr2_vgpr3
.LBB14_6360:
	s_andn2_saveexec_b64 s[54:55], s[54:55]
	s_cbranch_execz .LBB14_6362
; %bb.6361:
	v_cvt_f16_f32_e32 v4, v4
	flat_store_short v[2:3], v4
.LBB14_6362:
	s_or_b64 exec, exec, s[54:55]
.LBB14_6363:
	s_or_b64 exec, exec, s[52:53]
                                        ; implicit-def: $vgpr4
                                        ; implicit-def: $vgpr2_vgpr3
.LBB14_6364:
	s_andn2_saveexec_b64 s[52:53], vcc
	s_cbranch_execz .LBB14_6382
; %bb.6365:
	v_mov_b32_e32 v5, 1
	v_cmp_gt_i16_sdwa vcc, v11, v5 src0_sel:BYTE_0 src1_sel:DWORD
	s_and_saveexec_b64 s[54:55], vcc
	s_xor_b64 s[54:55], exec, s[54:55]
	s_cbranch_execz .LBB14_6375
; %bb.6366:
	v_mov_b32_e32 v5, 2
	v_cmp_gt_i16_sdwa vcc, v11, v5 src0_sel:BYTE_0 src1_sel:DWORD
	s_and_saveexec_b64 s[56:57], vcc
	s_xor_b64 s[56:57], exec, s[56:57]
	;; [unrolled: 6-line block ×3, first 2 shown]
	s_cbranch_execz .LBB14_6369
; %bb.6368:
	v_trunc_f32_e32 v4, v4
	s_mov_b32 s60, 0x2f800000
	v_mul_f32_e64 v5, |v4|, s60
	v_floor_f32_e32 v5, v5
	s_mov_b32 s60, 0xcf800000
	v_cvt_u32_f32_e32 v54, v5
	v_fma_f32 v5, v5, s60, |v4|
	v_cvt_u32_f32_e32 v5, v5
	v_ashrrev_i32_e32 v55, 31, v4
	v_xor_b32_e32 v54, v54, v55
	v_xor_b32_e32 v4, v5, v55
	v_sub_co_u32_e32 v4, vcc, v4, v55
	v_subb_co_u32_e32 v5, vcc, v54, v55, vcc
	flat_store_dwordx2 v[2:3], v[4:5]
                                        ; implicit-def: $vgpr4
                                        ; implicit-def: $vgpr2_vgpr3
.LBB14_6369:
	s_andn2_saveexec_b64 vcc, s[58:59]
	s_cbranch_execz .LBB14_6371
; %bb.6370:
	v_cvt_i32_f32_e32 v4, v4
	flat_store_dword v[2:3], v4
.LBB14_6371:
	s_or_b64 exec, exec, vcc
                                        ; implicit-def: $vgpr4
                                        ; implicit-def: $vgpr2_vgpr3
.LBB14_6372:
	s_andn2_saveexec_b64 vcc, s[56:57]
	s_cbranch_execz .LBB14_6374
; %bb.6373:
	v_cvt_i32_f32_e32 v4, v4
	flat_store_short v[2:3], v4
.LBB14_6374:
	s_or_b64 exec, exec, vcc
                                        ; implicit-def: $vgpr4
                                        ; implicit-def: $vgpr2_vgpr3
.LBB14_6375:
	s_andn2_saveexec_b64 vcc, s[54:55]
	s_cbranch_execz .LBB14_6381
; %bb.6376:
	v_mov_b32_e32 v5, 0
	v_cmp_gt_i16_sdwa s[54:55], v11, v5 src0_sel:BYTE_0 src1_sel:DWORD
	s_and_saveexec_b64 s[56:57], s[54:55]
	s_xor_b64 s[54:55], exec, s[56:57]
	s_cbranch_execz .LBB14_6378
; %bb.6377:
	v_cvt_i32_f32_e32 v4, v4
	flat_store_byte v[2:3], v4
                                        ; implicit-def: $vgpr4
                                        ; implicit-def: $vgpr2_vgpr3
.LBB14_6378:
	s_andn2_saveexec_b64 s[54:55], s[54:55]
	s_cbranch_execz .LBB14_6380
; %bb.6379:
	v_trunc_f32_e32 v4, v4
	s_mov_b32 s56, 0x2f800000
	v_mul_f32_e64 v5, |v4|, s56
	v_floor_f32_e32 v5, v5
	s_mov_b32 s56, 0xcf800000
	v_fma_f32 v5, v5, s56, |v4|
	v_cvt_u32_f32_e32 v5, v5
	v_ashrrev_i32_e32 v4, 31, v4
	v_xor_b32_e32 v5, v5, v4
	v_sub_u32_e32 v4, v5, v4
	flat_store_byte v[2:3], v4
.LBB14_6380:
	s_or_b64 exec, exec, s[54:55]
.LBB14_6381:
	s_or_b64 exec, exec, vcc
.LBB14_6382:
	s_or_b64 exec, exec, s[52:53]
	s_or_b64 s[4:5], s[4:5], exec
	s_or_b64 exec, exec, s[46:47]
	s_mov_b64 vcc, 0
	s_and_saveexec_b64 s[46:47], s[4:5]
	s_cbranch_execnz .LBB14_3874
	s_branch .LBB14_3875
.LBB14_6383:
	v_bfe_u32 v5, v4, 21, 1
	s_mov_b32 s58, 0x88fffff
	v_add3_u32 v5, v4, v5, s58
	s_mov_b64 s[56:57], exec
	v_lshrrev_b32_e32 v5, 21, v5
	s_or_saveexec_b64 s[58:59], vcc
                                        ; implicit-def: $sgpr60
	s_xor_b64 exec, exec, s[58:59]
	s_cbranch_execz .LBB14_5548
.LBB14_6384:
	s_mov_b32 s60, 0x42800000
	v_add_f32_e64 v5, |v4|, s60
	v_and_b32_e32 v5, 0xff, v5
	v_cmp_ne_u32_e32 vcc, 0, v5
	s_andn2_b64 s[56:57], s[56:57], exec
	s_and_b64 vcc, vcc, exec
	s_mov_b32 s60, 0
	s_or_b64 s[56:57], s[56:57], vcc
	s_or_b64 exec, exec, s[58:59]
	v_mov_b32_e32 v82, s60
	s_and_saveexec_b64 vcc, s[56:57]
	s_cbranch_execnz .LBB14_5549
	s_branch .LBB14_5550
.LBB14_6385:
	v_bfe_u32 v5, v4, 20, 1
	s_mov_b32 s58, 0x487ffff
	v_add3_u32 v5, v4, v5, s58
	s_mov_b64 s[56:57], exec
	v_lshrrev_b32_e32 v5, 20, v5
	s_or_saveexec_b64 s[58:59], vcc
                                        ; implicit-def: $sgpr60
	s_xor_b64 exec, exec, s[58:59]
	s_cbranch_execz .LBB14_5661
.LBB14_6386:
	s_mov_b32 s60, 0x46000000
	v_add_f32_e64 v5, |v4|, s60
	v_and_b32_e32 v5, 0xff, v5
	v_cmp_ne_u32_e32 vcc, 0, v5
	s_andn2_b64 s[56:57], s[56:57], exec
	s_and_b64 vcc, vcc, exec
	s_mov_b32 s60, 0
	s_or_b64 s[56:57], s[56:57], vcc
	s_or_b64 exec, exec, s[58:59]
	v_mov_b32_e32 v80, s60
	s_and_saveexec_b64 vcc, s[56:57]
	s_cbranch_execnz .LBB14_5662
	s_branch .LBB14_5663
.LBB14_6387:
	v_mov_b32_e32 v5, 25
	v_cmp_gt_i16_sdwa vcc, v11, v5 src0_sel:BYTE_0 src1_sel:DWORD
	s_mov_b64 s[54:55], s[46:47]
	s_and_saveexec_b64 s[56:57], vcc
	s_xor_b64 s[56:57], exec, s[56:57]
	s_cbranch_execz .LBB14_6423
; %bb.6388:
	v_mov_b32_e32 v5, 28
	v_cmp_gt_i16_sdwa vcc, v11, v5 src0_sel:BYTE_0 src1_sel:DWORD
	s_mov_b64 s[58:59], s[46:47]
	s_and_saveexec_b64 s[54:55], vcc
	s_xor_b64 s[54:55], exec, s[54:55]
	s_cbranch_execz .LBB14_6406
; %bb.6389:
	v_mov_b32_e32 v5, 43
	v_cmp_gt_i16_sdwa s[58:59], v11, v5 src0_sel:BYTE_0 src1_sel:DWORD
	s_mov_b64 vcc, s[46:47]
	s_and_saveexec_b64 s[60:61], s[58:59]
	s_xor_b64 s[58:59], exec, s[60:61]
	s_cbranch_execz .LBB14_6401
; %bb.6390:
	v_mov_b32_e32 v5, 45
	v_cmp_gt_i16_sdwa s[4:5], v11, v5 src0_sel:BYTE_0 src1_sel:DWORD
	s_mov_b64 s[60:61], 0
	s_mov_b64 s[62:63], s[46:47]
	s_and_saveexec_b64 vcc, s[4:5]
	s_xor_b64 s[4:5], exec, vcc
	s_cbranch_execz .LBB14_6394
; %bb.6391:
	v_mov_b32_e32 v5, 46
	v_cmp_eq_u16_sdwa s[64:65], v11, v5 src0_sel:BYTE_0 src1_sel:DWORD
	s_mov_b64 vcc, -1
	s_and_saveexec_b64 s[62:63], s[64:65]
	s_cbranch_execz .LBB14_6393
; %bb.6392:
	v_bfe_u32 v5, v4, 16, 1
	s_movk_i32 vcc_lo, 0x7fff
	v_add3_u32 v5, v4, v5, vcc_lo
	v_lshrrev_b32_e32 v5, 16, v5
	v_mov_b32_e32 v52, 0x7fc0
	v_cmp_o_f32_e32 vcc, v4, v4
	v_cndmask_b32_e32 v4, v52, v5, vcc
	s_mov_b64 s[60:61], exec
	flat_store_dword v[2:3], v4
	s_xor_b64 vcc, exec, -1
.LBB14_6393:
	s_or_b64 exec, exec, s[62:63]
	s_andn2_b64 s[62:63], s[46:47], exec
	s_and_b64 vcc, vcc, exec
	s_or_b64 s[62:63], s[62:63], vcc
	s_and_b64 s[60:61], s[60:61], exec
                                        ; implicit-def: $vgpr2_vgpr3
                                        ; implicit-def: $vgpr4
.LBB14_6394:
	s_andn2_saveexec_b64 s[64:65], s[4:5]
	s_cbranch_execz .LBB14_6400
; %bb.6395:
	v_mov_b32_e32 v5, 44
	v_cmp_eq_u16_sdwa s[68:69], v11, v5 src0_sel:BYTE_0 src1_sel:DWORD
	s_mov_b64 vcc, -1
	s_mov_b64 s[4:5], s[60:61]
	s_and_saveexec_b64 s[66:67], s[68:69]
	s_cbranch_execz .LBB14_6399
; %bb.6396:
	v_bfe_u32 v5, v4, 23, 8
	s_movk_i32 s4, 0xff
	v_cmp_ne_u32_e32 vcc, s4, v5
	v_mov_b32_e32 v52, 0xff
	s_and_saveexec_b64 s[68:69], vcc
; %bb.6397:
	s_mov_b32 s4, 0x3fffff
	v_lshrrev_b32_e32 v52, 23, v4
	v_and_b32_e32 v53, 0x400000, v4
	v_and_or_b32 v4, v4, s4, v5
	v_cmp_ne_u32_e32 vcc, 0, v53
	v_cmp_ne_u32_e64 s[4:5], 0, v4
	s_and_b64 s[4:5], vcc, s[4:5]
	v_cndmask_b32_e64 v4, 0, 1, s[4:5]
	v_add_u32_e32 v52, v52, v4
; %bb.6398:
	s_or_b64 exec, exec, s[68:69]
	s_xor_b64 vcc, exec, -1
	s_or_b64 s[4:5], s[60:61], exec
	flat_store_byte v[2:3], v52
.LBB14_6399:
	s_or_b64 exec, exec, s[66:67]
	s_andn2_b64 s[62:63], s[62:63], exec
	s_and_b64 vcc, vcc, exec
	s_or_b64 s[62:63], s[62:63], vcc
	s_andn2_b64 vcc, s[60:61], exec
	s_and_b64 s[4:5], s[4:5], exec
	s_or_b64 s[60:61], vcc, s[4:5]
.LBB14_6400:
	s_or_b64 exec, exec, s[64:65]
	s_andn2_b64 s[4:5], s[46:47], exec
	s_and_b64 vcc, s[62:63], exec
	s_or_b64 vcc, s[4:5], vcc
	s_and_b64 s[4:5], s[60:61], exec
                                        ; implicit-def: $vgpr4
                                        ; implicit-def: $vgpr2_vgpr3
.LBB14_6401:
	s_andn2_saveexec_b64 s[58:59], s[58:59]
	s_cbranch_execz .LBB14_6405
; %bb.6402:
	v_mov_b32_e32 v5, 29
	v_cmp_eq_u16_sdwa s[66:67], v11, v5 src0_sel:BYTE_0 src1_sel:DWORD
	s_mov_b64 s[64:65], -1
	s_mov_b64 s[62:63], s[4:5]
	s_and_saveexec_b64 s[60:61], s[66:67]
	s_cbranch_execz .LBB14_6404
; %bb.6403:
	v_trunc_f32_e32 v4, v4
	v_mul_f32_e32 v5, 0x2f800000, v4
	v_floor_f32_e32 v52, v5
	v_fmac_f32_e32 v4, 0xcf800000, v52
	v_cvt_u32_f32_e32 v5, v52
	v_cvt_u32_f32_e32 v4, v4
	s_xor_b64 s[64:65], exec, -1
	s_or_b64 s[62:63], s[4:5], exec
	flat_store_dwordx2 v[2:3], v[4:5]
.LBB14_6404:
	s_or_b64 exec, exec, s[60:61]
	s_andn2_b64 vcc, vcc, exec
	s_and_b64 s[60:61], s[64:65], exec
	s_or_b64 vcc, vcc, s[60:61]
	s_andn2_b64 s[4:5], s[4:5], exec
	s_and_b64 s[60:61], s[62:63], exec
	s_or_b64 s[4:5], s[4:5], s[60:61]
.LBB14_6405:
	s_or_b64 exec, exec, s[58:59]
	s_andn2_b64 s[58:59], s[46:47], exec
	s_and_b64 vcc, vcc, exec
	s_or_b64 s[58:59], s[58:59], vcc
	s_and_b64 s[4:5], s[4:5], exec
                                        ; implicit-def: $vgpr2_vgpr3
                                        ; implicit-def: $vgpr4
.LBB14_6406:
	s_andn2_saveexec_b64 s[54:55], s[54:55]
	s_cbranch_execz .LBB14_6422
; %bb.6407:
	v_mov_b32_e32 v5, 26
	v_cmp_gt_i16_sdwa vcc, v11, v5 src0_sel:BYTE_0 src1_sel:DWORD
	s_and_saveexec_b64 s[60:61], vcc
	s_xor_b64 vcc, exec, s[60:61]
	s_cbranch_execz .LBB14_6413
; %bb.6408:
	v_cvt_u32_f32_e32 v4, v4
	v_mov_b32_e32 v5, 27
	v_cmp_gt_i16_sdwa s[60:61], v11, v5 src0_sel:BYTE_0 src1_sel:DWORD
	s_and_saveexec_b64 s[62:63], s[60:61]
	s_xor_b64 s[60:61], exec, s[62:63]
	s_cbranch_execz .LBB14_6410
; %bb.6409:
	flat_store_dword v[2:3], v4
                                        ; implicit-def: $vgpr2_vgpr3
                                        ; implicit-def: $vgpr4
.LBB14_6410:
	s_andn2_saveexec_b64 s[60:61], s[60:61]
	s_cbranch_execz .LBB14_6412
; %bb.6411:
	flat_store_short v[2:3], v4
.LBB14_6412:
	s_or_b64 exec, exec, s[60:61]
                                        ; implicit-def: $vgpr2_vgpr3
                                        ; implicit-def: $vgpr4
.LBB14_6413:
	s_andn2_saveexec_b64 s[60:61], vcc
	s_cbranch_execz .LBB14_6421
; %bb.6414:
	v_and_b32_e32 v5, 0x7fffffff, v4
	s_mov_b32 vcc_lo, 0x43800000
	v_cmp_gt_u32_e32 vcc, vcc_lo, v5
	v_mov_b32_e32 v52, 0x80
	s_and_saveexec_b64 s[62:63], vcc
	s_cbranch_execz .LBB14_6420
; %bb.6415:
	s_mov_b32 vcc_lo, 0x3bffffff
	v_cmp_lt_u32_e32 vcc, vcc_lo, v5
	s_mov_b64 s[64:65], 0
                                        ; implicit-def: $vgpr5
	s_and_saveexec_b64 s[66:67], vcc
	s_xor_b64 vcc, exec, s[66:67]
	s_cbranch_execnz .LBB14_7141
; %bb.6416:
	s_or_saveexec_b64 s[66:67], vcc
                                        ; implicit-def: $sgpr68
	s_xor_b64 exec, exec, s[66:67]
	s_cbranch_execnz .LBB14_7142
.LBB14_6417:
	s_or_b64 exec, exec, s[66:67]
	v_mov_b32_e32 v52, s68
	s_and_saveexec_b64 vcc, s[64:65]
.LBB14_6418:
	v_lshrrev_b32_e32 v4, 24, v4
	s_movk_i32 s64, 0x80
	v_and_or_b32 v52, v4, s64, v5
.LBB14_6419:
	s_or_b64 exec, exec, vcc
.LBB14_6420:
	s_or_b64 exec, exec, s[62:63]
	flat_store_byte v[2:3], v52
.LBB14_6421:
	s_or_b64 exec, exec, s[60:61]
	s_or_b64 s[4:5], s[4:5], exec
.LBB14_6422:
	s_or_b64 exec, exec, s[54:55]
	s_andn2_b64 vcc, s[46:47], exec
	s_and_b64 s[54:55], s[58:59], exec
	s_or_b64 s[54:55], vcc, s[54:55]
	s_and_b64 s[4:5], s[4:5], exec
                                        ; implicit-def: $vgpr4
                                        ; implicit-def: $vgpr2_vgpr3
.LBB14_6423:
	s_andn2_saveexec_b64 s[56:57], s[56:57]
	s_cbranch_execz .LBB14_6467
; %bb.6424:
	v_mov_b32_e32 v5, 22
	v_cmp_gt_i16_sdwa vcc, v11, v5 src0_sel:BYTE_0 src1_sel:DWORD
	s_mov_b64 s[60:61], s[4:5]
	s_and_saveexec_b64 s[58:59], vcc
	s_xor_b64 s[58:59], exec, s[58:59]
	s_cbranch_execz .LBB14_6456
; %bb.6425:
	v_mov_b32_e32 v5, 23
	v_cmp_gt_i16_sdwa vcc, v11, v5 src0_sel:BYTE_0 src1_sel:DWORD
	s_and_saveexec_b64 s[60:61], vcc
	s_xor_b64 s[60:61], exec, s[60:61]
	s_cbranch_execz .LBB14_6445
; %bb.6426:
	v_mov_b32_e32 v5, 24
	v_cmp_gt_i16_sdwa vcc, v11, v5 src0_sel:BYTE_0 src1_sel:DWORD
	s_and_saveexec_b64 s[62:63], vcc
	s_xor_b64 s[62:63], exec, s[62:63]
	s_cbranch_execz .LBB14_6434
; %bb.6427:
	v_and_b32_e32 v5, 0x7fffffff, v4
	s_mov_b32 vcc_lo, 0x47800000
	v_cmp_gt_u32_e32 vcc, vcc_lo, v5
	v_mov_b32_e32 v52, 0x80
	s_and_saveexec_b64 s[64:65], vcc
	s_cbranch_execz .LBB14_6433
; %bb.6428:
	s_mov_b32 vcc_lo, 0x37ffffff
	v_cmp_lt_u32_e32 vcc, vcc_lo, v5
	s_mov_b64 s[66:67], 0
                                        ; implicit-def: $vgpr5
	s_and_saveexec_b64 s[68:69], vcc
	s_xor_b64 vcc, exec, s[68:69]
	s_cbranch_execnz .LBB14_7265
; %bb.6429:
	s_or_saveexec_b64 s[68:69], vcc
                                        ; implicit-def: $sgpr70
	s_xor_b64 exec, exec, s[68:69]
	s_cbranch_execnz .LBB14_7266
.LBB14_6430:
	s_or_b64 exec, exec, s[68:69]
	v_mov_b32_e32 v52, s70
	s_and_saveexec_b64 vcc, s[66:67]
.LBB14_6431:
	v_lshrrev_b32_e32 v4, 24, v4
	s_movk_i32 s66, 0x80
	v_and_or_b32 v52, v4, s66, v5
.LBB14_6432:
	s_or_b64 exec, exec, vcc
.LBB14_6433:
	s_or_b64 exec, exec, s[64:65]
	flat_store_byte v[2:3], v52
                                        ; implicit-def: $vgpr4
                                        ; implicit-def: $vgpr2_vgpr3
.LBB14_6434:
	s_andn2_saveexec_b64 s[62:63], s[62:63]
	s_cbranch_execz .LBB14_6444
; %bb.6435:
	v_and_b32_e32 v52, 0x7fffffff, v4
	s_mov_b32 vcc_lo, 0x43f00000
	v_cmp_gt_u32_e32 vcc, vcc_lo, v52
                                        ; implicit-def: $vgpr5
	s_and_saveexec_b64 s[64:65], vcc
	s_xor_b64 s[64:65], exec, s[64:65]
	s_cbranch_execz .LBB14_6441
; %bb.6436:
	s_mov_b32 vcc_lo, 0x3c7fffff
	v_cmp_lt_u32_e32 vcc, vcc_lo, v52
                                        ; implicit-def: $vgpr5
	s_and_saveexec_b64 s[66:67], vcc
	s_xor_b64 s[66:67], exec, s[66:67]
; %bb.6437:
	v_bfe_u32 v5, v4, 20, 1
	s_mov_b32 vcc_lo, 0x407ffff
	v_add3_u32 v5, v4, v5, vcc_lo
	v_lshrrev_b32_e32 v52, 20, v5
	v_and_b32_e32 v5, 0xff00000, v5
	s_mov_b32 vcc_lo, 0x7f00000
	v_mov_b32_e32 v53, 0x7e
	v_cmp_ne_u32_e32 vcc, vcc_lo, v5
	v_cndmask_b32_e32 v5, v53, v52, vcc
; %bb.6438:
	s_andn2_saveexec_b64 vcc, s[66:67]
; %bb.6439:
	s_mov_b32 s66, 0x46800000
	v_add_f32_e64 v5, |v4|, s66
; %bb.6440:
	s_or_b64 exec, exec, vcc
                                        ; implicit-def: $vgpr52
.LBB14_6441:
	s_andn2_saveexec_b64 s[64:65], s[64:65]
; %bb.6442:
	s_mov_b32 vcc_lo, 0x7f800000
	v_mov_b32_e32 v5, 0x7e
	v_mov_b32_e32 v53, 0x7f
	v_cmp_lt_u32_e32 vcc, vcc_lo, v52
	v_cndmask_b32_e32 v5, v5, v53, vcc
; %bb.6443:
	s_or_b64 exec, exec, s[64:65]
	v_lshrrev_b32_e32 v4, 24, v4
	s_movk_i32 vcc_lo, 0x80
	v_and_or_b32 v4, v4, vcc_lo, v5
	flat_store_byte v[2:3], v4
.LBB14_6444:
	s_or_b64 exec, exec, s[62:63]
                                        ; implicit-def: $vgpr4
                                        ; implicit-def: $vgpr2_vgpr3
.LBB14_6445:
	s_andn2_saveexec_b64 s[60:61], s[60:61]
	s_cbranch_execz .LBB14_6455
; %bb.6446:
	v_and_b32_e32 v52, 0x7fffffff, v4
	s_mov_b32 vcc_lo, 0x47800000
	v_cmp_gt_u32_e32 vcc, vcc_lo, v52
                                        ; implicit-def: $vgpr5
	s_and_saveexec_b64 s[62:63], vcc
	s_xor_b64 s[62:63], exec, s[62:63]
	s_cbranch_execz .LBB14_6452
; %bb.6447:
	s_mov_b32 vcc_lo, 0x387fffff
	v_cmp_lt_u32_e32 vcc, vcc_lo, v52
                                        ; implicit-def: $vgpr5
	s_and_saveexec_b64 s[64:65], vcc
	s_xor_b64 vcc, exec, s[64:65]
; %bb.6448:
	v_bfe_u32 v5, v4, 21, 1
	s_mov_b32 s64, 0x80fffff
	v_add3_u32 v5, v4, v5, s64
	v_lshrrev_b32_e32 v5, 21, v5
; %bb.6449:
	s_andn2_saveexec_b64 vcc, vcc
; %bb.6450:
	s_mov_b32 s64, 0x43000000
	v_add_f32_e64 v5, |v4|, s64
; %bb.6451:
	s_or_b64 exec, exec, vcc
                                        ; implicit-def: $vgpr52
.LBB14_6452:
	s_andn2_saveexec_b64 s[62:63], s[62:63]
; %bb.6453:
	s_mov_b32 vcc_lo, 0x7f800000
	v_mov_b32_e32 v5, 0x7c
	v_mov_b32_e32 v53, 0x7f
	v_cmp_lt_u32_e32 vcc, vcc_lo, v52
	v_cndmask_b32_e32 v5, v5, v53, vcc
; %bb.6454:
	s_or_b64 exec, exec, s[62:63]
	v_lshrrev_b32_e32 v4, 24, v4
	s_movk_i32 vcc_lo, 0x80
	v_and_or_b32 v4, v4, vcc_lo, v5
	flat_store_byte v[2:3], v4
.LBB14_6455:
	s_or_b64 exec, exec, s[60:61]
	s_or_b64 s[60:61], s[4:5], exec
                                        ; implicit-def: $vgpr4
                                        ; implicit-def: $vgpr2_vgpr3
.LBB14_6456:
	s_or_saveexec_b64 s[58:59], s[58:59]
	s_mov_b64 vcc, s[54:55]
	s_xor_b64 exec, exec, s[58:59]
	s_cbranch_execz .LBB14_6466
; %bb.6457:
	v_mov_b32_e32 v5, 14
	v_cmp_gt_i16_sdwa vcc, v11, v5 src0_sel:BYTE_0 src1_sel:DWORD
	s_mov_b64 s[62:63], s[60:61]
	s_mov_b64 s[64:65], s[54:55]
	s_and_saveexec_b64 s[66:67], vcc
	s_xor_b64 s[66:67], exec, s[66:67]
	s_cbranch_execz .LBB14_6461
; %bb.6458:
	v_mov_b32_e32 v5, 15
	v_cmp_eq_u16_sdwa s[68:69], v11, v5 src0_sel:BYTE_0 src1_sel:DWORD
	s_mov_b64 s[64:65], -1
	s_mov_b64 vcc, s[60:61]
	s_and_saveexec_b64 s[62:63], s[68:69]
	s_cbranch_execz .LBB14_6460
; %bb.6459:
	v_bfe_u32 v5, v4, 16, 1
	s_movk_i32 vcc_lo, 0x7fff
	v_add3_u32 v5, v4, v5, vcc_lo
	v_lshrrev_b32_e32 v5, 16, v5
	v_mov_b32_e32 v52, 0x7fc0
	v_cmp_o_f32_e32 vcc, v4, v4
	v_cndmask_b32_e32 v4, v52, v5, vcc
	flat_store_short v[2:3], v4
	s_xor_b64 s[64:65], exec, -1
	s_or_b64 vcc, s[60:61], exec
.LBB14_6460:
	s_or_b64 exec, exec, s[62:63]
	s_andn2_b64 s[62:63], s[54:55], exec
	s_and_b64 s[64:65], s[64:65], exec
	s_or_b64 s[64:65], s[62:63], s[64:65]
	s_andn2_b64 s[62:63], s[60:61], exec
	s_and_b64 vcc, vcc, exec
	s_or_b64 s[62:63], s[62:63], vcc
                                        ; implicit-def: $vgpr4
                                        ; implicit-def: $vgpr2_vgpr3
.LBB14_6461:
	s_andn2_saveexec_b64 s[66:67], s[66:67]
	s_cbranch_execz .LBB14_6465
; %bb.6462:
	v_mov_b32_e32 v5, 11
	v_cmp_eq_u16_sdwa s[72:73], v11, v5 src0_sel:BYTE_0 src1_sel:DWORD
	s_mov_b64 s[68:69], -1
	s_mov_b64 vcc, s[62:63]
	s_and_saveexec_b64 s[70:71], s[72:73]
	s_cbranch_execz .LBB14_6464
; %bb.6463:
	v_cmp_neq_f32_e32 vcc, 0, v4
	v_cndmask_b32_e64 v4, 0, 1, vcc
	flat_store_byte v[2:3], v4
	s_xor_b64 s[68:69], exec, -1
	s_or_b64 vcc, s[62:63], exec
.LBB14_6464:
	s_or_b64 exec, exec, s[70:71]
	s_andn2_b64 s[64:65], s[64:65], exec
	s_and_b64 s[68:69], s[68:69], exec
	s_andn2_b64 s[62:63], s[62:63], exec
	s_and_b64 vcc, vcc, exec
	s_or_b64 s[64:65], s[64:65], s[68:69]
	s_or_b64 s[62:63], s[62:63], vcc
.LBB14_6465:
	s_or_b64 exec, exec, s[66:67]
	s_andn2_b64 vcc, s[54:55], exec
	s_and_b64 s[64:65], s[64:65], exec
	s_andn2_b64 s[60:61], s[60:61], exec
	s_and_b64 s[62:63], s[62:63], exec
	s_or_b64 vcc, vcc, s[64:65]
	s_or_b64 s[60:61], s[60:61], s[62:63]
.LBB14_6466:
	s_or_b64 exec, exec, s[58:59]
	s_andn2_b64 s[54:55], s[54:55], exec
	s_and_b64 vcc, vcc, exec
	s_or_b64 s[54:55], s[54:55], vcc
	s_andn2_b64 s[4:5], s[4:5], exec
	s_and_b64 vcc, s[60:61], exec
	s_or_b64 s[4:5], s[4:5], vcc
.LBB14_6467:
	s_or_b64 exec, exec, s[56:57]
	s_andn2_b64 vcc, s[46:47], exec
	s_and_b64 s[54:55], s[54:55], exec
	s_or_b64 s[54:55], vcc, s[54:55]
	s_and_b64 s[4:5], s[4:5], exec
                                        ; implicit-def: $vgpr4
                                        ; implicit-def: $vgpr2_vgpr3
	s_andn2_saveexec_b64 s[50:51], s[50:51]
	s_cbranch_execz .LBB14_3880
.LBB14_6468:
	v_mov_b32_e32 v5, 4
	v_cmp_gt_i16_sdwa vcc, v11, v5 src0_sel:BYTE_0 src1_sel:DWORD
	s_and_saveexec_b64 s[56:57], vcc
	s_xor_b64 vcc, exec, s[56:57]
	s_cbranch_execz .LBB14_6490
; %bb.6469:
	v_mov_b32_e32 v5, 7
	v_cmp_gt_i16_sdwa s[56:57], v11, v5 src0_sel:BYTE_0 src1_sel:DWORD
	s_and_saveexec_b64 s[58:59], s[56:57]
	s_xor_b64 s[56:57], exec, s[58:59]
	s_cbranch_execz .LBB14_6479
; %bb.6470:
	v_mov_b32_e32 v5, 8
	v_cmp_gt_i16_sdwa s[58:59], v11, v5 src0_sel:BYTE_0 src1_sel:DWORD
	s_and_saveexec_b64 s[60:61], s[58:59]
	s_xor_b64 s[58:59], exec, s[60:61]
	;; [unrolled: 6-line block ×3, first 2 shown]
	s_cbranch_execz .LBB14_6473
; %bb.6472:
	v_mov_b32_e32 v54, 0
	v_cvt_f64_f32_e32 v[52:53], v4
	v_mov_b32_e32 v55, v54
	flat_store_dwordx4 v[2:3], v[52:55]
                                        ; implicit-def: $vgpr4
                                        ; implicit-def: $vgpr2_vgpr3
.LBB14_6473:
	s_andn2_saveexec_b64 s[60:61], s[60:61]
	s_cbranch_execz .LBB14_6475
; %bb.6474:
	v_mov_b32_e32 v5, 0
	flat_store_dwordx2 v[2:3], v[4:5]
.LBB14_6475:
	s_or_b64 exec, exec, s[60:61]
                                        ; implicit-def: $vgpr4
                                        ; implicit-def: $vgpr2_vgpr3
.LBB14_6476:
	s_andn2_saveexec_b64 s[58:59], s[58:59]
	s_cbranch_execz .LBB14_6478
; %bb.6477:
	v_cvt_f16_f32_e32 v4, v4
	flat_store_dword v[2:3], v4
.LBB14_6478:
	s_or_b64 exec, exec, s[58:59]
                                        ; implicit-def: $vgpr4
                                        ; implicit-def: $vgpr2_vgpr3
.LBB14_6479:
	s_andn2_saveexec_b64 s[56:57], s[56:57]
	s_cbranch_execz .LBB14_6489
; %bb.6480:
	v_mov_b32_e32 v5, 5
	v_cmp_gt_i16_sdwa s[58:59], v11, v5 src0_sel:BYTE_0 src1_sel:DWORD
	s_and_saveexec_b64 s[60:61], s[58:59]
	s_xor_b64 s[58:59], exec, s[60:61]
	s_cbranch_execz .LBB14_6486
; %bb.6481:
	v_mov_b32_e32 v5, 6
	v_cmp_gt_i16_sdwa s[60:61], v11, v5 src0_sel:BYTE_0 src1_sel:DWORD
	s_and_saveexec_b64 s[62:63], s[60:61]
	s_xor_b64 s[60:61], exec, s[62:63]
	s_cbranch_execz .LBB14_6483
; %bb.6482:
	v_cvt_f64_f32_e32 v[4:5], v4
	flat_store_dwordx2 v[2:3], v[4:5]
                                        ; implicit-def: $vgpr2_vgpr3
                                        ; implicit-def: $vgpr4
.LBB14_6483:
	s_andn2_saveexec_b64 s[60:61], s[60:61]
	s_cbranch_execz .LBB14_6485
; %bb.6484:
	flat_store_dword v[2:3], v4
.LBB14_6485:
	s_or_b64 exec, exec, s[60:61]
                                        ; implicit-def: $vgpr4
                                        ; implicit-def: $vgpr2_vgpr3
.LBB14_6486:
	s_andn2_saveexec_b64 s[58:59], s[58:59]
	s_cbranch_execz .LBB14_6488
; %bb.6487:
	v_cvt_f16_f32_e32 v4, v4
	flat_store_short v[2:3], v4
.LBB14_6488:
	s_or_b64 exec, exec, s[58:59]
.LBB14_6489:
	s_or_b64 exec, exec, s[56:57]
                                        ; implicit-def: $vgpr4
                                        ; implicit-def: $vgpr2_vgpr3
.LBB14_6490:
	s_andn2_saveexec_b64 s[56:57], vcc
	s_cbranch_execz .LBB14_6508
; %bb.6491:
	v_mov_b32_e32 v5, 1
	v_cmp_gt_i16_sdwa vcc, v11, v5 src0_sel:BYTE_0 src1_sel:DWORD
	s_and_saveexec_b64 s[58:59], vcc
	s_xor_b64 s[58:59], exec, s[58:59]
	s_cbranch_execz .LBB14_6501
; %bb.6492:
	v_mov_b32_e32 v5, 2
	v_cmp_gt_i16_sdwa vcc, v11, v5 src0_sel:BYTE_0 src1_sel:DWORD
	s_and_saveexec_b64 s[60:61], vcc
	s_xor_b64 s[60:61], exec, s[60:61]
	;; [unrolled: 6-line block ×3, first 2 shown]
	s_cbranch_execz .LBB14_6495
; %bb.6494:
	v_trunc_f32_e32 v4, v4
	s_mov_b32 s64, 0x2f800000
	v_mul_f32_e64 v5, |v4|, s64
	v_floor_f32_e32 v5, v5
	s_mov_b32 s64, 0xcf800000
	v_cvt_u32_f32_e32 v52, v5
	v_fma_f32 v5, v5, s64, |v4|
	v_cvt_u32_f32_e32 v5, v5
	v_ashrrev_i32_e32 v53, 31, v4
	v_xor_b32_e32 v52, v52, v53
	v_xor_b32_e32 v4, v5, v53
	v_sub_co_u32_e32 v4, vcc, v4, v53
	v_subb_co_u32_e32 v5, vcc, v52, v53, vcc
	flat_store_dwordx2 v[2:3], v[4:5]
                                        ; implicit-def: $vgpr4
                                        ; implicit-def: $vgpr2_vgpr3
.LBB14_6495:
	s_andn2_saveexec_b64 vcc, s[62:63]
	s_cbranch_execz .LBB14_6497
; %bb.6496:
	v_cvt_i32_f32_e32 v4, v4
	flat_store_dword v[2:3], v4
.LBB14_6497:
	s_or_b64 exec, exec, vcc
                                        ; implicit-def: $vgpr4
                                        ; implicit-def: $vgpr2_vgpr3
.LBB14_6498:
	s_andn2_saveexec_b64 vcc, s[60:61]
	s_cbranch_execz .LBB14_6500
; %bb.6499:
	v_cvt_i32_f32_e32 v4, v4
	flat_store_short v[2:3], v4
.LBB14_6500:
	s_or_b64 exec, exec, vcc
                                        ; implicit-def: $vgpr4
                                        ; implicit-def: $vgpr2_vgpr3
.LBB14_6501:
	s_andn2_saveexec_b64 vcc, s[58:59]
	s_cbranch_execz .LBB14_6507
; %bb.6502:
	v_mov_b32_e32 v5, 0
	v_cmp_gt_i16_sdwa s[58:59], v11, v5 src0_sel:BYTE_0 src1_sel:DWORD
	s_and_saveexec_b64 s[60:61], s[58:59]
	s_xor_b64 s[58:59], exec, s[60:61]
	s_cbranch_execz .LBB14_6504
; %bb.6503:
	v_cvt_i32_f32_e32 v4, v4
	flat_store_byte v[2:3], v4
                                        ; implicit-def: $vgpr4
                                        ; implicit-def: $vgpr2_vgpr3
.LBB14_6504:
	s_andn2_saveexec_b64 s[58:59], s[58:59]
	s_cbranch_execz .LBB14_6506
; %bb.6505:
	v_trunc_f32_e32 v4, v4
	s_mov_b32 s60, 0x2f800000
	v_mul_f32_e64 v5, |v4|, s60
	v_floor_f32_e32 v5, v5
	s_mov_b32 s60, 0xcf800000
	v_fma_f32 v5, v5, s60, |v4|
	v_cvt_u32_f32_e32 v5, v5
	v_ashrrev_i32_e32 v4, 31, v4
	v_xor_b32_e32 v5, v5, v4
	v_sub_u32_e32 v4, v5, v4
	flat_store_byte v[2:3], v4
.LBB14_6506:
	s_or_b64 exec, exec, s[58:59]
.LBB14_6507:
	s_or_b64 exec, exec, vcc
.LBB14_6508:
	s_or_b64 exec, exec, s[56:57]
	s_or_b64 s[4:5], s[4:5], exec
	s_or_b64 exec, exec, s[50:51]
	s_mov_b64 vcc, 0
	s_and_saveexec_b64 s[50:51], s[4:5]
	s_cbranch_execnz .LBB14_3881
	s_branch .LBB14_3882
.LBB14_6509:
	v_bfe_u32 v5, v4, 21, 1
	s_mov_b32 s60, 0x88fffff
	v_add3_u32 v5, v4, v5, s60
	s_mov_b64 s[58:59], exec
	v_lshrrev_b32_e32 v5, 21, v5
	s_or_saveexec_b64 s[60:61], vcc
                                        ; implicit-def: $sgpr62
	s_xor_b64 exec, exec, s[60:61]
	s_cbranch_execz .LBB14_5674
.LBB14_6510:
	s_mov_b32 s62, 0x42800000
	v_add_f32_e64 v5, |v4|, s62
	v_and_b32_e32 v5, 0xff, v5
	v_cmp_ne_u32_e32 vcc, 0, v5
	s_andn2_b64 s[58:59], s[58:59], exec
	s_and_b64 vcc, vcc, exec
	s_mov_b32 s62, 0
	s_or_b64 s[58:59], s[58:59], vcc
	s_or_b64 exec, exec, s[60:61]
	v_mov_b32_e32 v80, s62
	s_and_saveexec_b64 vcc, s[58:59]
	s_cbranch_execnz .LBB14_5675
	s_branch .LBB14_5676
.LBB14_6511:
	v_bfe_u32 v5, v4, 20, 1
	s_mov_b32 s58, 0x487ffff
	v_add3_u32 v5, v4, v5, s58
	s_mov_b64 s[56:57], exec
	v_lshrrev_b32_e32 v5, 20, v5
	s_or_saveexec_b64 s[58:59], vcc
                                        ; implicit-def: $sgpr60
	s_xor_b64 exec, exec, s[58:59]
	s_cbranch_execz .LBB14_5787
.LBB14_6512:
	s_mov_b32 s60, 0x46000000
	v_add_f32_e64 v5, |v4|, s60
	v_and_b32_e32 v5, 0xff, v5
	v_cmp_ne_u32_e32 vcc, 0, v5
	s_andn2_b64 s[56:57], s[56:57], exec
	s_and_b64 vcc, vcc, exec
	s_mov_b32 s60, 0
	s_or_b64 s[56:57], s[56:57], vcc
	s_or_b64 exec, exec, s[58:59]
	v_mov_b32_e32 v70, s60
	s_and_saveexec_b64 vcc, s[56:57]
	s_cbranch_execnz .LBB14_5788
	s_branch .LBB14_5789
.LBB14_6513:
	v_mov_b32_e32 v5, 25
	v_cmp_gt_i16_sdwa vcc, v11, v5 src0_sel:BYTE_0 src1_sel:DWORD
	s_mov_b64 s[58:59], s[50:51]
	s_and_saveexec_b64 s[60:61], vcc
	s_xor_b64 s[60:61], exec, s[60:61]
	s_cbranch_execz .LBB14_6549
; %bb.6514:
	v_mov_b32_e32 v5, 28
	v_cmp_gt_i16_sdwa vcc, v11, v5 src0_sel:BYTE_0 src1_sel:DWORD
	s_mov_b64 s[62:63], s[50:51]
	s_and_saveexec_b64 s[58:59], vcc
	s_xor_b64 s[58:59], exec, s[58:59]
	s_cbranch_execz .LBB14_6532
; %bb.6515:
	v_mov_b32_e32 v5, 43
	v_cmp_gt_i16_sdwa s[62:63], v11, v5 src0_sel:BYTE_0 src1_sel:DWORD
	s_mov_b64 vcc, s[50:51]
	s_and_saveexec_b64 s[64:65], s[62:63]
	s_xor_b64 s[62:63], exec, s[64:65]
	s_cbranch_execz .LBB14_6527
; %bb.6516:
	v_mov_b32_e32 v5, 45
	v_cmp_gt_i16_sdwa s[4:5], v11, v5 src0_sel:BYTE_0 src1_sel:DWORD
	s_mov_b64 s[64:65], 0
	s_mov_b64 s[66:67], s[50:51]
	s_and_saveexec_b64 vcc, s[4:5]
	s_xor_b64 s[4:5], exec, vcc
	s_cbranch_execz .LBB14_6520
; %bb.6517:
	v_mov_b32_e32 v5, 46
	v_cmp_eq_u16_sdwa s[68:69], v11, v5 src0_sel:BYTE_0 src1_sel:DWORD
	s_mov_b64 vcc, -1
	s_and_saveexec_b64 s[66:67], s[68:69]
	s_cbranch_execz .LBB14_6519
; %bb.6518:
	v_bfe_u32 v5, v4, 16, 1
	s_movk_i32 vcc_lo, 0x7fff
	v_add3_u32 v5, v4, v5, vcc_lo
	v_lshrrev_b32_e32 v5, 16, v5
	v_mov_b32_e32 v50, 0x7fc0
	v_cmp_o_f32_e32 vcc, v4, v4
	v_cndmask_b32_e32 v4, v50, v5, vcc
	s_mov_b64 s[64:65], exec
	flat_store_dword v[2:3], v4
	s_xor_b64 vcc, exec, -1
.LBB14_6519:
	s_or_b64 exec, exec, s[66:67]
	s_andn2_b64 s[66:67], s[50:51], exec
	s_and_b64 vcc, vcc, exec
	s_or_b64 s[66:67], s[66:67], vcc
	s_and_b64 s[64:65], s[64:65], exec
                                        ; implicit-def: $vgpr2_vgpr3
                                        ; implicit-def: $vgpr4
.LBB14_6520:
	s_andn2_saveexec_b64 s[68:69], s[4:5]
	s_cbranch_execz .LBB14_6526
; %bb.6521:
	v_mov_b32_e32 v5, 44
	v_cmp_eq_u16_sdwa s[72:73], v11, v5 src0_sel:BYTE_0 src1_sel:DWORD
	s_mov_b64 vcc, -1
	s_mov_b64 s[4:5], s[64:65]
	s_and_saveexec_b64 s[70:71], s[72:73]
	s_cbranch_execz .LBB14_6525
; %bb.6522:
	v_bfe_u32 v5, v4, 23, 8
	s_movk_i32 s4, 0xff
	v_cmp_ne_u32_e32 vcc, s4, v5
	v_mov_b32_e32 v50, 0xff
	s_and_saveexec_b64 s[72:73], vcc
; %bb.6523:
	s_mov_b32 s4, 0x3fffff
	v_lshrrev_b32_e32 v50, 23, v4
	v_and_b32_e32 v51, 0x400000, v4
	v_and_or_b32 v4, v4, s4, v5
	v_cmp_ne_u32_e32 vcc, 0, v51
	v_cmp_ne_u32_e64 s[4:5], 0, v4
	s_and_b64 s[4:5], vcc, s[4:5]
	v_cndmask_b32_e64 v4, 0, 1, s[4:5]
	v_add_u32_e32 v50, v50, v4
; %bb.6524:
	s_or_b64 exec, exec, s[72:73]
	s_xor_b64 vcc, exec, -1
	s_or_b64 s[4:5], s[64:65], exec
	flat_store_byte v[2:3], v50
.LBB14_6525:
	s_or_b64 exec, exec, s[70:71]
	s_andn2_b64 s[66:67], s[66:67], exec
	s_and_b64 vcc, vcc, exec
	s_or_b64 s[66:67], s[66:67], vcc
	s_andn2_b64 vcc, s[64:65], exec
	s_and_b64 s[4:5], s[4:5], exec
	s_or_b64 s[64:65], vcc, s[4:5]
.LBB14_6526:
	s_or_b64 exec, exec, s[68:69]
	s_andn2_b64 s[4:5], s[50:51], exec
	s_and_b64 vcc, s[66:67], exec
	s_or_b64 vcc, s[4:5], vcc
	s_and_b64 s[4:5], s[64:65], exec
                                        ; implicit-def: $vgpr4
                                        ; implicit-def: $vgpr2_vgpr3
.LBB14_6527:
	s_andn2_saveexec_b64 s[62:63], s[62:63]
	s_cbranch_execz .LBB14_6531
; %bb.6528:
	v_mov_b32_e32 v5, 29
	v_cmp_eq_u16_sdwa s[70:71], v11, v5 src0_sel:BYTE_0 src1_sel:DWORD
	s_mov_b64 s[68:69], -1
	s_mov_b64 s[66:67], s[4:5]
	s_and_saveexec_b64 s[64:65], s[70:71]
	s_cbranch_execz .LBB14_6530
; %bb.6529:
	v_trunc_f32_e32 v4, v4
	v_mul_f32_e32 v5, 0x2f800000, v4
	v_floor_f32_e32 v50, v5
	v_fmac_f32_e32 v4, 0xcf800000, v50
	v_cvt_u32_f32_e32 v5, v50
	v_cvt_u32_f32_e32 v4, v4
	s_xor_b64 s[68:69], exec, -1
	s_or_b64 s[66:67], s[4:5], exec
	flat_store_dwordx2 v[2:3], v[4:5]
.LBB14_6530:
	s_or_b64 exec, exec, s[64:65]
	s_andn2_b64 vcc, vcc, exec
	s_and_b64 s[64:65], s[68:69], exec
	s_or_b64 vcc, vcc, s[64:65]
	s_andn2_b64 s[4:5], s[4:5], exec
	s_and_b64 s[64:65], s[66:67], exec
	s_or_b64 s[4:5], s[4:5], s[64:65]
.LBB14_6531:
	s_or_b64 exec, exec, s[62:63]
	s_andn2_b64 s[62:63], s[50:51], exec
	s_and_b64 vcc, vcc, exec
	s_or_b64 s[62:63], s[62:63], vcc
	s_and_b64 s[4:5], s[4:5], exec
                                        ; implicit-def: $vgpr2_vgpr3
                                        ; implicit-def: $vgpr4
.LBB14_6532:
	s_andn2_saveexec_b64 s[58:59], s[58:59]
	s_cbranch_execz .LBB14_6548
; %bb.6533:
	v_mov_b32_e32 v5, 26
	v_cmp_gt_i16_sdwa vcc, v11, v5 src0_sel:BYTE_0 src1_sel:DWORD
	s_and_saveexec_b64 s[64:65], vcc
	s_xor_b64 vcc, exec, s[64:65]
	s_cbranch_execz .LBB14_6539
; %bb.6534:
	v_cvt_u32_f32_e32 v4, v4
	v_mov_b32_e32 v5, 27
	v_cmp_gt_i16_sdwa s[64:65], v11, v5 src0_sel:BYTE_0 src1_sel:DWORD
	s_and_saveexec_b64 s[66:67], s[64:65]
	s_xor_b64 s[64:65], exec, s[66:67]
	s_cbranch_execz .LBB14_6536
; %bb.6535:
	flat_store_dword v[2:3], v4
                                        ; implicit-def: $vgpr2_vgpr3
                                        ; implicit-def: $vgpr4
.LBB14_6536:
	s_andn2_saveexec_b64 s[64:65], s[64:65]
	s_cbranch_execz .LBB14_6538
; %bb.6537:
	flat_store_short v[2:3], v4
.LBB14_6538:
	s_or_b64 exec, exec, s[64:65]
                                        ; implicit-def: $vgpr2_vgpr3
                                        ; implicit-def: $vgpr4
.LBB14_6539:
	s_andn2_saveexec_b64 s[64:65], vcc
	s_cbranch_execz .LBB14_6547
; %bb.6540:
	v_and_b32_e32 v5, 0x7fffffff, v4
	s_mov_b32 vcc_lo, 0x43800000
	v_cmp_gt_u32_e32 vcc, vcc_lo, v5
	v_mov_b32_e32 v50, 0x80
	s_and_saveexec_b64 s[66:67], vcc
	s_cbranch_execz .LBB14_6546
; %bb.6541:
	s_mov_b32 vcc_lo, 0x3bffffff
	v_cmp_lt_u32_e32 vcc, vcc_lo, v5
	s_mov_b64 s[68:69], 0
                                        ; implicit-def: $vgpr5
	s_and_saveexec_b64 s[70:71], vcc
	s_xor_b64 vcc, exec, s[70:71]
	s_cbranch_execnz .LBB14_7267
; %bb.6542:
	s_or_saveexec_b64 s[70:71], vcc
                                        ; implicit-def: $sgpr72
	s_xor_b64 exec, exec, s[70:71]
	s_cbranch_execnz .LBB14_7268
.LBB14_6543:
	s_or_b64 exec, exec, s[70:71]
	v_mov_b32_e32 v50, s72
	s_and_saveexec_b64 vcc, s[68:69]
.LBB14_6544:
	v_lshrrev_b32_e32 v4, 24, v4
	s_movk_i32 s68, 0x80
	v_and_or_b32 v50, v4, s68, v5
.LBB14_6545:
	s_or_b64 exec, exec, vcc
.LBB14_6546:
	s_or_b64 exec, exec, s[66:67]
	flat_store_byte v[2:3], v50
.LBB14_6547:
	s_or_b64 exec, exec, s[64:65]
	s_or_b64 s[4:5], s[4:5], exec
.LBB14_6548:
	s_or_b64 exec, exec, s[58:59]
	s_andn2_b64 vcc, s[50:51], exec
	s_and_b64 s[58:59], s[62:63], exec
	s_or_b64 s[58:59], vcc, s[58:59]
	s_and_b64 s[4:5], s[4:5], exec
                                        ; implicit-def: $vgpr4
                                        ; implicit-def: $vgpr2_vgpr3
.LBB14_6549:
	s_andn2_saveexec_b64 s[60:61], s[60:61]
	s_cbranch_execz .LBB14_6593
; %bb.6550:
	v_mov_b32_e32 v5, 22
	v_cmp_gt_i16_sdwa vcc, v11, v5 src0_sel:BYTE_0 src1_sel:DWORD
	s_mov_b64 s[64:65], s[4:5]
	s_and_saveexec_b64 s[62:63], vcc
	s_xor_b64 s[62:63], exec, s[62:63]
	s_cbranch_execz .LBB14_6582
; %bb.6551:
	v_mov_b32_e32 v5, 23
	v_cmp_gt_i16_sdwa vcc, v11, v5 src0_sel:BYTE_0 src1_sel:DWORD
	s_and_saveexec_b64 s[64:65], vcc
	s_xor_b64 s[64:65], exec, s[64:65]
	s_cbranch_execz .LBB14_6571
; %bb.6552:
	v_mov_b32_e32 v5, 24
	v_cmp_gt_i16_sdwa vcc, v11, v5 src0_sel:BYTE_0 src1_sel:DWORD
	s_and_saveexec_b64 s[66:67], vcc
	s_xor_b64 s[66:67], exec, s[66:67]
	s_cbranch_execz .LBB14_6560
; %bb.6553:
	v_and_b32_e32 v5, 0x7fffffff, v4
	s_mov_b32 vcc_lo, 0x47800000
	v_cmp_gt_u32_e32 vcc, vcc_lo, v5
	v_mov_b32_e32 v50, 0x80
	s_and_saveexec_b64 s[68:69], vcc
	s_cbranch_execz .LBB14_6559
; %bb.6554:
	s_mov_b32 vcc_lo, 0x37ffffff
	v_cmp_lt_u32_e32 vcc, vcc_lo, v5
	s_mov_b64 s[70:71], 0
                                        ; implicit-def: $vgpr5
	s_and_saveexec_b64 s[72:73], vcc
	s_xor_b64 vcc, exec, s[72:73]
	s_cbranch_execnz .LBB14_7391
; %bb.6555:
	s_or_saveexec_b64 s[72:73], vcc
                                        ; implicit-def: $sgpr74
	s_xor_b64 exec, exec, s[72:73]
	s_cbranch_execnz .LBB14_7392
.LBB14_6556:
	s_or_b64 exec, exec, s[72:73]
	v_mov_b32_e32 v50, s74
	s_and_saveexec_b64 vcc, s[70:71]
.LBB14_6557:
	v_lshrrev_b32_e32 v4, 24, v4
	s_movk_i32 s70, 0x80
	v_and_or_b32 v50, v4, s70, v5
.LBB14_6558:
	s_or_b64 exec, exec, vcc
.LBB14_6559:
	s_or_b64 exec, exec, s[68:69]
	flat_store_byte v[2:3], v50
                                        ; implicit-def: $vgpr4
                                        ; implicit-def: $vgpr2_vgpr3
.LBB14_6560:
	s_andn2_saveexec_b64 s[66:67], s[66:67]
	s_cbranch_execz .LBB14_6570
; %bb.6561:
	v_and_b32_e32 v50, 0x7fffffff, v4
	s_mov_b32 vcc_lo, 0x43f00000
	v_cmp_gt_u32_e32 vcc, vcc_lo, v50
                                        ; implicit-def: $vgpr5
	s_and_saveexec_b64 s[68:69], vcc
	s_xor_b64 s[68:69], exec, s[68:69]
	s_cbranch_execz .LBB14_6567
; %bb.6562:
	s_mov_b32 vcc_lo, 0x3c7fffff
	v_cmp_lt_u32_e32 vcc, vcc_lo, v50
                                        ; implicit-def: $vgpr5
	s_and_saveexec_b64 s[70:71], vcc
	s_xor_b64 s[70:71], exec, s[70:71]
; %bb.6563:
	v_bfe_u32 v5, v4, 20, 1
	s_mov_b32 vcc_lo, 0x407ffff
	v_add3_u32 v5, v4, v5, vcc_lo
	v_lshrrev_b32_e32 v50, 20, v5
	v_and_b32_e32 v5, 0xff00000, v5
	s_mov_b32 vcc_lo, 0x7f00000
	v_mov_b32_e32 v51, 0x7e
	v_cmp_ne_u32_e32 vcc, vcc_lo, v5
	v_cndmask_b32_e32 v5, v51, v50, vcc
; %bb.6564:
	s_andn2_saveexec_b64 vcc, s[70:71]
; %bb.6565:
	s_mov_b32 s70, 0x46800000
	v_add_f32_e64 v5, |v4|, s70
; %bb.6566:
	s_or_b64 exec, exec, vcc
                                        ; implicit-def: $vgpr50
.LBB14_6567:
	s_andn2_saveexec_b64 s[68:69], s[68:69]
; %bb.6568:
	s_mov_b32 vcc_lo, 0x7f800000
	v_mov_b32_e32 v5, 0x7e
	v_mov_b32_e32 v51, 0x7f
	v_cmp_lt_u32_e32 vcc, vcc_lo, v50
	v_cndmask_b32_e32 v5, v5, v51, vcc
; %bb.6569:
	s_or_b64 exec, exec, s[68:69]
	v_lshrrev_b32_e32 v4, 24, v4
	s_movk_i32 vcc_lo, 0x80
	v_and_or_b32 v4, v4, vcc_lo, v5
	flat_store_byte v[2:3], v4
.LBB14_6570:
	s_or_b64 exec, exec, s[66:67]
                                        ; implicit-def: $vgpr4
                                        ; implicit-def: $vgpr2_vgpr3
.LBB14_6571:
	s_andn2_saveexec_b64 s[64:65], s[64:65]
	s_cbranch_execz .LBB14_6581
; %bb.6572:
	v_and_b32_e32 v50, 0x7fffffff, v4
	s_mov_b32 vcc_lo, 0x47800000
	v_cmp_gt_u32_e32 vcc, vcc_lo, v50
                                        ; implicit-def: $vgpr5
	s_and_saveexec_b64 s[66:67], vcc
	s_xor_b64 s[66:67], exec, s[66:67]
	s_cbranch_execz .LBB14_6578
; %bb.6573:
	s_mov_b32 vcc_lo, 0x387fffff
	v_cmp_lt_u32_e32 vcc, vcc_lo, v50
                                        ; implicit-def: $vgpr5
	s_and_saveexec_b64 s[68:69], vcc
	s_xor_b64 vcc, exec, s[68:69]
; %bb.6574:
	v_bfe_u32 v5, v4, 21, 1
	s_mov_b32 s68, 0x80fffff
	v_add3_u32 v5, v4, v5, s68
	v_lshrrev_b32_e32 v5, 21, v5
; %bb.6575:
	s_andn2_saveexec_b64 vcc, vcc
; %bb.6576:
	s_mov_b32 s68, 0x43000000
	v_add_f32_e64 v5, |v4|, s68
; %bb.6577:
	s_or_b64 exec, exec, vcc
                                        ; implicit-def: $vgpr50
.LBB14_6578:
	s_andn2_saveexec_b64 s[66:67], s[66:67]
; %bb.6579:
	s_mov_b32 vcc_lo, 0x7f800000
	v_mov_b32_e32 v5, 0x7c
	v_mov_b32_e32 v51, 0x7f
	v_cmp_lt_u32_e32 vcc, vcc_lo, v50
	v_cndmask_b32_e32 v5, v5, v51, vcc
; %bb.6580:
	s_or_b64 exec, exec, s[66:67]
	v_lshrrev_b32_e32 v4, 24, v4
	s_movk_i32 vcc_lo, 0x80
	v_and_or_b32 v4, v4, vcc_lo, v5
	flat_store_byte v[2:3], v4
.LBB14_6581:
	s_or_b64 exec, exec, s[64:65]
	s_or_b64 s[64:65], s[4:5], exec
                                        ; implicit-def: $vgpr4
                                        ; implicit-def: $vgpr2_vgpr3
.LBB14_6582:
	s_or_saveexec_b64 s[62:63], s[62:63]
	s_mov_b64 vcc, s[58:59]
	s_xor_b64 exec, exec, s[62:63]
	s_cbranch_execz .LBB14_6592
; %bb.6583:
	v_mov_b32_e32 v5, 14
	v_cmp_gt_i16_sdwa vcc, v11, v5 src0_sel:BYTE_0 src1_sel:DWORD
	s_mov_b64 s[66:67], s[64:65]
	s_mov_b64 s[68:69], s[58:59]
	s_and_saveexec_b64 s[70:71], vcc
	s_xor_b64 s[70:71], exec, s[70:71]
	s_cbranch_execz .LBB14_6587
; %bb.6584:
	v_mov_b32_e32 v5, 15
	v_cmp_eq_u16_sdwa s[72:73], v11, v5 src0_sel:BYTE_0 src1_sel:DWORD
	s_mov_b64 s[68:69], -1
	s_mov_b64 vcc, s[64:65]
	s_and_saveexec_b64 s[66:67], s[72:73]
	s_cbranch_execz .LBB14_6586
; %bb.6585:
	v_bfe_u32 v5, v4, 16, 1
	s_movk_i32 vcc_lo, 0x7fff
	v_add3_u32 v5, v4, v5, vcc_lo
	v_lshrrev_b32_e32 v5, 16, v5
	v_mov_b32_e32 v50, 0x7fc0
	v_cmp_o_f32_e32 vcc, v4, v4
	v_cndmask_b32_e32 v4, v50, v5, vcc
	flat_store_short v[2:3], v4
	s_xor_b64 s[68:69], exec, -1
	s_or_b64 vcc, s[64:65], exec
.LBB14_6586:
	s_or_b64 exec, exec, s[66:67]
	s_andn2_b64 s[66:67], s[58:59], exec
	s_and_b64 s[68:69], s[68:69], exec
	s_or_b64 s[68:69], s[66:67], s[68:69]
	s_andn2_b64 s[66:67], s[64:65], exec
	s_and_b64 vcc, vcc, exec
	s_or_b64 s[66:67], s[66:67], vcc
                                        ; implicit-def: $vgpr4
                                        ; implicit-def: $vgpr2_vgpr3
.LBB14_6587:
	s_andn2_saveexec_b64 s[70:71], s[70:71]
	s_cbranch_execz .LBB14_6591
; %bb.6588:
	v_mov_b32_e32 v5, 11
	v_cmp_eq_u16_sdwa s[76:77], v11, v5 src0_sel:BYTE_0 src1_sel:DWORD
	s_mov_b64 s[72:73], -1
	s_mov_b64 vcc, s[66:67]
	s_and_saveexec_b64 s[74:75], s[76:77]
	s_cbranch_execz .LBB14_6590
; %bb.6589:
	v_cmp_neq_f32_e32 vcc, 0, v4
	v_cndmask_b32_e64 v4, 0, 1, vcc
	flat_store_byte v[2:3], v4
	s_xor_b64 s[72:73], exec, -1
	s_or_b64 vcc, s[66:67], exec
.LBB14_6590:
	s_or_b64 exec, exec, s[74:75]
	s_andn2_b64 s[68:69], s[68:69], exec
	s_and_b64 s[72:73], s[72:73], exec
	s_andn2_b64 s[66:67], s[66:67], exec
	s_and_b64 vcc, vcc, exec
	s_or_b64 s[68:69], s[68:69], s[72:73]
	s_or_b64 s[66:67], s[66:67], vcc
.LBB14_6591:
	s_or_b64 exec, exec, s[70:71]
	s_andn2_b64 vcc, s[58:59], exec
	s_and_b64 s[68:69], s[68:69], exec
	s_andn2_b64 s[64:65], s[64:65], exec
	s_and_b64 s[66:67], s[66:67], exec
	s_or_b64 vcc, vcc, s[68:69]
	s_or_b64 s[64:65], s[64:65], s[66:67]
.LBB14_6592:
	s_or_b64 exec, exec, s[62:63]
	s_andn2_b64 s[58:59], s[58:59], exec
	s_and_b64 vcc, vcc, exec
	s_or_b64 s[58:59], s[58:59], vcc
	s_andn2_b64 s[4:5], s[4:5], exec
	s_and_b64 vcc, s[64:65], exec
	s_or_b64 s[4:5], s[4:5], vcc
.LBB14_6593:
	s_or_b64 exec, exec, s[60:61]
	s_andn2_b64 vcc, s[50:51], exec
	s_and_b64 s[58:59], s[58:59], exec
	s_or_b64 s[58:59], vcc, s[58:59]
	s_and_b64 s[4:5], s[4:5], exec
                                        ; implicit-def: $vgpr4
                                        ; implicit-def: $vgpr2_vgpr3
	s_andn2_saveexec_b64 s[54:55], s[54:55]
	s_cbranch_execz .LBB14_3887
.LBB14_6594:
	v_mov_b32_e32 v5, 4
	v_cmp_gt_i16_sdwa vcc, v11, v5 src0_sel:BYTE_0 src1_sel:DWORD
	s_and_saveexec_b64 s[60:61], vcc
	s_xor_b64 vcc, exec, s[60:61]
	s_cbranch_execz .LBB14_6616
; %bb.6595:
	v_mov_b32_e32 v5, 7
	v_cmp_gt_i16_sdwa s[60:61], v11, v5 src0_sel:BYTE_0 src1_sel:DWORD
	s_and_saveexec_b64 s[62:63], s[60:61]
	s_xor_b64 s[60:61], exec, s[62:63]
	s_cbranch_execz .LBB14_6605
; %bb.6596:
	v_mov_b32_e32 v5, 8
	v_cmp_gt_i16_sdwa s[62:63], v11, v5 src0_sel:BYTE_0 src1_sel:DWORD
	s_and_saveexec_b64 s[64:65], s[62:63]
	s_xor_b64 s[62:63], exec, s[64:65]
	;; [unrolled: 6-line block ×3, first 2 shown]
	s_cbranch_execz .LBB14_6599
; %bb.6598:
	v_mov_b32_e32 v52, 0
	v_cvt_f64_f32_e32 v[50:51], v4
	v_mov_b32_e32 v53, v52
	flat_store_dwordx4 v[2:3], v[50:53]
                                        ; implicit-def: $vgpr4
                                        ; implicit-def: $vgpr2_vgpr3
.LBB14_6599:
	s_andn2_saveexec_b64 s[64:65], s[64:65]
	s_cbranch_execz .LBB14_6601
; %bb.6600:
	v_mov_b32_e32 v5, 0
	flat_store_dwordx2 v[2:3], v[4:5]
.LBB14_6601:
	s_or_b64 exec, exec, s[64:65]
                                        ; implicit-def: $vgpr4
                                        ; implicit-def: $vgpr2_vgpr3
.LBB14_6602:
	s_andn2_saveexec_b64 s[62:63], s[62:63]
	s_cbranch_execz .LBB14_6604
; %bb.6603:
	v_cvt_f16_f32_e32 v4, v4
	flat_store_dword v[2:3], v4
.LBB14_6604:
	s_or_b64 exec, exec, s[62:63]
                                        ; implicit-def: $vgpr4
                                        ; implicit-def: $vgpr2_vgpr3
.LBB14_6605:
	s_andn2_saveexec_b64 s[60:61], s[60:61]
	s_cbranch_execz .LBB14_6615
; %bb.6606:
	v_mov_b32_e32 v5, 5
	v_cmp_gt_i16_sdwa s[62:63], v11, v5 src0_sel:BYTE_0 src1_sel:DWORD
	s_and_saveexec_b64 s[64:65], s[62:63]
	s_xor_b64 s[62:63], exec, s[64:65]
	s_cbranch_execz .LBB14_6612
; %bb.6607:
	v_mov_b32_e32 v5, 6
	v_cmp_gt_i16_sdwa s[64:65], v11, v5 src0_sel:BYTE_0 src1_sel:DWORD
	s_and_saveexec_b64 s[66:67], s[64:65]
	s_xor_b64 s[64:65], exec, s[66:67]
	s_cbranch_execz .LBB14_6609
; %bb.6608:
	v_cvt_f64_f32_e32 v[4:5], v4
	flat_store_dwordx2 v[2:3], v[4:5]
                                        ; implicit-def: $vgpr2_vgpr3
                                        ; implicit-def: $vgpr4
.LBB14_6609:
	s_andn2_saveexec_b64 s[64:65], s[64:65]
	s_cbranch_execz .LBB14_6611
; %bb.6610:
	flat_store_dword v[2:3], v4
.LBB14_6611:
	s_or_b64 exec, exec, s[64:65]
                                        ; implicit-def: $vgpr4
                                        ; implicit-def: $vgpr2_vgpr3
.LBB14_6612:
	s_andn2_saveexec_b64 s[62:63], s[62:63]
	s_cbranch_execz .LBB14_6614
; %bb.6613:
	v_cvt_f16_f32_e32 v4, v4
	flat_store_short v[2:3], v4
.LBB14_6614:
	s_or_b64 exec, exec, s[62:63]
.LBB14_6615:
	s_or_b64 exec, exec, s[60:61]
                                        ; implicit-def: $vgpr4
                                        ; implicit-def: $vgpr2_vgpr3
.LBB14_6616:
	s_andn2_saveexec_b64 s[60:61], vcc
	s_cbranch_execz .LBB14_6634
; %bb.6617:
	v_mov_b32_e32 v5, 1
	v_cmp_gt_i16_sdwa vcc, v11, v5 src0_sel:BYTE_0 src1_sel:DWORD
	s_and_saveexec_b64 s[62:63], vcc
	s_xor_b64 s[62:63], exec, s[62:63]
	s_cbranch_execz .LBB14_6627
; %bb.6618:
	v_mov_b32_e32 v5, 2
	v_cmp_gt_i16_sdwa vcc, v11, v5 src0_sel:BYTE_0 src1_sel:DWORD
	s_and_saveexec_b64 s[64:65], vcc
	s_xor_b64 s[64:65], exec, s[64:65]
	;; [unrolled: 6-line block ×3, first 2 shown]
	s_cbranch_execz .LBB14_6621
; %bb.6620:
	v_trunc_f32_e32 v4, v4
	s_mov_b32 s68, 0x2f800000
	v_mul_f32_e64 v5, |v4|, s68
	v_floor_f32_e32 v5, v5
	s_mov_b32 s68, 0xcf800000
	v_cvt_u32_f32_e32 v50, v5
	v_fma_f32 v5, v5, s68, |v4|
	v_cvt_u32_f32_e32 v5, v5
	v_ashrrev_i32_e32 v51, 31, v4
	v_xor_b32_e32 v50, v50, v51
	v_xor_b32_e32 v4, v5, v51
	v_sub_co_u32_e32 v4, vcc, v4, v51
	v_subb_co_u32_e32 v5, vcc, v50, v51, vcc
	flat_store_dwordx2 v[2:3], v[4:5]
                                        ; implicit-def: $vgpr4
                                        ; implicit-def: $vgpr2_vgpr3
.LBB14_6621:
	s_andn2_saveexec_b64 vcc, s[66:67]
	s_cbranch_execz .LBB14_6623
; %bb.6622:
	v_cvt_i32_f32_e32 v4, v4
	flat_store_dword v[2:3], v4
.LBB14_6623:
	s_or_b64 exec, exec, vcc
                                        ; implicit-def: $vgpr4
                                        ; implicit-def: $vgpr2_vgpr3
.LBB14_6624:
	s_andn2_saveexec_b64 vcc, s[64:65]
	s_cbranch_execz .LBB14_6626
; %bb.6625:
	v_cvt_i32_f32_e32 v4, v4
	flat_store_short v[2:3], v4
.LBB14_6626:
	s_or_b64 exec, exec, vcc
                                        ; implicit-def: $vgpr4
                                        ; implicit-def: $vgpr2_vgpr3
.LBB14_6627:
	s_andn2_saveexec_b64 vcc, s[62:63]
	s_cbranch_execz .LBB14_6633
; %bb.6628:
	v_mov_b32_e32 v5, 0
	v_cmp_gt_i16_sdwa s[62:63], v11, v5 src0_sel:BYTE_0 src1_sel:DWORD
	s_and_saveexec_b64 s[64:65], s[62:63]
	s_xor_b64 s[62:63], exec, s[64:65]
	s_cbranch_execz .LBB14_6630
; %bb.6629:
	v_cvt_i32_f32_e32 v4, v4
	flat_store_byte v[2:3], v4
                                        ; implicit-def: $vgpr4
                                        ; implicit-def: $vgpr2_vgpr3
.LBB14_6630:
	s_andn2_saveexec_b64 s[62:63], s[62:63]
	s_cbranch_execz .LBB14_6632
; %bb.6631:
	v_trunc_f32_e32 v4, v4
	s_mov_b32 s64, 0x2f800000
	v_mul_f32_e64 v5, |v4|, s64
	v_floor_f32_e32 v5, v5
	s_mov_b32 s64, 0xcf800000
	v_fma_f32 v5, v5, s64, |v4|
	v_cvt_u32_f32_e32 v5, v5
	v_ashrrev_i32_e32 v4, 31, v4
	v_xor_b32_e32 v5, v5, v4
	v_sub_u32_e32 v4, v5, v4
	flat_store_byte v[2:3], v4
.LBB14_6632:
	s_or_b64 exec, exec, s[62:63]
.LBB14_6633:
	s_or_b64 exec, exec, vcc
.LBB14_6634:
	s_or_b64 exec, exec, s[60:61]
	s_or_b64 s[4:5], s[4:5], exec
	s_or_b64 exec, exec, s[54:55]
	s_mov_b64 vcc, 0
	s_and_saveexec_b64 s[54:55], s[4:5]
	s_cbranch_execnz .LBB14_3888
	s_branch .LBB14_3889
.LBB14_6635:
	v_bfe_u32 v5, v4, 21, 1
	s_mov_b32 s60, 0x88fffff
	v_add3_u32 v5, v4, v5, s60
	s_mov_b64 s[58:59], exec
	v_lshrrev_b32_e32 v5, 21, v5
	s_or_saveexec_b64 s[60:61], vcc
                                        ; implicit-def: $sgpr62
	s_xor_b64 exec, exec, s[60:61]
	s_cbranch_execz .LBB14_5800
.LBB14_6636:
	s_mov_b32 s62, 0x42800000
	v_add_f32_e64 v5, |v4|, s62
	v_and_b32_e32 v5, 0xff, v5
	v_cmp_ne_u32_e32 vcc, 0, v5
	s_andn2_b64 s[58:59], s[58:59], exec
	s_and_b64 vcc, vcc, exec
	s_mov_b32 s62, 0
	s_or_b64 s[58:59], s[58:59], vcc
	s_or_b64 exec, exec, s[60:61]
	v_mov_b32_e32 v70, s62
	s_and_saveexec_b64 vcc, s[58:59]
	s_cbranch_execnz .LBB14_5801
	s_branch .LBB14_5802
.LBB14_6637:
	v_bfe_u32 v5, v4, 20, 1
	s_mov_b32 s58, 0x487ffff
	v_add3_u32 v5, v4, v5, s58
	s_mov_b64 s[56:57], exec
	v_lshrrev_b32_e32 v5, 20, v5
	s_or_saveexec_b64 s[58:59], vcc
                                        ; implicit-def: $sgpr60
	s_xor_b64 exec, exec, s[58:59]
	s_cbranch_execz .LBB14_5913
.LBB14_6638:
	s_mov_b32 s60, 0x46000000
	v_add_f32_e64 v5, |v4|, s60
	v_and_b32_e32 v5, 0xff, v5
	v_cmp_ne_u32_e32 vcc, 0, v5
	s_andn2_b64 s[56:57], s[56:57], exec
	s_and_b64 vcc, vcc, exec
	s_mov_b32 s60, 0
	s_or_b64 s[56:57], s[56:57], vcc
	s_or_b64 exec, exec, s[58:59]
	v_mov_b32_e32 v68, s60
	s_and_saveexec_b64 vcc, s[56:57]
	s_cbranch_execnz .LBB14_5914
	s_branch .LBB14_5915
.LBB14_6639:
	v_mov_b32_e32 v5, 25
	v_cmp_gt_i16_sdwa vcc, v11, v5 src0_sel:BYTE_0 src1_sel:DWORD
	s_mov_b64 s[62:63], s[54:55]
	s_and_saveexec_b64 s[64:65], vcc
	s_xor_b64 s[64:65], exec, s[64:65]
	s_cbranch_execz .LBB14_6675
; %bb.6640:
	v_mov_b32_e32 v5, 28
	v_cmp_gt_i16_sdwa vcc, v11, v5 src0_sel:BYTE_0 src1_sel:DWORD
	s_mov_b64 s[66:67], s[54:55]
	s_and_saveexec_b64 s[62:63], vcc
	s_xor_b64 s[62:63], exec, s[62:63]
	s_cbranch_execz .LBB14_6658
; %bb.6641:
	v_mov_b32_e32 v5, 43
	v_cmp_gt_i16_sdwa s[66:67], v11, v5 src0_sel:BYTE_0 src1_sel:DWORD
	s_mov_b64 vcc, s[54:55]
	s_and_saveexec_b64 s[68:69], s[66:67]
	s_xor_b64 s[66:67], exec, s[68:69]
	s_cbranch_execz .LBB14_6653
; %bb.6642:
	v_mov_b32_e32 v5, 45
	v_cmp_gt_i16_sdwa s[4:5], v11, v5 src0_sel:BYTE_0 src1_sel:DWORD
	s_mov_b64 s[68:69], 0
	s_mov_b64 s[70:71], s[54:55]
	s_and_saveexec_b64 vcc, s[4:5]
	s_xor_b64 s[4:5], exec, vcc
	s_cbranch_execz .LBB14_6646
; %bb.6643:
	v_mov_b32_e32 v5, 46
	v_cmp_eq_u16_sdwa s[72:73], v11, v5 src0_sel:BYTE_0 src1_sel:DWORD
	s_mov_b64 vcc, -1
	s_and_saveexec_b64 s[70:71], s[72:73]
	s_cbranch_execz .LBB14_6645
; %bb.6644:
	v_bfe_u32 v5, v4, 16, 1
	s_movk_i32 vcc_lo, 0x7fff
	v_add3_u32 v5, v4, v5, vcc_lo
	v_lshrrev_b32_e32 v5, 16, v5
	v_mov_b32_e32 v48, 0x7fc0
	v_cmp_o_f32_e32 vcc, v4, v4
	v_cndmask_b32_e32 v4, v48, v5, vcc
	s_mov_b64 s[68:69], exec
	flat_store_dword v[2:3], v4
	s_xor_b64 vcc, exec, -1
.LBB14_6645:
	s_or_b64 exec, exec, s[70:71]
	s_andn2_b64 s[70:71], s[54:55], exec
	s_and_b64 vcc, vcc, exec
	s_or_b64 s[70:71], s[70:71], vcc
	s_and_b64 s[68:69], s[68:69], exec
                                        ; implicit-def: $vgpr2_vgpr3
                                        ; implicit-def: $vgpr4
.LBB14_6646:
	s_andn2_saveexec_b64 s[72:73], s[4:5]
	s_cbranch_execz .LBB14_6652
; %bb.6647:
	v_mov_b32_e32 v5, 44
	v_cmp_eq_u16_sdwa s[76:77], v11, v5 src0_sel:BYTE_0 src1_sel:DWORD
	s_mov_b64 vcc, -1
	s_mov_b64 s[4:5], s[68:69]
	s_and_saveexec_b64 s[74:75], s[76:77]
	s_cbranch_execz .LBB14_6651
; %bb.6648:
	v_bfe_u32 v5, v4, 23, 8
	s_movk_i32 s4, 0xff
	v_cmp_ne_u32_e32 vcc, s4, v5
	v_mov_b32_e32 v48, 0xff
	s_and_saveexec_b64 s[76:77], vcc
; %bb.6649:
	s_mov_b32 s4, 0x3fffff
	v_lshrrev_b32_e32 v48, 23, v4
	v_and_b32_e32 v49, 0x400000, v4
	v_and_or_b32 v4, v4, s4, v5
	v_cmp_ne_u32_e32 vcc, 0, v49
	v_cmp_ne_u32_e64 s[4:5], 0, v4
	s_and_b64 s[4:5], vcc, s[4:5]
	v_cndmask_b32_e64 v4, 0, 1, s[4:5]
	v_add_u32_e32 v48, v48, v4
; %bb.6650:
	s_or_b64 exec, exec, s[76:77]
	s_xor_b64 vcc, exec, -1
	s_or_b64 s[4:5], s[68:69], exec
	flat_store_byte v[2:3], v48
.LBB14_6651:
	s_or_b64 exec, exec, s[74:75]
	s_andn2_b64 s[70:71], s[70:71], exec
	s_and_b64 vcc, vcc, exec
	s_or_b64 s[70:71], s[70:71], vcc
	s_andn2_b64 vcc, s[68:69], exec
	s_and_b64 s[4:5], s[4:5], exec
	s_or_b64 s[68:69], vcc, s[4:5]
.LBB14_6652:
	s_or_b64 exec, exec, s[72:73]
	s_andn2_b64 s[4:5], s[54:55], exec
	s_and_b64 vcc, s[70:71], exec
	s_or_b64 vcc, s[4:5], vcc
	s_and_b64 s[4:5], s[68:69], exec
                                        ; implicit-def: $vgpr4
                                        ; implicit-def: $vgpr2_vgpr3
.LBB14_6653:
	s_andn2_saveexec_b64 s[66:67], s[66:67]
	s_cbranch_execz .LBB14_6657
; %bb.6654:
	v_mov_b32_e32 v5, 29
	v_cmp_eq_u16_sdwa s[74:75], v11, v5 src0_sel:BYTE_0 src1_sel:DWORD
	s_mov_b64 s[72:73], -1
	s_mov_b64 s[70:71], s[4:5]
	s_and_saveexec_b64 s[68:69], s[74:75]
	s_cbranch_execz .LBB14_6656
; %bb.6655:
	v_trunc_f32_e32 v4, v4
	v_mul_f32_e32 v5, 0x2f800000, v4
	v_floor_f32_e32 v48, v5
	v_fmac_f32_e32 v4, 0xcf800000, v48
	v_cvt_u32_f32_e32 v5, v48
	v_cvt_u32_f32_e32 v4, v4
	s_xor_b64 s[72:73], exec, -1
	s_or_b64 s[70:71], s[4:5], exec
	flat_store_dwordx2 v[2:3], v[4:5]
.LBB14_6656:
	s_or_b64 exec, exec, s[68:69]
	s_andn2_b64 vcc, vcc, exec
	s_and_b64 s[68:69], s[72:73], exec
	s_or_b64 vcc, vcc, s[68:69]
	s_andn2_b64 s[4:5], s[4:5], exec
	s_and_b64 s[68:69], s[70:71], exec
	s_or_b64 s[4:5], s[4:5], s[68:69]
.LBB14_6657:
	s_or_b64 exec, exec, s[66:67]
	s_andn2_b64 s[66:67], s[54:55], exec
	s_and_b64 vcc, vcc, exec
	s_or_b64 s[66:67], s[66:67], vcc
	s_and_b64 s[4:5], s[4:5], exec
                                        ; implicit-def: $vgpr2_vgpr3
                                        ; implicit-def: $vgpr4
.LBB14_6658:
	s_andn2_saveexec_b64 s[62:63], s[62:63]
	s_cbranch_execz .LBB14_6674
; %bb.6659:
	v_mov_b32_e32 v5, 26
	v_cmp_gt_i16_sdwa vcc, v11, v5 src0_sel:BYTE_0 src1_sel:DWORD
	s_and_saveexec_b64 s[68:69], vcc
	s_xor_b64 vcc, exec, s[68:69]
	s_cbranch_execz .LBB14_6665
; %bb.6660:
	v_cvt_u32_f32_e32 v4, v4
	v_mov_b32_e32 v5, 27
	v_cmp_gt_i16_sdwa s[68:69], v11, v5 src0_sel:BYTE_0 src1_sel:DWORD
	s_and_saveexec_b64 s[70:71], s[68:69]
	s_xor_b64 s[68:69], exec, s[70:71]
	s_cbranch_execz .LBB14_6662
; %bb.6661:
	flat_store_dword v[2:3], v4
                                        ; implicit-def: $vgpr2_vgpr3
                                        ; implicit-def: $vgpr4
.LBB14_6662:
	s_andn2_saveexec_b64 s[68:69], s[68:69]
	s_cbranch_execz .LBB14_6664
; %bb.6663:
	flat_store_short v[2:3], v4
.LBB14_6664:
	s_or_b64 exec, exec, s[68:69]
                                        ; implicit-def: $vgpr2_vgpr3
                                        ; implicit-def: $vgpr4
.LBB14_6665:
	s_andn2_saveexec_b64 s[68:69], vcc
	s_cbranch_execz .LBB14_6673
; %bb.6666:
	v_and_b32_e32 v5, 0x7fffffff, v4
	s_mov_b32 vcc_lo, 0x43800000
	v_cmp_gt_u32_e32 vcc, vcc_lo, v5
	v_mov_b32_e32 v48, 0x80
	s_and_saveexec_b64 s[70:71], vcc
	s_cbranch_execz .LBB14_6672
; %bb.6667:
	s_mov_b32 vcc_lo, 0x3bffffff
	v_cmp_lt_u32_e32 vcc, vcc_lo, v5
	s_mov_b64 s[72:73], 0
                                        ; implicit-def: $vgpr5
	s_and_saveexec_b64 s[74:75], vcc
	s_xor_b64 vcc, exec, s[74:75]
	s_cbranch_execnz .LBB14_7393
; %bb.6668:
	s_or_saveexec_b64 s[74:75], vcc
                                        ; implicit-def: $sgpr76
	s_xor_b64 exec, exec, s[74:75]
	s_cbranch_execnz .LBB14_7394
.LBB14_6669:
	s_or_b64 exec, exec, s[74:75]
	v_mov_b32_e32 v48, s76
	s_and_saveexec_b64 vcc, s[72:73]
.LBB14_6670:
	v_lshrrev_b32_e32 v4, 24, v4
	s_movk_i32 s72, 0x80
	v_and_or_b32 v48, v4, s72, v5
.LBB14_6671:
	s_or_b64 exec, exec, vcc
.LBB14_6672:
	s_or_b64 exec, exec, s[70:71]
	flat_store_byte v[2:3], v48
.LBB14_6673:
	s_or_b64 exec, exec, s[68:69]
	s_or_b64 s[4:5], s[4:5], exec
.LBB14_6674:
	s_or_b64 exec, exec, s[62:63]
	s_andn2_b64 vcc, s[54:55], exec
	s_and_b64 s[62:63], s[66:67], exec
	s_or_b64 s[62:63], vcc, s[62:63]
	s_and_b64 s[4:5], s[4:5], exec
                                        ; implicit-def: $vgpr4
                                        ; implicit-def: $vgpr2_vgpr3
.LBB14_6675:
	s_andn2_saveexec_b64 s[64:65], s[64:65]
	s_cbranch_execz .LBB14_6719
; %bb.6676:
	v_mov_b32_e32 v5, 22
	v_cmp_gt_i16_sdwa vcc, v11, v5 src0_sel:BYTE_0 src1_sel:DWORD
	s_mov_b64 s[68:69], s[4:5]
	s_and_saveexec_b64 s[66:67], vcc
	s_xor_b64 s[66:67], exec, s[66:67]
	s_cbranch_execz .LBB14_6708
; %bb.6677:
	v_mov_b32_e32 v5, 23
	v_cmp_gt_i16_sdwa vcc, v11, v5 src0_sel:BYTE_0 src1_sel:DWORD
	s_and_saveexec_b64 s[68:69], vcc
	s_xor_b64 s[68:69], exec, s[68:69]
	s_cbranch_execz .LBB14_6697
; %bb.6678:
	v_mov_b32_e32 v5, 24
	v_cmp_gt_i16_sdwa vcc, v11, v5 src0_sel:BYTE_0 src1_sel:DWORD
	s_and_saveexec_b64 s[70:71], vcc
	s_xor_b64 s[70:71], exec, s[70:71]
	s_cbranch_execz .LBB14_6686
; %bb.6679:
	v_and_b32_e32 v5, 0x7fffffff, v4
	s_mov_b32 vcc_lo, 0x47800000
	v_cmp_gt_u32_e32 vcc, vcc_lo, v5
	v_mov_b32_e32 v48, 0x80
	s_and_saveexec_b64 s[72:73], vcc
	s_cbranch_execz .LBB14_6685
; %bb.6680:
	s_mov_b32 vcc_lo, 0x37ffffff
	v_cmp_lt_u32_e32 vcc, vcc_lo, v5
	s_mov_b64 s[74:75], 0
                                        ; implicit-def: $vgpr5
	s_and_saveexec_b64 s[76:77], vcc
	s_xor_b64 vcc, exec, s[76:77]
	s_cbranch_execnz .LBB14_7517
; %bb.6681:
	s_or_saveexec_b64 s[76:77], vcc
                                        ; implicit-def: $sgpr78
	s_xor_b64 exec, exec, s[76:77]
	s_cbranch_execnz .LBB14_7518
.LBB14_6682:
	s_or_b64 exec, exec, s[76:77]
	v_mov_b32_e32 v48, s78
	s_and_saveexec_b64 vcc, s[74:75]
.LBB14_6683:
	v_lshrrev_b32_e32 v4, 24, v4
	s_movk_i32 s74, 0x80
	v_and_or_b32 v48, v4, s74, v5
.LBB14_6684:
	s_or_b64 exec, exec, vcc
.LBB14_6685:
	s_or_b64 exec, exec, s[72:73]
	flat_store_byte v[2:3], v48
                                        ; implicit-def: $vgpr4
                                        ; implicit-def: $vgpr2_vgpr3
.LBB14_6686:
	s_andn2_saveexec_b64 s[70:71], s[70:71]
	s_cbranch_execz .LBB14_6696
; %bb.6687:
	v_and_b32_e32 v48, 0x7fffffff, v4
	s_mov_b32 vcc_lo, 0x43f00000
	v_cmp_gt_u32_e32 vcc, vcc_lo, v48
                                        ; implicit-def: $vgpr5
	s_and_saveexec_b64 s[72:73], vcc
	s_xor_b64 s[72:73], exec, s[72:73]
	s_cbranch_execz .LBB14_6693
; %bb.6688:
	s_mov_b32 vcc_lo, 0x3c7fffff
	v_cmp_lt_u32_e32 vcc, vcc_lo, v48
                                        ; implicit-def: $vgpr5
	s_and_saveexec_b64 s[74:75], vcc
	s_xor_b64 s[74:75], exec, s[74:75]
; %bb.6689:
	v_bfe_u32 v5, v4, 20, 1
	s_mov_b32 vcc_lo, 0x407ffff
	v_add3_u32 v5, v4, v5, vcc_lo
	v_lshrrev_b32_e32 v48, 20, v5
	v_and_b32_e32 v5, 0xff00000, v5
	s_mov_b32 vcc_lo, 0x7f00000
	v_mov_b32_e32 v49, 0x7e
	v_cmp_ne_u32_e32 vcc, vcc_lo, v5
	v_cndmask_b32_e32 v5, v49, v48, vcc
; %bb.6690:
	s_andn2_saveexec_b64 vcc, s[74:75]
; %bb.6691:
	s_mov_b32 s74, 0x46800000
	v_add_f32_e64 v5, |v4|, s74
; %bb.6692:
	s_or_b64 exec, exec, vcc
                                        ; implicit-def: $vgpr48
.LBB14_6693:
	s_andn2_saveexec_b64 s[72:73], s[72:73]
; %bb.6694:
	s_mov_b32 vcc_lo, 0x7f800000
	v_mov_b32_e32 v5, 0x7e
	v_mov_b32_e32 v49, 0x7f
	v_cmp_lt_u32_e32 vcc, vcc_lo, v48
	v_cndmask_b32_e32 v5, v5, v49, vcc
; %bb.6695:
	s_or_b64 exec, exec, s[72:73]
	v_lshrrev_b32_e32 v4, 24, v4
	s_movk_i32 vcc_lo, 0x80
	v_and_or_b32 v4, v4, vcc_lo, v5
	flat_store_byte v[2:3], v4
.LBB14_6696:
	s_or_b64 exec, exec, s[70:71]
                                        ; implicit-def: $vgpr4
                                        ; implicit-def: $vgpr2_vgpr3
.LBB14_6697:
	s_andn2_saveexec_b64 s[68:69], s[68:69]
	s_cbranch_execz .LBB14_6707
; %bb.6698:
	v_and_b32_e32 v48, 0x7fffffff, v4
	s_mov_b32 vcc_lo, 0x47800000
	v_cmp_gt_u32_e32 vcc, vcc_lo, v48
                                        ; implicit-def: $vgpr5
	s_and_saveexec_b64 s[70:71], vcc
	s_xor_b64 s[70:71], exec, s[70:71]
	s_cbranch_execz .LBB14_6704
; %bb.6699:
	s_mov_b32 vcc_lo, 0x387fffff
	v_cmp_lt_u32_e32 vcc, vcc_lo, v48
                                        ; implicit-def: $vgpr5
	s_and_saveexec_b64 s[72:73], vcc
	s_xor_b64 vcc, exec, s[72:73]
; %bb.6700:
	v_bfe_u32 v5, v4, 21, 1
	s_mov_b32 s72, 0x80fffff
	v_add3_u32 v5, v4, v5, s72
	v_lshrrev_b32_e32 v5, 21, v5
; %bb.6701:
	s_andn2_saveexec_b64 vcc, vcc
; %bb.6702:
	s_mov_b32 s72, 0x43000000
	v_add_f32_e64 v5, |v4|, s72
; %bb.6703:
	s_or_b64 exec, exec, vcc
                                        ; implicit-def: $vgpr48
.LBB14_6704:
	s_andn2_saveexec_b64 s[70:71], s[70:71]
; %bb.6705:
	s_mov_b32 vcc_lo, 0x7f800000
	v_mov_b32_e32 v5, 0x7c
	v_mov_b32_e32 v49, 0x7f
	v_cmp_lt_u32_e32 vcc, vcc_lo, v48
	v_cndmask_b32_e32 v5, v5, v49, vcc
; %bb.6706:
	s_or_b64 exec, exec, s[70:71]
	v_lshrrev_b32_e32 v4, 24, v4
	s_movk_i32 vcc_lo, 0x80
	v_and_or_b32 v4, v4, vcc_lo, v5
	flat_store_byte v[2:3], v4
.LBB14_6707:
	s_or_b64 exec, exec, s[68:69]
	s_or_b64 s[68:69], s[4:5], exec
                                        ; implicit-def: $vgpr4
                                        ; implicit-def: $vgpr2_vgpr3
.LBB14_6708:
	s_or_saveexec_b64 s[66:67], s[66:67]
	s_mov_b64 vcc, s[62:63]
	s_xor_b64 exec, exec, s[66:67]
	s_cbranch_execz .LBB14_6718
; %bb.6709:
	v_mov_b32_e32 v5, 14
	v_cmp_gt_i16_sdwa vcc, v11, v5 src0_sel:BYTE_0 src1_sel:DWORD
	s_mov_b64 s[70:71], s[68:69]
	s_mov_b64 s[72:73], s[62:63]
	s_and_saveexec_b64 s[74:75], vcc
	s_xor_b64 s[74:75], exec, s[74:75]
	s_cbranch_execz .LBB14_6713
; %bb.6710:
	v_mov_b32_e32 v5, 15
	v_cmp_eq_u16_sdwa s[76:77], v11, v5 src0_sel:BYTE_0 src1_sel:DWORD
	s_mov_b64 s[72:73], -1
	s_mov_b64 vcc, s[68:69]
	s_and_saveexec_b64 s[70:71], s[76:77]
	s_cbranch_execz .LBB14_6712
; %bb.6711:
	v_bfe_u32 v5, v4, 16, 1
	s_movk_i32 vcc_lo, 0x7fff
	v_add3_u32 v5, v4, v5, vcc_lo
	v_lshrrev_b32_e32 v5, 16, v5
	v_mov_b32_e32 v48, 0x7fc0
	v_cmp_o_f32_e32 vcc, v4, v4
	v_cndmask_b32_e32 v4, v48, v5, vcc
	flat_store_short v[2:3], v4
	s_xor_b64 s[72:73], exec, -1
	s_or_b64 vcc, s[68:69], exec
.LBB14_6712:
	s_or_b64 exec, exec, s[70:71]
	s_andn2_b64 s[70:71], s[62:63], exec
	s_and_b64 s[72:73], s[72:73], exec
	s_or_b64 s[72:73], s[70:71], s[72:73]
	s_andn2_b64 s[70:71], s[68:69], exec
	s_and_b64 vcc, vcc, exec
	s_or_b64 s[70:71], s[70:71], vcc
                                        ; implicit-def: $vgpr4
                                        ; implicit-def: $vgpr2_vgpr3
.LBB14_6713:
	s_andn2_saveexec_b64 s[74:75], s[74:75]
	s_cbranch_execz .LBB14_6717
; %bb.6714:
	v_mov_b32_e32 v5, 11
	v_cmp_eq_u16_sdwa s[80:81], v11, v5 src0_sel:BYTE_0 src1_sel:DWORD
	s_mov_b64 s[76:77], -1
	s_mov_b64 vcc, s[70:71]
	s_and_saveexec_b64 s[78:79], s[80:81]
	s_cbranch_execz .LBB14_6716
; %bb.6715:
	v_cmp_neq_f32_e32 vcc, 0, v4
	v_cndmask_b32_e64 v4, 0, 1, vcc
	flat_store_byte v[2:3], v4
	s_xor_b64 s[76:77], exec, -1
	s_or_b64 vcc, s[70:71], exec
.LBB14_6716:
	s_or_b64 exec, exec, s[78:79]
	s_andn2_b64 s[72:73], s[72:73], exec
	s_and_b64 s[76:77], s[76:77], exec
	s_andn2_b64 s[70:71], s[70:71], exec
	s_and_b64 vcc, vcc, exec
	s_or_b64 s[72:73], s[72:73], s[76:77]
	s_or_b64 s[70:71], s[70:71], vcc
.LBB14_6717:
	s_or_b64 exec, exec, s[74:75]
	s_andn2_b64 vcc, s[62:63], exec
	s_and_b64 s[72:73], s[72:73], exec
	s_andn2_b64 s[68:69], s[68:69], exec
	s_and_b64 s[70:71], s[70:71], exec
	s_or_b64 vcc, vcc, s[72:73]
	s_or_b64 s[68:69], s[68:69], s[70:71]
.LBB14_6718:
	s_or_b64 exec, exec, s[66:67]
	s_andn2_b64 s[62:63], s[62:63], exec
	s_and_b64 vcc, vcc, exec
	s_or_b64 s[62:63], s[62:63], vcc
	s_andn2_b64 s[4:5], s[4:5], exec
	s_and_b64 vcc, s[68:69], exec
	s_or_b64 s[4:5], s[4:5], vcc
.LBB14_6719:
	s_or_b64 exec, exec, s[64:65]
	s_andn2_b64 vcc, s[54:55], exec
	s_and_b64 s[62:63], s[62:63], exec
	s_or_b64 s[62:63], vcc, s[62:63]
	s_and_b64 s[4:5], s[4:5], exec
                                        ; implicit-def: $vgpr4
                                        ; implicit-def: $vgpr2_vgpr3
	s_andn2_saveexec_b64 s[58:59], s[58:59]
	s_cbranch_execz .LBB14_3894
.LBB14_6720:
	v_mov_b32_e32 v5, 4
	v_cmp_gt_i16_sdwa vcc, v11, v5 src0_sel:BYTE_0 src1_sel:DWORD
	s_and_saveexec_b64 s[64:65], vcc
	s_xor_b64 vcc, exec, s[64:65]
	s_cbranch_execz .LBB14_6742
; %bb.6721:
	v_mov_b32_e32 v5, 7
	v_cmp_gt_i16_sdwa s[64:65], v11, v5 src0_sel:BYTE_0 src1_sel:DWORD
	s_and_saveexec_b64 s[66:67], s[64:65]
	s_xor_b64 s[64:65], exec, s[66:67]
	s_cbranch_execz .LBB14_6731
; %bb.6722:
	v_mov_b32_e32 v5, 8
	v_cmp_gt_i16_sdwa s[66:67], v11, v5 src0_sel:BYTE_0 src1_sel:DWORD
	s_and_saveexec_b64 s[68:69], s[66:67]
	s_xor_b64 s[66:67], exec, s[68:69]
	s_cbranch_execz .LBB14_6728
; %bb.6723:
	v_mov_b32_e32 v5, 9
	v_cmp_gt_i16_sdwa s[68:69], v11, v5 src0_sel:BYTE_0 src1_sel:DWORD
	s_and_saveexec_b64 s[70:71], s[68:69]
	s_xor_b64 s[68:69], exec, s[70:71]
	s_cbranch_execz .LBB14_6725
; %bb.6724:
	v_mov_b32_e32 v50, 0
	v_cvt_f64_f32_e32 v[48:49], v4
	v_mov_b32_e32 v51, v50
	flat_store_dwordx4 v[2:3], v[48:51]
                                        ; implicit-def: $vgpr4
                                        ; implicit-def: $vgpr2_vgpr3
.LBB14_6725:
	s_andn2_saveexec_b64 s[68:69], s[68:69]
	s_cbranch_execz .LBB14_6727
; %bb.6726:
	v_mov_b32_e32 v5, 0
	flat_store_dwordx2 v[2:3], v[4:5]
.LBB14_6727:
	s_or_b64 exec, exec, s[68:69]
                                        ; implicit-def: $vgpr4
                                        ; implicit-def: $vgpr2_vgpr3
.LBB14_6728:
	s_andn2_saveexec_b64 s[66:67], s[66:67]
	s_cbranch_execz .LBB14_6730
; %bb.6729:
	v_cvt_f16_f32_e32 v4, v4
	flat_store_dword v[2:3], v4
.LBB14_6730:
	s_or_b64 exec, exec, s[66:67]
                                        ; implicit-def: $vgpr4
                                        ; implicit-def: $vgpr2_vgpr3
.LBB14_6731:
	s_andn2_saveexec_b64 s[64:65], s[64:65]
	s_cbranch_execz .LBB14_6741
; %bb.6732:
	v_mov_b32_e32 v5, 5
	v_cmp_gt_i16_sdwa s[66:67], v11, v5 src0_sel:BYTE_0 src1_sel:DWORD
	s_and_saveexec_b64 s[68:69], s[66:67]
	s_xor_b64 s[66:67], exec, s[68:69]
	s_cbranch_execz .LBB14_6738
; %bb.6733:
	v_mov_b32_e32 v5, 6
	v_cmp_gt_i16_sdwa s[68:69], v11, v5 src0_sel:BYTE_0 src1_sel:DWORD
	s_and_saveexec_b64 s[70:71], s[68:69]
	s_xor_b64 s[68:69], exec, s[70:71]
	s_cbranch_execz .LBB14_6735
; %bb.6734:
	v_cvt_f64_f32_e32 v[4:5], v4
	flat_store_dwordx2 v[2:3], v[4:5]
                                        ; implicit-def: $vgpr2_vgpr3
                                        ; implicit-def: $vgpr4
.LBB14_6735:
	s_andn2_saveexec_b64 s[68:69], s[68:69]
	s_cbranch_execz .LBB14_6737
; %bb.6736:
	flat_store_dword v[2:3], v4
.LBB14_6737:
	s_or_b64 exec, exec, s[68:69]
                                        ; implicit-def: $vgpr4
                                        ; implicit-def: $vgpr2_vgpr3
.LBB14_6738:
	s_andn2_saveexec_b64 s[66:67], s[66:67]
	s_cbranch_execz .LBB14_6740
; %bb.6739:
	v_cvt_f16_f32_e32 v4, v4
	flat_store_short v[2:3], v4
.LBB14_6740:
	s_or_b64 exec, exec, s[66:67]
.LBB14_6741:
	s_or_b64 exec, exec, s[64:65]
                                        ; implicit-def: $vgpr4
                                        ; implicit-def: $vgpr2_vgpr3
.LBB14_6742:
	s_andn2_saveexec_b64 s[64:65], vcc
	s_cbranch_execz .LBB14_6760
; %bb.6743:
	v_mov_b32_e32 v5, 1
	v_cmp_gt_i16_sdwa vcc, v11, v5 src0_sel:BYTE_0 src1_sel:DWORD
	s_and_saveexec_b64 s[66:67], vcc
	s_xor_b64 s[66:67], exec, s[66:67]
	s_cbranch_execz .LBB14_6753
; %bb.6744:
	v_mov_b32_e32 v5, 2
	v_cmp_gt_i16_sdwa vcc, v11, v5 src0_sel:BYTE_0 src1_sel:DWORD
	s_and_saveexec_b64 s[68:69], vcc
	s_xor_b64 s[68:69], exec, s[68:69]
	;; [unrolled: 6-line block ×3, first 2 shown]
	s_cbranch_execz .LBB14_6747
; %bb.6746:
	v_trunc_f32_e32 v4, v4
	s_mov_b32 s72, 0x2f800000
	v_mul_f32_e64 v5, |v4|, s72
	v_floor_f32_e32 v5, v5
	s_mov_b32 s72, 0xcf800000
	v_cvt_u32_f32_e32 v48, v5
	v_fma_f32 v5, v5, s72, |v4|
	v_cvt_u32_f32_e32 v5, v5
	v_ashrrev_i32_e32 v49, 31, v4
	v_xor_b32_e32 v48, v48, v49
	v_xor_b32_e32 v4, v5, v49
	v_sub_co_u32_e32 v4, vcc, v4, v49
	v_subb_co_u32_e32 v5, vcc, v48, v49, vcc
	flat_store_dwordx2 v[2:3], v[4:5]
                                        ; implicit-def: $vgpr4
                                        ; implicit-def: $vgpr2_vgpr3
.LBB14_6747:
	s_andn2_saveexec_b64 vcc, s[70:71]
	s_cbranch_execz .LBB14_6749
; %bb.6748:
	v_cvt_i32_f32_e32 v4, v4
	flat_store_dword v[2:3], v4
.LBB14_6749:
	s_or_b64 exec, exec, vcc
                                        ; implicit-def: $vgpr4
                                        ; implicit-def: $vgpr2_vgpr3
.LBB14_6750:
	s_andn2_saveexec_b64 vcc, s[68:69]
	s_cbranch_execz .LBB14_6752
; %bb.6751:
	v_cvt_i32_f32_e32 v4, v4
	flat_store_short v[2:3], v4
.LBB14_6752:
	s_or_b64 exec, exec, vcc
                                        ; implicit-def: $vgpr4
                                        ; implicit-def: $vgpr2_vgpr3
.LBB14_6753:
	s_andn2_saveexec_b64 vcc, s[66:67]
	s_cbranch_execz .LBB14_6759
; %bb.6754:
	v_mov_b32_e32 v5, 0
	v_cmp_gt_i16_sdwa s[66:67], v11, v5 src0_sel:BYTE_0 src1_sel:DWORD
	s_and_saveexec_b64 s[68:69], s[66:67]
	s_xor_b64 s[66:67], exec, s[68:69]
	s_cbranch_execz .LBB14_6756
; %bb.6755:
	v_cvt_i32_f32_e32 v4, v4
	flat_store_byte v[2:3], v4
                                        ; implicit-def: $vgpr4
                                        ; implicit-def: $vgpr2_vgpr3
.LBB14_6756:
	s_andn2_saveexec_b64 s[66:67], s[66:67]
	s_cbranch_execz .LBB14_6758
; %bb.6757:
	v_trunc_f32_e32 v4, v4
	s_mov_b32 s68, 0x2f800000
	v_mul_f32_e64 v5, |v4|, s68
	v_floor_f32_e32 v5, v5
	s_mov_b32 s68, 0xcf800000
	v_fma_f32 v5, v5, s68, |v4|
	v_cvt_u32_f32_e32 v5, v5
	v_ashrrev_i32_e32 v4, 31, v4
	v_xor_b32_e32 v5, v5, v4
	v_sub_u32_e32 v4, v5, v4
	flat_store_byte v[2:3], v4
.LBB14_6758:
	s_or_b64 exec, exec, s[66:67]
.LBB14_6759:
	s_or_b64 exec, exec, vcc
.LBB14_6760:
	s_or_b64 exec, exec, s[64:65]
	s_or_b64 s[4:5], s[4:5], exec
	s_or_b64 exec, exec, s[58:59]
	s_mov_b64 vcc, 0
	s_and_saveexec_b64 s[58:59], s[4:5]
	s_cbranch_execnz .LBB14_3895
	s_branch .LBB14_3896
.LBB14_6761:
	v_bfe_u32 v5, v4, 21, 1
	s_mov_b32 s60, 0x88fffff
	v_add3_u32 v5, v4, v5, s60
	s_mov_b64 s[58:59], exec
	v_lshrrev_b32_e32 v5, 21, v5
	s_or_saveexec_b64 s[60:61], vcc
                                        ; implicit-def: $sgpr62
	s_xor_b64 exec, exec, s[60:61]
	s_cbranch_execz .LBB14_5926
.LBB14_6762:
	s_mov_b32 s62, 0x42800000
	v_add_f32_e64 v5, |v4|, s62
	v_and_b32_e32 v5, 0xff, v5
	v_cmp_ne_u32_e32 vcc, 0, v5
	s_andn2_b64 s[58:59], s[58:59], exec
	s_and_b64 vcc, vcc, exec
	s_mov_b32 s62, 0
	s_or_b64 s[58:59], s[58:59], vcc
	s_or_b64 exec, exec, s[60:61]
	v_mov_b32_e32 v68, s62
	s_and_saveexec_b64 vcc, s[58:59]
	s_cbranch_execnz .LBB14_5927
	s_branch .LBB14_5928
.LBB14_6763:
	v_bfe_u32 v5, v4, 20, 1
	s_mov_b32 s58, 0x487ffff
	v_add3_u32 v5, v4, v5, s58
	s_mov_b64 s[56:57], exec
	v_lshrrev_b32_e32 v5, 20, v5
	s_or_saveexec_b64 s[58:59], vcc
                                        ; implicit-def: $sgpr60
	s_xor_b64 exec, exec, s[58:59]
	s_cbranch_execz .LBB14_6039
.LBB14_6764:
	s_mov_b32 s60, 0x46000000
	v_add_f32_e64 v5, |v4|, s60
	v_and_b32_e32 v5, 0xff, v5
	v_cmp_ne_u32_e32 vcc, 0, v5
	s_andn2_b64 s[56:57], s[56:57], exec
	s_and_b64 vcc, vcc, exec
	s_mov_b32 s60, 0
	s_or_b64 s[56:57], s[56:57], vcc
	s_or_b64 exec, exec, s[58:59]
	v_mov_b32_e32 v66, s60
	s_and_saveexec_b64 vcc, s[56:57]
	s_cbranch_execnz .LBB14_6040
	s_branch .LBB14_6041
.LBB14_6765:
	v_mov_b32_e32 v5, 25
	v_cmp_gt_i16_sdwa vcc, v11, v5 src0_sel:BYTE_0 src1_sel:DWORD
	s_mov_b64 s[66:67], s[58:59]
	s_and_saveexec_b64 s[68:69], vcc
	s_xor_b64 s[68:69], exec, s[68:69]
	s_cbranch_execz .LBB14_6801
; %bb.6766:
	v_mov_b32_e32 v5, 28
	v_cmp_gt_i16_sdwa vcc, v11, v5 src0_sel:BYTE_0 src1_sel:DWORD
	s_mov_b64 s[70:71], s[58:59]
	s_and_saveexec_b64 s[66:67], vcc
	s_xor_b64 s[66:67], exec, s[66:67]
	s_cbranch_execz .LBB14_6784
; %bb.6767:
	v_mov_b32_e32 v5, 43
	v_cmp_gt_i16_sdwa s[70:71], v11, v5 src0_sel:BYTE_0 src1_sel:DWORD
	s_mov_b64 vcc, s[58:59]
	s_and_saveexec_b64 s[72:73], s[70:71]
	s_xor_b64 s[70:71], exec, s[72:73]
	s_cbranch_execz .LBB14_6779
; %bb.6768:
	v_mov_b32_e32 v5, 45
	v_cmp_gt_i16_sdwa s[4:5], v11, v5 src0_sel:BYTE_0 src1_sel:DWORD
	s_mov_b64 s[72:73], 0
	s_mov_b64 s[74:75], s[58:59]
	s_and_saveexec_b64 vcc, s[4:5]
	s_xor_b64 s[4:5], exec, vcc
	s_cbranch_execz .LBB14_6772
; %bb.6769:
	v_mov_b32_e32 v5, 46
	v_cmp_eq_u16_sdwa s[76:77], v11, v5 src0_sel:BYTE_0 src1_sel:DWORD
	s_mov_b64 vcc, -1
	s_and_saveexec_b64 s[74:75], s[76:77]
	s_cbranch_execz .LBB14_6771
; %bb.6770:
	v_bfe_u32 v5, v4, 16, 1
	s_movk_i32 vcc_lo, 0x7fff
	v_add3_u32 v5, v4, v5, vcc_lo
	v_lshrrev_b32_e32 v5, 16, v5
	v_mov_b32_e32 v38, 0x7fc0
	v_cmp_o_f32_e32 vcc, v4, v4
	v_cndmask_b32_e32 v4, v38, v5, vcc
	s_mov_b64 s[72:73], exec
	flat_store_dword v[2:3], v4
	s_xor_b64 vcc, exec, -1
.LBB14_6771:
	s_or_b64 exec, exec, s[74:75]
	s_andn2_b64 s[74:75], s[58:59], exec
	s_and_b64 vcc, vcc, exec
	s_or_b64 s[74:75], s[74:75], vcc
	s_and_b64 s[72:73], s[72:73], exec
                                        ; implicit-def: $vgpr2_vgpr3
                                        ; implicit-def: $vgpr4
.LBB14_6772:
	s_andn2_saveexec_b64 s[76:77], s[4:5]
	s_cbranch_execz .LBB14_6778
; %bb.6773:
	v_mov_b32_e32 v5, 44
	v_cmp_eq_u16_sdwa s[80:81], v11, v5 src0_sel:BYTE_0 src1_sel:DWORD
	s_mov_b64 vcc, -1
	s_mov_b64 s[4:5], s[72:73]
	s_and_saveexec_b64 s[78:79], s[80:81]
	s_cbranch_execz .LBB14_6777
; %bb.6774:
	v_bfe_u32 v5, v4, 23, 8
	s_movk_i32 s4, 0xff
	v_cmp_ne_u32_e32 vcc, s4, v5
	v_mov_b32_e32 v38, 0xff
	s_and_saveexec_b64 s[80:81], vcc
; %bb.6775:
	s_mov_b32 s4, 0x3fffff
	v_lshrrev_b32_e32 v38, 23, v4
	v_and_b32_e32 v39, 0x400000, v4
	v_and_or_b32 v4, v4, s4, v5
	v_cmp_ne_u32_e32 vcc, 0, v39
	v_cmp_ne_u32_e64 s[4:5], 0, v4
	s_and_b64 s[4:5], vcc, s[4:5]
	v_cndmask_b32_e64 v4, 0, 1, s[4:5]
	v_add_u32_e32 v38, v38, v4
; %bb.6776:
	s_or_b64 exec, exec, s[80:81]
	s_xor_b64 vcc, exec, -1
	s_or_b64 s[4:5], s[72:73], exec
	flat_store_byte v[2:3], v38
.LBB14_6777:
	s_or_b64 exec, exec, s[78:79]
	s_andn2_b64 s[74:75], s[74:75], exec
	s_and_b64 vcc, vcc, exec
	s_or_b64 s[74:75], s[74:75], vcc
	s_andn2_b64 vcc, s[72:73], exec
	s_and_b64 s[4:5], s[4:5], exec
	s_or_b64 s[72:73], vcc, s[4:5]
.LBB14_6778:
	s_or_b64 exec, exec, s[76:77]
	s_andn2_b64 s[4:5], s[58:59], exec
	s_and_b64 vcc, s[74:75], exec
	s_or_b64 vcc, s[4:5], vcc
	s_and_b64 s[4:5], s[72:73], exec
                                        ; implicit-def: $vgpr4
                                        ; implicit-def: $vgpr2_vgpr3
.LBB14_6779:
	s_andn2_saveexec_b64 s[70:71], s[70:71]
	s_cbranch_execz .LBB14_6783
; %bb.6780:
	v_mov_b32_e32 v5, 29
	v_cmp_eq_u16_sdwa s[78:79], v11, v5 src0_sel:BYTE_0 src1_sel:DWORD
	s_mov_b64 s[76:77], -1
	s_mov_b64 s[74:75], s[4:5]
	s_and_saveexec_b64 s[72:73], s[78:79]
	s_cbranch_execz .LBB14_6782
; %bb.6781:
	v_trunc_f32_e32 v4, v4
	v_mul_f32_e32 v5, 0x2f800000, v4
	v_floor_f32_e32 v38, v5
	v_fmac_f32_e32 v4, 0xcf800000, v38
	v_cvt_u32_f32_e32 v5, v38
	v_cvt_u32_f32_e32 v4, v4
	s_xor_b64 s[76:77], exec, -1
	s_or_b64 s[74:75], s[4:5], exec
	flat_store_dwordx2 v[2:3], v[4:5]
.LBB14_6782:
	s_or_b64 exec, exec, s[72:73]
	s_andn2_b64 vcc, vcc, exec
	s_and_b64 s[72:73], s[76:77], exec
	s_or_b64 vcc, vcc, s[72:73]
	s_andn2_b64 s[4:5], s[4:5], exec
	s_and_b64 s[72:73], s[74:75], exec
	s_or_b64 s[4:5], s[4:5], s[72:73]
.LBB14_6783:
	s_or_b64 exec, exec, s[70:71]
	s_andn2_b64 s[70:71], s[58:59], exec
	s_and_b64 vcc, vcc, exec
	s_or_b64 s[70:71], s[70:71], vcc
	s_and_b64 s[4:5], s[4:5], exec
                                        ; implicit-def: $vgpr2_vgpr3
                                        ; implicit-def: $vgpr4
.LBB14_6784:
	s_andn2_saveexec_b64 s[66:67], s[66:67]
	s_cbranch_execz .LBB14_6800
; %bb.6785:
	v_mov_b32_e32 v5, 26
	v_cmp_gt_i16_sdwa vcc, v11, v5 src0_sel:BYTE_0 src1_sel:DWORD
	s_and_saveexec_b64 s[72:73], vcc
	s_xor_b64 vcc, exec, s[72:73]
	s_cbranch_execz .LBB14_6791
; %bb.6786:
	v_cvt_u32_f32_e32 v4, v4
	v_mov_b32_e32 v5, 27
	v_cmp_gt_i16_sdwa s[72:73], v11, v5 src0_sel:BYTE_0 src1_sel:DWORD
	s_and_saveexec_b64 s[74:75], s[72:73]
	s_xor_b64 s[72:73], exec, s[74:75]
	s_cbranch_execz .LBB14_6788
; %bb.6787:
	flat_store_dword v[2:3], v4
                                        ; implicit-def: $vgpr2_vgpr3
                                        ; implicit-def: $vgpr4
.LBB14_6788:
	s_andn2_saveexec_b64 s[72:73], s[72:73]
	s_cbranch_execz .LBB14_6790
; %bb.6789:
	flat_store_short v[2:3], v4
.LBB14_6790:
	s_or_b64 exec, exec, s[72:73]
                                        ; implicit-def: $vgpr2_vgpr3
                                        ; implicit-def: $vgpr4
.LBB14_6791:
	s_andn2_saveexec_b64 s[72:73], vcc
	s_cbranch_execz .LBB14_6799
; %bb.6792:
	v_and_b32_e32 v5, 0x7fffffff, v4
	s_mov_b32 vcc_lo, 0x43800000
	v_cmp_gt_u32_e32 vcc, vcc_lo, v5
	v_mov_b32_e32 v38, 0x80
	s_and_saveexec_b64 s[74:75], vcc
	s_cbranch_execz .LBB14_6798
; %bb.6793:
	s_mov_b32 vcc_lo, 0x3bffffff
	v_cmp_lt_u32_e32 vcc, vcc_lo, v5
	s_mov_b64 s[76:77], 0
                                        ; implicit-def: $vgpr5
	s_and_saveexec_b64 s[78:79], vcc
	s_xor_b64 vcc, exec, s[78:79]
	s_cbranch_execnz .LBB14_7519
; %bb.6794:
	s_or_saveexec_b64 s[78:79], vcc
                                        ; implicit-def: $sgpr80
	s_xor_b64 exec, exec, s[78:79]
	s_cbranch_execnz .LBB14_7520
.LBB14_6795:
	s_or_b64 exec, exec, s[78:79]
	v_mov_b32_e32 v38, s80
	s_and_saveexec_b64 vcc, s[76:77]
.LBB14_6796:
	v_lshrrev_b32_e32 v4, 24, v4
	s_movk_i32 s76, 0x80
	v_and_or_b32 v38, v4, s76, v5
.LBB14_6797:
	s_or_b64 exec, exec, vcc
.LBB14_6798:
	s_or_b64 exec, exec, s[74:75]
	flat_store_byte v[2:3], v38
.LBB14_6799:
	s_or_b64 exec, exec, s[72:73]
	s_or_b64 s[4:5], s[4:5], exec
.LBB14_6800:
	s_or_b64 exec, exec, s[66:67]
	s_andn2_b64 vcc, s[58:59], exec
	s_and_b64 s[66:67], s[70:71], exec
	s_or_b64 s[66:67], vcc, s[66:67]
	s_and_b64 s[4:5], s[4:5], exec
                                        ; implicit-def: $vgpr4
                                        ; implicit-def: $vgpr2_vgpr3
.LBB14_6801:
	s_andn2_saveexec_b64 s[68:69], s[68:69]
	s_cbranch_execz .LBB14_6845
; %bb.6802:
	v_mov_b32_e32 v5, 22
	v_cmp_gt_i16_sdwa vcc, v11, v5 src0_sel:BYTE_0 src1_sel:DWORD
	s_mov_b64 s[72:73], s[4:5]
	s_and_saveexec_b64 s[70:71], vcc
	s_xor_b64 s[70:71], exec, s[70:71]
	s_cbranch_execz .LBB14_6834
; %bb.6803:
	v_mov_b32_e32 v5, 23
	v_cmp_gt_i16_sdwa vcc, v11, v5 src0_sel:BYTE_0 src1_sel:DWORD
	s_and_saveexec_b64 s[72:73], vcc
	s_xor_b64 s[72:73], exec, s[72:73]
	s_cbranch_execz .LBB14_6823
; %bb.6804:
	v_mov_b32_e32 v5, 24
	v_cmp_gt_i16_sdwa vcc, v11, v5 src0_sel:BYTE_0 src1_sel:DWORD
	s_and_saveexec_b64 s[74:75], vcc
	s_xor_b64 s[74:75], exec, s[74:75]
	s_cbranch_execz .LBB14_6812
; %bb.6805:
	v_and_b32_e32 v5, 0x7fffffff, v4
	s_mov_b32 vcc_lo, 0x47800000
	v_cmp_gt_u32_e32 vcc, vcc_lo, v5
	v_mov_b32_e32 v38, 0x80
	s_and_saveexec_b64 s[76:77], vcc
	s_cbranch_execz .LBB14_6811
; %bb.6806:
	s_mov_b32 vcc_lo, 0x37ffffff
	v_cmp_lt_u32_e32 vcc, vcc_lo, v5
	s_mov_b64 s[78:79], 0
                                        ; implicit-def: $vgpr5
	s_and_saveexec_b64 s[80:81], vcc
	s_xor_b64 vcc, exec, s[80:81]
	s_cbranch_execnz .LBB14_7643
; %bb.6807:
	s_or_saveexec_b64 s[80:81], vcc
                                        ; implicit-def: $sgpr82
	s_xor_b64 exec, exec, s[80:81]
	s_cbranch_execnz .LBB14_7644
.LBB14_6808:
	s_or_b64 exec, exec, s[80:81]
	v_mov_b32_e32 v38, s82
	s_and_saveexec_b64 vcc, s[78:79]
.LBB14_6809:
	v_lshrrev_b32_e32 v4, 24, v4
	s_movk_i32 s78, 0x80
	v_and_or_b32 v38, v4, s78, v5
.LBB14_6810:
	s_or_b64 exec, exec, vcc
.LBB14_6811:
	s_or_b64 exec, exec, s[76:77]
	flat_store_byte v[2:3], v38
                                        ; implicit-def: $vgpr4
                                        ; implicit-def: $vgpr2_vgpr3
.LBB14_6812:
	s_andn2_saveexec_b64 s[74:75], s[74:75]
	s_cbranch_execz .LBB14_6822
; %bb.6813:
	v_and_b32_e32 v38, 0x7fffffff, v4
	s_mov_b32 vcc_lo, 0x43f00000
	v_cmp_gt_u32_e32 vcc, vcc_lo, v38
                                        ; implicit-def: $vgpr5
	s_and_saveexec_b64 s[76:77], vcc
	s_xor_b64 s[76:77], exec, s[76:77]
	s_cbranch_execz .LBB14_6819
; %bb.6814:
	s_mov_b32 vcc_lo, 0x3c7fffff
	v_cmp_lt_u32_e32 vcc, vcc_lo, v38
                                        ; implicit-def: $vgpr5
	s_and_saveexec_b64 s[78:79], vcc
	s_xor_b64 s[78:79], exec, s[78:79]
; %bb.6815:
	v_bfe_u32 v5, v4, 20, 1
	s_mov_b32 vcc_lo, 0x407ffff
	v_add3_u32 v5, v4, v5, vcc_lo
	v_lshrrev_b32_e32 v38, 20, v5
	v_and_b32_e32 v5, 0xff00000, v5
	s_mov_b32 vcc_lo, 0x7f00000
	v_mov_b32_e32 v39, 0x7e
	v_cmp_ne_u32_e32 vcc, vcc_lo, v5
	v_cndmask_b32_e32 v5, v39, v38, vcc
; %bb.6816:
	s_andn2_saveexec_b64 vcc, s[78:79]
; %bb.6817:
	s_mov_b32 s78, 0x46800000
	v_add_f32_e64 v5, |v4|, s78
; %bb.6818:
	s_or_b64 exec, exec, vcc
                                        ; implicit-def: $vgpr38
.LBB14_6819:
	s_andn2_saveexec_b64 s[76:77], s[76:77]
; %bb.6820:
	s_mov_b32 vcc_lo, 0x7f800000
	v_mov_b32_e32 v5, 0x7e
	v_mov_b32_e32 v39, 0x7f
	v_cmp_lt_u32_e32 vcc, vcc_lo, v38
	v_cndmask_b32_e32 v5, v5, v39, vcc
; %bb.6821:
	s_or_b64 exec, exec, s[76:77]
	v_lshrrev_b32_e32 v4, 24, v4
	s_movk_i32 vcc_lo, 0x80
	v_and_or_b32 v4, v4, vcc_lo, v5
	flat_store_byte v[2:3], v4
.LBB14_6822:
	s_or_b64 exec, exec, s[74:75]
                                        ; implicit-def: $vgpr4
                                        ; implicit-def: $vgpr2_vgpr3
.LBB14_6823:
	s_andn2_saveexec_b64 s[72:73], s[72:73]
	s_cbranch_execz .LBB14_6833
; %bb.6824:
	v_and_b32_e32 v38, 0x7fffffff, v4
	s_mov_b32 vcc_lo, 0x47800000
	v_cmp_gt_u32_e32 vcc, vcc_lo, v38
                                        ; implicit-def: $vgpr5
	s_and_saveexec_b64 s[74:75], vcc
	s_xor_b64 s[74:75], exec, s[74:75]
	s_cbranch_execz .LBB14_6830
; %bb.6825:
	s_mov_b32 vcc_lo, 0x387fffff
	v_cmp_lt_u32_e32 vcc, vcc_lo, v38
                                        ; implicit-def: $vgpr5
	s_and_saveexec_b64 s[76:77], vcc
	s_xor_b64 vcc, exec, s[76:77]
; %bb.6826:
	v_bfe_u32 v5, v4, 21, 1
	s_mov_b32 s76, 0x80fffff
	v_add3_u32 v5, v4, v5, s76
	v_lshrrev_b32_e32 v5, 21, v5
; %bb.6827:
	s_andn2_saveexec_b64 vcc, vcc
; %bb.6828:
	s_mov_b32 s76, 0x43000000
	v_add_f32_e64 v5, |v4|, s76
; %bb.6829:
	s_or_b64 exec, exec, vcc
                                        ; implicit-def: $vgpr38
.LBB14_6830:
	s_andn2_saveexec_b64 s[74:75], s[74:75]
; %bb.6831:
	s_mov_b32 vcc_lo, 0x7f800000
	v_mov_b32_e32 v5, 0x7c
	v_mov_b32_e32 v39, 0x7f
	v_cmp_lt_u32_e32 vcc, vcc_lo, v38
	v_cndmask_b32_e32 v5, v5, v39, vcc
; %bb.6832:
	s_or_b64 exec, exec, s[74:75]
	v_lshrrev_b32_e32 v4, 24, v4
	s_movk_i32 vcc_lo, 0x80
	v_and_or_b32 v4, v4, vcc_lo, v5
	flat_store_byte v[2:3], v4
.LBB14_6833:
	s_or_b64 exec, exec, s[72:73]
	s_or_b64 s[72:73], s[4:5], exec
                                        ; implicit-def: $vgpr4
                                        ; implicit-def: $vgpr2_vgpr3
.LBB14_6834:
	s_or_saveexec_b64 s[70:71], s[70:71]
	s_mov_b64 vcc, s[66:67]
	s_xor_b64 exec, exec, s[70:71]
	s_cbranch_execz .LBB14_6844
; %bb.6835:
	v_mov_b32_e32 v5, 14
	v_cmp_gt_i16_sdwa vcc, v11, v5 src0_sel:BYTE_0 src1_sel:DWORD
	s_mov_b64 s[74:75], s[72:73]
	s_mov_b64 s[76:77], s[66:67]
	s_and_saveexec_b64 s[78:79], vcc
	s_xor_b64 s[78:79], exec, s[78:79]
	s_cbranch_execz .LBB14_6839
; %bb.6836:
	v_mov_b32_e32 v5, 15
	v_cmp_eq_u16_sdwa s[80:81], v11, v5 src0_sel:BYTE_0 src1_sel:DWORD
	s_mov_b64 s[76:77], -1
	s_mov_b64 vcc, s[72:73]
	s_and_saveexec_b64 s[74:75], s[80:81]
	s_cbranch_execz .LBB14_6838
; %bb.6837:
	v_bfe_u32 v5, v4, 16, 1
	s_movk_i32 vcc_lo, 0x7fff
	v_add3_u32 v5, v4, v5, vcc_lo
	v_lshrrev_b32_e32 v5, 16, v5
	v_mov_b32_e32 v38, 0x7fc0
	v_cmp_o_f32_e32 vcc, v4, v4
	v_cndmask_b32_e32 v4, v38, v5, vcc
	flat_store_short v[2:3], v4
	s_xor_b64 s[76:77], exec, -1
	s_or_b64 vcc, s[72:73], exec
.LBB14_6838:
	s_or_b64 exec, exec, s[74:75]
	s_andn2_b64 s[74:75], s[66:67], exec
	s_and_b64 s[76:77], s[76:77], exec
	s_or_b64 s[76:77], s[74:75], s[76:77]
	s_andn2_b64 s[74:75], s[72:73], exec
	s_and_b64 vcc, vcc, exec
	s_or_b64 s[74:75], s[74:75], vcc
                                        ; implicit-def: $vgpr4
                                        ; implicit-def: $vgpr2_vgpr3
.LBB14_6839:
	s_andn2_saveexec_b64 s[78:79], s[78:79]
	s_cbranch_execz .LBB14_6843
; %bb.6840:
	v_mov_b32_e32 v5, 11
	v_cmp_eq_u16_sdwa s[84:85], v11, v5 src0_sel:BYTE_0 src1_sel:DWORD
	s_mov_b64 s[80:81], -1
	s_mov_b64 vcc, s[74:75]
	s_and_saveexec_b64 s[82:83], s[84:85]
	s_cbranch_execz .LBB14_6842
; %bb.6841:
	v_cmp_neq_f32_e32 vcc, 0, v4
	v_cndmask_b32_e64 v4, 0, 1, vcc
	flat_store_byte v[2:3], v4
	s_xor_b64 s[80:81], exec, -1
	s_or_b64 vcc, s[74:75], exec
.LBB14_6842:
	s_or_b64 exec, exec, s[82:83]
	s_andn2_b64 s[76:77], s[76:77], exec
	s_and_b64 s[80:81], s[80:81], exec
	s_andn2_b64 s[74:75], s[74:75], exec
	s_and_b64 vcc, vcc, exec
	s_or_b64 s[76:77], s[76:77], s[80:81]
	s_or_b64 s[74:75], s[74:75], vcc
.LBB14_6843:
	s_or_b64 exec, exec, s[78:79]
	s_andn2_b64 vcc, s[66:67], exec
	s_and_b64 s[76:77], s[76:77], exec
	s_andn2_b64 s[72:73], s[72:73], exec
	s_and_b64 s[74:75], s[74:75], exec
	s_or_b64 vcc, vcc, s[76:77]
	s_or_b64 s[72:73], s[72:73], s[74:75]
.LBB14_6844:
	s_or_b64 exec, exec, s[70:71]
	s_andn2_b64 s[66:67], s[66:67], exec
	s_and_b64 vcc, vcc, exec
	s_or_b64 s[66:67], s[66:67], vcc
	s_andn2_b64 s[4:5], s[4:5], exec
	s_and_b64 vcc, s[72:73], exec
	s_or_b64 s[4:5], s[4:5], vcc
.LBB14_6845:
	s_or_b64 exec, exec, s[68:69]
	s_andn2_b64 vcc, s[58:59], exec
	s_and_b64 s[66:67], s[66:67], exec
	s_or_b64 s[66:67], vcc, s[66:67]
	s_and_b64 s[4:5], s[4:5], exec
                                        ; implicit-def: $vgpr4
                                        ; implicit-def: $vgpr2_vgpr3
	s_andn2_saveexec_b64 s[62:63], s[62:63]
	s_cbranch_execz .LBB14_3901
.LBB14_6846:
	v_mov_b32_e32 v5, 4
	v_cmp_gt_i16_sdwa vcc, v11, v5 src0_sel:BYTE_0 src1_sel:DWORD
	s_and_saveexec_b64 s[68:69], vcc
	s_xor_b64 vcc, exec, s[68:69]
	s_cbranch_execz .LBB14_6868
; %bb.6847:
	v_mov_b32_e32 v5, 7
	v_cmp_gt_i16_sdwa s[68:69], v11, v5 src0_sel:BYTE_0 src1_sel:DWORD
	s_and_saveexec_b64 s[70:71], s[68:69]
	s_xor_b64 s[68:69], exec, s[70:71]
	s_cbranch_execz .LBB14_6857
; %bb.6848:
	v_mov_b32_e32 v5, 8
	v_cmp_gt_i16_sdwa s[70:71], v11, v5 src0_sel:BYTE_0 src1_sel:DWORD
	s_and_saveexec_b64 s[72:73], s[70:71]
	s_xor_b64 s[70:71], exec, s[72:73]
	s_cbranch_execz .LBB14_6854
; %bb.6849:
	v_mov_b32_e32 v5, 9
	v_cmp_gt_i16_sdwa s[72:73], v11, v5 src0_sel:BYTE_0 src1_sel:DWORD
	s_and_saveexec_b64 s[74:75], s[72:73]
	s_xor_b64 s[72:73], exec, s[74:75]
	s_cbranch_execz .LBB14_6851
; %bb.6850:
	v_mov_b32_e32 v50, 0
	v_cvt_f64_f32_e32 v[48:49], v4
	v_mov_b32_e32 v51, v50
	flat_store_dwordx4 v[2:3], v[48:51]
                                        ; implicit-def: $vgpr4
                                        ; implicit-def: $vgpr2_vgpr3
.LBB14_6851:
	s_andn2_saveexec_b64 s[72:73], s[72:73]
	s_cbranch_execz .LBB14_6853
; %bb.6852:
	v_mov_b32_e32 v5, 0
	flat_store_dwordx2 v[2:3], v[4:5]
.LBB14_6853:
	s_or_b64 exec, exec, s[72:73]
                                        ; implicit-def: $vgpr4
                                        ; implicit-def: $vgpr2_vgpr3
.LBB14_6854:
	s_andn2_saveexec_b64 s[70:71], s[70:71]
	s_cbranch_execz .LBB14_6856
; %bb.6855:
	v_cvt_f16_f32_e32 v4, v4
	flat_store_dword v[2:3], v4
.LBB14_6856:
	s_or_b64 exec, exec, s[70:71]
                                        ; implicit-def: $vgpr4
                                        ; implicit-def: $vgpr2_vgpr3
.LBB14_6857:
	s_andn2_saveexec_b64 s[68:69], s[68:69]
	s_cbranch_execz .LBB14_6867
; %bb.6858:
	v_mov_b32_e32 v5, 5
	v_cmp_gt_i16_sdwa s[70:71], v11, v5 src0_sel:BYTE_0 src1_sel:DWORD
	s_and_saveexec_b64 s[72:73], s[70:71]
	s_xor_b64 s[70:71], exec, s[72:73]
	s_cbranch_execz .LBB14_6864
; %bb.6859:
	v_mov_b32_e32 v5, 6
	v_cmp_gt_i16_sdwa s[72:73], v11, v5 src0_sel:BYTE_0 src1_sel:DWORD
	s_and_saveexec_b64 s[74:75], s[72:73]
	s_xor_b64 s[72:73], exec, s[74:75]
	s_cbranch_execz .LBB14_6861
; %bb.6860:
	v_cvt_f64_f32_e32 v[4:5], v4
	flat_store_dwordx2 v[2:3], v[4:5]
                                        ; implicit-def: $vgpr2_vgpr3
                                        ; implicit-def: $vgpr4
.LBB14_6861:
	s_andn2_saveexec_b64 s[72:73], s[72:73]
	s_cbranch_execz .LBB14_6863
; %bb.6862:
	flat_store_dword v[2:3], v4
.LBB14_6863:
	s_or_b64 exec, exec, s[72:73]
                                        ; implicit-def: $vgpr4
                                        ; implicit-def: $vgpr2_vgpr3
.LBB14_6864:
	s_andn2_saveexec_b64 s[70:71], s[70:71]
	s_cbranch_execz .LBB14_6866
; %bb.6865:
	v_cvt_f16_f32_e32 v4, v4
	flat_store_short v[2:3], v4
.LBB14_6866:
	s_or_b64 exec, exec, s[70:71]
.LBB14_6867:
	s_or_b64 exec, exec, s[68:69]
                                        ; implicit-def: $vgpr4
                                        ; implicit-def: $vgpr2_vgpr3
.LBB14_6868:
	s_andn2_saveexec_b64 s[68:69], vcc
	s_cbranch_execz .LBB14_6886
; %bb.6869:
	v_mov_b32_e32 v5, 1
	v_cmp_gt_i16_sdwa vcc, v11, v5 src0_sel:BYTE_0 src1_sel:DWORD
	s_and_saveexec_b64 s[70:71], vcc
	s_xor_b64 s[70:71], exec, s[70:71]
	s_cbranch_execz .LBB14_6879
; %bb.6870:
	v_mov_b32_e32 v5, 2
	v_cmp_gt_i16_sdwa vcc, v11, v5 src0_sel:BYTE_0 src1_sel:DWORD
	s_and_saveexec_b64 s[72:73], vcc
	s_xor_b64 s[72:73], exec, s[72:73]
	;; [unrolled: 6-line block ×3, first 2 shown]
	s_cbranch_execz .LBB14_6873
; %bb.6872:
	v_trunc_f32_e32 v4, v4
	s_mov_b32 s76, 0x2f800000
	v_mul_f32_e64 v5, |v4|, s76
	v_floor_f32_e32 v5, v5
	s_mov_b32 s76, 0xcf800000
	v_cvt_u32_f32_e32 v38, v5
	v_fma_f32 v5, v5, s76, |v4|
	v_cvt_u32_f32_e32 v5, v5
	v_ashrrev_i32_e32 v39, 31, v4
	v_xor_b32_e32 v38, v38, v39
	v_xor_b32_e32 v4, v5, v39
	v_sub_co_u32_e32 v4, vcc, v4, v39
	v_subb_co_u32_e32 v5, vcc, v38, v39, vcc
	flat_store_dwordx2 v[2:3], v[4:5]
                                        ; implicit-def: $vgpr4
                                        ; implicit-def: $vgpr2_vgpr3
.LBB14_6873:
	s_andn2_saveexec_b64 vcc, s[74:75]
	s_cbranch_execz .LBB14_6875
; %bb.6874:
	v_cvt_i32_f32_e32 v4, v4
	flat_store_dword v[2:3], v4
.LBB14_6875:
	s_or_b64 exec, exec, vcc
                                        ; implicit-def: $vgpr4
                                        ; implicit-def: $vgpr2_vgpr3
.LBB14_6876:
	s_andn2_saveexec_b64 vcc, s[72:73]
	s_cbranch_execz .LBB14_6878
; %bb.6877:
	v_cvt_i32_f32_e32 v4, v4
	flat_store_short v[2:3], v4
.LBB14_6878:
	s_or_b64 exec, exec, vcc
                                        ; implicit-def: $vgpr4
                                        ; implicit-def: $vgpr2_vgpr3
.LBB14_6879:
	s_andn2_saveexec_b64 vcc, s[70:71]
	s_cbranch_execz .LBB14_6885
; %bb.6880:
	v_mov_b32_e32 v5, 0
	v_cmp_gt_i16_sdwa s[70:71], v11, v5 src0_sel:BYTE_0 src1_sel:DWORD
	s_and_saveexec_b64 s[72:73], s[70:71]
	s_xor_b64 s[70:71], exec, s[72:73]
	s_cbranch_execz .LBB14_6882
; %bb.6881:
	v_cvt_i32_f32_e32 v4, v4
	flat_store_byte v[2:3], v4
                                        ; implicit-def: $vgpr4
                                        ; implicit-def: $vgpr2_vgpr3
.LBB14_6882:
	s_andn2_saveexec_b64 s[70:71], s[70:71]
	s_cbranch_execz .LBB14_6884
; %bb.6883:
	v_trunc_f32_e32 v4, v4
	s_mov_b32 s72, 0x2f800000
	v_mul_f32_e64 v5, |v4|, s72
	v_floor_f32_e32 v5, v5
	s_mov_b32 s72, 0xcf800000
	v_fma_f32 v5, v5, s72, |v4|
	v_cvt_u32_f32_e32 v5, v5
	v_ashrrev_i32_e32 v4, 31, v4
	v_xor_b32_e32 v5, v5, v4
	v_sub_u32_e32 v4, v5, v4
	flat_store_byte v[2:3], v4
.LBB14_6884:
	s_or_b64 exec, exec, s[70:71]
.LBB14_6885:
	s_or_b64 exec, exec, vcc
.LBB14_6886:
	s_or_b64 exec, exec, s[68:69]
	s_or_b64 s[4:5], s[4:5], exec
	s_or_b64 exec, exec, s[62:63]
	s_mov_b64 vcc, 0
	s_and_saveexec_b64 s[62:63], s[4:5]
	s_cbranch_execnz .LBB14_3902
	s_branch .LBB14_3903
.LBB14_6887:
	v_bfe_u32 v5, v4, 21, 1
	s_mov_b32 s60, 0x88fffff
	v_add3_u32 v5, v4, v5, s60
	s_mov_b64 s[58:59], exec
	v_lshrrev_b32_e32 v5, 21, v5
	s_or_saveexec_b64 s[60:61], vcc
                                        ; implicit-def: $sgpr62
	s_xor_b64 exec, exec, s[60:61]
	s_cbranch_execz .LBB14_6052
.LBB14_6888:
	s_mov_b32 s62, 0x42800000
	v_add_f32_e64 v5, |v4|, s62
	v_and_b32_e32 v5, 0xff, v5
	v_cmp_ne_u32_e32 vcc, 0, v5
	s_andn2_b64 s[58:59], s[58:59], exec
	s_and_b64 vcc, vcc, exec
	s_mov_b32 s62, 0
	s_or_b64 s[58:59], s[58:59], vcc
	s_or_b64 exec, exec, s[60:61]
	v_mov_b32_e32 v66, s62
	s_and_saveexec_b64 vcc, s[58:59]
	s_cbranch_execnz .LBB14_6053
	s_branch .LBB14_6054
.LBB14_6889:
	v_bfe_u32 v5, v4, 20, 1
	s_mov_b32 s58, 0x487ffff
	v_add3_u32 v5, v4, v5, s58
	s_mov_b64 s[56:57], exec
	v_lshrrev_b32_e32 v5, 20, v5
	s_or_saveexec_b64 s[58:59], vcc
                                        ; implicit-def: $sgpr60
	s_xor_b64 exec, exec, s[58:59]
	s_cbranch_execz .LBB14_6165
.LBB14_6890:
	s_mov_b32 s60, 0x46000000
	v_add_f32_e64 v5, |v4|, s60
	v_and_b32_e32 v5, 0xff, v5
	v_cmp_ne_u32_e32 vcc, 0, v5
	s_andn2_b64 s[56:57], s[56:57], exec
	s_and_b64 vcc, vcc, exec
	s_mov_b32 s60, 0
	s_or_b64 s[56:57], s[56:57], vcc
	s_or_b64 exec, exec, s[58:59]
	v_mov_b32_e32 v64, s60
	s_and_saveexec_b64 vcc, s[56:57]
	s_cbranch_execnz .LBB14_6166
	s_branch .LBB14_6167
.LBB14_6891:
	v_mov_b32_e32 v5, 25
	v_cmp_gt_i16_sdwa vcc, v11, v5 src0_sel:BYTE_0 src1_sel:DWORD
	s_mov_b64 s[70:71], s[62:63]
	s_and_saveexec_b64 s[72:73], vcc
	s_xor_b64 s[72:73], exec, s[72:73]
	s_cbranch_execz .LBB14_6927
; %bb.6892:
	v_mov_b32_e32 v5, 28
	v_cmp_gt_i16_sdwa vcc, v11, v5 src0_sel:BYTE_0 src1_sel:DWORD
	s_mov_b64 s[74:75], s[62:63]
	s_and_saveexec_b64 s[70:71], vcc
	s_xor_b64 s[70:71], exec, s[70:71]
	s_cbranch_execz .LBB14_6910
; %bb.6893:
	v_mov_b32_e32 v5, 43
	v_cmp_gt_i16_sdwa s[74:75], v11, v5 src0_sel:BYTE_0 src1_sel:DWORD
	s_mov_b64 vcc, s[62:63]
	s_and_saveexec_b64 s[76:77], s[74:75]
	s_xor_b64 s[74:75], exec, s[76:77]
	s_cbranch_execz .LBB14_6905
; %bb.6894:
	v_mov_b32_e32 v5, 45
	v_cmp_gt_i16_sdwa s[4:5], v11, v5 src0_sel:BYTE_0 src1_sel:DWORD
	s_mov_b64 s[76:77], 0
	s_mov_b64 s[78:79], s[62:63]
	s_and_saveexec_b64 vcc, s[4:5]
	s_xor_b64 s[4:5], exec, vcc
	s_cbranch_execz .LBB14_6898
; %bb.6895:
	v_mov_b32_e32 v5, 46
	v_cmp_eq_u16_sdwa s[80:81], v11, v5 src0_sel:BYTE_0 src1_sel:DWORD
	s_mov_b64 vcc, -1
	s_and_saveexec_b64 s[78:79], s[80:81]
	s_cbranch_execz .LBB14_6897
; %bb.6896:
	v_bfe_u32 v5, v4, 16, 1
	s_movk_i32 vcc_lo, 0x7fff
	v_add3_u32 v5, v4, v5, vcc_lo
	v_lshrrev_b32_e32 v5, 16, v5
	v_mov_b32_e32 v36, 0x7fc0
	v_cmp_o_f32_e32 vcc, v4, v4
	v_cndmask_b32_e32 v4, v36, v5, vcc
	s_mov_b64 s[76:77], exec
	flat_store_dword v[2:3], v4
	s_xor_b64 vcc, exec, -1
.LBB14_6897:
	s_or_b64 exec, exec, s[78:79]
	s_andn2_b64 s[78:79], s[62:63], exec
	s_and_b64 vcc, vcc, exec
	s_or_b64 s[78:79], s[78:79], vcc
	s_and_b64 s[76:77], s[76:77], exec
                                        ; implicit-def: $vgpr2_vgpr3
                                        ; implicit-def: $vgpr4
.LBB14_6898:
	s_andn2_saveexec_b64 s[80:81], s[4:5]
	s_cbranch_execz .LBB14_6904
; %bb.6899:
	v_mov_b32_e32 v5, 44
	v_cmp_eq_u16_sdwa s[84:85], v11, v5 src0_sel:BYTE_0 src1_sel:DWORD
	s_mov_b64 vcc, -1
	s_mov_b64 s[4:5], s[76:77]
	s_and_saveexec_b64 s[82:83], s[84:85]
	s_cbranch_execz .LBB14_6903
; %bb.6900:
	v_bfe_u32 v5, v4, 23, 8
	s_movk_i32 s4, 0xff
	v_cmp_ne_u32_e32 vcc, s4, v5
	v_mov_b32_e32 v36, 0xff
	s_and_saveexec_b64 s[84:85], vcc
; %bb.6901:
	s_mov_b32 s4, 0x3fffff
	v_lshrrev_b32_e32 v36, 23, v4
	v_and_b32_e32 v37, 0x400000, v4
	v_and_or_b32 v4, v4, s4, v5
	v_cmp_ne_u32_e32 vcc, 0, v37
	v_cmp_ne_u32_e64 s[4:5], 0, v4
	s_and_b64 s[4:5], vcc, s[4:5]
	v_cndmask_b32_e64 v4, 0, 1, s[4:5]
	v_add_u32_e32 v36, v36, v4
; %bb.6902:
	s_or_b64 exec, exec, s[84:85]
	s_xor_b64 vcc, exec, -1
	s_or_b64 s[4:5], s[76:77], exec
	flat_store_byte v[2:3], v36
.LBB14_6903:
	s_or_b64 exec, exec, s[82:83]
	s_andn2_b64 s[78:79], s[78:79], exec
	s_and_b64 vcc, vcc, exec
	s_or_b64 s[78:79], s[78:79], vcc
	s_andn2_b64 vcc, s[76:77], exec
	s_and_b64 s[4:5], s[4:5], exec
	s_or_b64 s[76:77], vcc, s[4:5]
.LBB14_6904:
	s_or_b64 exec, exec, s[80:81]
	s_andn2_b64 s[4:5], s[62:63], exec
	s_and_b64 vcc, s[78:79], exec
	s_or_b64 vcc, s[4:5], vcc
	s_and_b64 s[4:5], s[76:77], exec
                                        ; implicit-def: $vgpr4
                                        ; implicit-def: $vgpr2_vgpr3
.LBB14_6905:
	s_andn2_saveexec_b64 s[74:75], s[74:75]
	s_cbranch_execz .LBB14_6909
; %bb.6906:
	v_mov_b32_e32 v5, 29
	v_cmp_eq_u16_sdwa s[82:83], v11, v5 src0_sel:BYTE_0 src1_sel:DWORD
	s_mov_b64 s[80:81], -1
	s_mov_b64 s[78:79], s[4:5]
	s_and_saveexec_b64 s[76:77], s[82:83]
	s_cbranch_execz .LBB14_6908
; %bb.6907:
	v_trunc_f32_e32 v4, v4
	v_mul_f32_e32 v5, 0x2f800000, v4
	v_floor_f32_e32 v36, v5
	v_fmac_f32_e32 v4, 0xcf800000, v36
	v_cvt_u32_f32_e32 v5, v36
	v_cvt_u32_f32_e32 v4, v4
	s_xor_b64 s[80:81], exec, -1
	s_or_b64 s[78:79], s[4:5], exec
	flat_store_dwordx2 v[2:3], v[4:5]
.LBB14_6908:
	s_or_b64 exec, exec, s[76:77]
	s_andn2_b64 vcc, vcc, exec
	s_and_b64 s[76:77], s[80:81], exec
	s_or_b64 vcc, vcc, s[76:77]
	s_andn2_b64 s[4:5], s[4:5], exec
	s_and_b64 s[76:77], s[78:79], exec
	s_or_b64 s[4:5], s[4:5], s[76:77]
.LBB14_6909:
	s_or_b64 exec, exec, s[74:75]
	s_andn2_b64 s[74:75], s[62:63], exec
	s_and_b64 vcc, vcc, exec
	s_or_b64 s[74:75], s[74:75], vcc
	s_and_b64 s[4:5], s[4:5], exec
                                        ; implicit-def: $vgpr2_vgpr3
                                        ; implicit-def: $vgpr4
.LBB14_6910:
	s_andn2_saveexec_b64 s[70:71], s[70:71]
	s_cbranch_execz .LBB14_6926
; %bb.6911:
	v_mov_b32_e32 v5, 26
	v_cmp_gt_i16_sdwa vcc, v11, v5 src0_sel:BYTE_0 src1_sel:DWORD
	s_and_saveexec_b64 s[76:77], vcc
	s_xor_b64 vcc, exec, s[76:77]
	s_cbranch_execz .LBB14_6917
; %bb.6912:
	v_cvt_u32_f32_e32 v4, v4
	v_mov_b32_e32 v5, 27
	v_cmp_gt_i16_sdwa s[76:77], v11, v5 src0_sel:BYTE_0 src1_sel:DWORD
	s_and_saveexec_b64 s[78:79], s[76:77]
	s_xor_b64 s[76:77], exec, s[78:79]
	s_cbranch_execz .LBB14_6914
; %bb.6913:
	flat_store_dword v[2:3], v4
                                        ; implicit-def: $vgpr2_vgpr3
                                        ; implicit-def: $vgpr4
.LBB14_6914:
	s_andn2_saveexec_b64 s[76:77], s[76:77]
	s_cbranch_execz .LBB14_6916
; %bb.6915:
	flat_store_short v[2:3], v4
.LBB14_6916:
	s_or_b64 exec, exec, s[76:77]
                                        ; implicit-def: $vgpr2_vgpr3
                                        ; implicit-def: $vgpr4
.LBB14_6917:
	s_andn2_saveexec_b64 s[76:77], vcc
	s_cbranch_execz .LBB14_6925
; %bb.6918:
	v_and_b32_e32 v5, 0x7fffffff, v4
	s_mov_b32 vcc_lo, 0x43800000
	v_cmp_gt_u32_e32 vcc, vcc_lo, v5
	v_mov_b32_e32 v36, 0x80
	s_and_saveexec_b64 s[78:79], vcc
	s_cbranch_execz .LBB14_6924
; %bb.6919:
	s_mov_b32 vcc_lo, 0x3bffffff
	v_cmp_lt_u32_e32 vcc, vcc_lo, v5
	s_mov_b64 s[80:81], 0
                                        ; implicit-def: $vgpr5
	s_and_saveexec_b64 s[82:83], vcc
	s_xor_b64 vcc, exec, s[82:83]
	s_cbranch_execnz .LBB14_7645
; %bb.6920:
	s_or_saveexec_b64 s[82:83], vcc
                                        ; implicit-def: $sgpr84
	s_xor_b64 exec, exec, s[82:83]
	s_cbranch_execnz .LBB14_7646
.LBB14_6921:
	s_or_b64 exec, exec, s[82:83]
	v_mov_b32_e32 v36, s84
	s_and_saveexec_b64 vcc, s[80:81]
.LBB14_6922:
	v_lshrrev_b32_e32 v4, 24, v4
	s_movk_i32 s80, 0x80
	v_and_or_b32 v36, v4, s80, v5
.LBB14_6923:
	s_or_b64 exec, exec, vcc
.LBB14_6924:
	s_or_b64 exec, exec, s[78:79]
	flat_store_byte v[2:3], v36
.LBB14_6925:
	s_or_b64 exec, exec, s[76:77]
	s_or_b64 s[4:5], s[4:5], exec
.LBB14_6926:
	s_or_b64 exec, exec, s[70:71]
	s_andn2_b64 vcc, s[62:63], exec
	s_and_b64 s[70:71], s[74:75], exec
	s_or_b64 s[70:71], vcc, s[70:71]
	s_and_b64 s[4:5], s[4:5], exec
                                        ; implicit-def: $vgpr4
                                        ; implicit-def: $vgpr2_vgpr3
.LBB14_6927:
	s_andn2_saveexec_b64 s[72:73], s[72:73]
	s_cbranch_execz .LBB14_6971
; %bb.6928:
	v_mov_b32_e32 v5, 22
	v_cmp_gt_i16_sdwa vcc, v11, v5 src0_sel:BYTE_0 src1_sel:DWORD
	s_mov_b64 s[76:77], s[4:5]
	s_and_saveexec_b64 s[74:75], vcc
	s_xor_b64 s[74:75], exec, s[74:75]
	s_cbranch_execz .LBB14_6960
; %bb.6929:
	v_mov_b32_e32 v5, 23
	v_cmp_gt_i16_sdwa vcc, v11, v5 src0_sel:BYTE_0 src1_sel:DWORD
	s_and_saveexec_b64 s[76:77], vcc
	s_xor_b64 s[76:77], exec, s[76:77]
	s_cbranch_execz .LBB14_6949
; %bb.6930:
	v_mov_b32_e32 v5, 24
	v_cmp_gt_i16_sdwa vcc, v11, v5 src0_sel:BYTE_0 src1_sel:DWORD
	s_and_saveexec_b64 s[78:79], vcc
	s_xor_b64 s[78:79], exec, s[78:79]
	s_cbranch_execz .LBB14_6938
; %bb.6931:
	v_and_b32_e32 v5, 0x7fffffff, v4
	s_mov_b32 vcc_lo, 0x47800000
	v_cmp_gt_u32_e32 vcc, vcc_lo, v5
	v_mov_b32_e32 v36, 0x80
	s_and_saveexec_b64 s[80:81], vcc
	s_cbranch_execz .LBB14_6937
; %bb.6932:
	s_mov_b32 vcc_lo, 0x37ffffff
	v_cmp_lt_u32_e32 vcc, vcc_lo, v5
	s_mov_b64 s[82:83], 0
                                        ; implicit-def: $vgpr5
	s_and_saveexec_b64 s[84:85], vcc
	s_xor_b64 vcc, exec, s[84:85]
	s_cbranch_execnz .LBB14_7769
; %bb.6933:
	s_or_saveexec_b64 s[84:85], vcc
                                        ; implicit-def: $sgpr86
	s_xor_b64 exec, exec, s[84:85]
	s_cbranch_execnz .LBB14_7770
.LBB14_6934:
	s_or_b64 exec, exec, s[84:85]
	v_mov_b32_e32 v36, s86
	s_and_saveexec_b64 vcc, s[82:83]
.LBB14_6935:
	v_lshrrev_b32_e32 v4, 24, v4
	s_movk_i32 s82, 0x80
	v_and_or_b32 v36, v4, s82, v5
.LBB14_6936:
	s_or_b64 exec, exec, vcc
.LBB14_6937:
	s_or_b64 exec, exec, s[80:81]
	flat_store_byte v[2:3], v36
                                        ; implicit-def: $vgpr4
                                        ; implicit-def: $vgpr2_vgpr3
.LBB14_6938:
	s_andn2_saveexec_b64 s[78:79], s[78:79]
	s_cbranch_execz .LBB14_6948
; %bb.6939:
	v_and_b32_e32 v36, 0x7fffffff, v4
	s_mov_b32 vcc_lo, 0x43f00000
	v_cmp_gt_u32_e32 vcc, vcc_lo, v36
                                        ; implicit-def: $vgpr5
	s_and_saveexec_b64 s[80:81], vcc
	s_xor_b64 s[80:81], exec, s[80:81]
	s_cbranch_execz .LBB14_6945
; %bb.6940:
	s_mov_b32 vcc_lo, 0x3c7fffff
	v_cmp_lt_u32_e32 vcc, vcc_lo, v36
                                        ; implicit-def: $vgpr5
	s_and_saveexec_b64 s[82:83], vcc
	s_xor_b64 s[82:83], exec, s[82:83]
; %bb.6941:
	v_bfe_u32 v5, v4, 20, 1
	s_mov_b32 vcc_lo, 0x407ffff
	v_add3_u32 v5, v4, v5, vcc_lo
	v_lshrrev_b32_e32 v36, 20, v5
	v_and_b32_e32 v5, 0xff00000, v5
	s_mov_b32 vcc_lo, 0x7f00000
	v_mov_b32_e32 v37, 0x7e
	v_cmp_ne_u32_e32 vcc, vcc_lo, v5
	v_cndmask_b32_e32 v5, v37, v36, vcc
; %bb.6942:
	s_andn2_saveexec_b64 vcc, s[82:83]
; %bb.6943:
	s_mov_b32 s82, 0x46800000
	v_add_f32_e64 v5, |v4|, s82
; %bb.6944:
	s_or_b64 exec, exec, vcc
                                        ; implicit-def: $vgpr36
.LBB14_6945:
	s_andn2_saveexec_b64 s[80:81], s[80:81]
; %bb.6946:
	s_mov_b32 vcc_lo, 0x7f800000
	v_mov_b32_e32 v5, 0x7e
	v_mov_b32_e32 v37, 0x7f
	v_cmp_lt_u32_e32 vcc, vcc_lo, v36
	v_cndmask_b32_e32 v5, v5, v37, vcc
; %bb.6947:
	s_or_b64 exec, exec, s[80:81]
	v_lshrrev_b32_e32 v4, 24, v4
	s_movk_i32 vcc_lo, 0x80
	v_and_or_b32 v4, v4, vcc_lo, v5
	flat_store_byte v[2:3], v4
.LBB14_6948:
	s_or_b64 exec, exec, s[78:79]
                                        ; implicit-def: $vgpr4
                                        ; implicit-def: $vgpr2_vgpr3
.LBB14_6949:
	s_andn2_saveexec_b64 s[76:77], s[76:77]
	s_cbranch_execz .LBB14_6959
; %bb.6950:
	v_and_b32_e32 v36, 0x7fffffff, v4
	s_mov_b32 vcc_lo, 0x47800000
	v_cmp_gt_u32_e32 vcc, vcc_lo, v36
                                        ; implicit-def: $vgpr5
	s_and_saveexec_b64 s[78:79], vcc
	s_xor_b64 s[78:79], exec, s[78:79]
	s_cbranch_execz .LBB14_6956
; %bb.6951:
	s_mov_b32 vcc_lo, 0x387fffff
	v_cmp_lt_u32_e32 vcc, vcc_lo, v36
                                        ; implicit-def: $vgpr5
	s_and_saveexec_b64 s[80:81], vcc
	s_xor_b64 vcc, exec, s[80:81]
; %bb.6952:
	v_bfe_u32 v5, v4, 21, 1
	s_mov_b32 s80, 0x80fffff
	v_add3_u32 v5, v4, v5, s80
	v_lshrrev_b32_e32 v5, 21, v5
; %bb.6953:
	s_andn2_saveexec_b64 vcc, vcc
; %bb.6954:
	s_mov_b32 s80, 0x43000000
	v_add_f32_e64 v5, |v4|, s80
; %bb.6955:
	s_or_b64 exec, exec, vcc
                                        ; implicit-def: $vgpr36
.LBB14_6956:
	s_andn2_saveexec_b64 s[78:79], s[78:79]
; %bb.6957:
	s_mov_b32 vcc_lo, 0x7f800000
	v_mov_b32_e32 v5, 0x7c
	v_mov_b32_e32 v37, 0x7f
	v_cmp_lt_u32_e32 vcc, vcc_lo, v36
	v_cndmask_b32_e32 v5, v5, v37, vcc
; %bb.6958:
	s_or_b64 exec, exec, s[78:79]
	v_lshrrev_b32_e32 v4, 24, v4
	s_movk_i32 vcc_lo, 0x80
	v_and_or_b32 v4, v4, vcc_lo, v5
	flat_store_byte v[2:3], v4
.LBB14_6959:
	s_or_b64 exec, exec, s[76:77]
	s_or_b64 s[76:77], s[4:5], exec
                                        ; implicit-def: $vgpr4
                                        ; implicit-def: $vgpr2_vgpr3
.LBB14_6960:
	s_or_saveexec_b64 s[74:75], s[74:75]
	s_mov_b64 vcc, s[70:71]
	s_xor_b64 exec, exec, s[74:75]
	s_cbranch_execz .LBB14_6970
; %bb.6961:
	v_mov_b32_e32 v5, 14
	v_cmp_gt_i16_sdwa vcc, v11, v5 src0_sel:BYTE_0 src1_sel:DWORD
	s_mov_b64 s[78:79], s[76:77]
	s_mov_b64 s[80:81], s[70:71]
	s_and_saveexec_b64 s[82:83], vcc
	s_xor_b64 s[82:83], exec, s[82:83]
	s_cbranch_execz .LBB14_6965
; %bb.6962:
	v_mov_b32_e32 v5, 15
	v_cmp_eq_u16_sdwa s[84:85], v11, v5 src0_sel:BYTE_0 src1_sel:DWORD
	s_mov_b64 s[80:81], -1
	s_mov_b64 vcc, s[76:77]
	s_and_saveexec_b64 s[78:79], s[84:85]
	s_cbranch_execz .LBB14_6964
; %bb.6963:
	v_bfe_u32 v5, v4, 16, 1
	s_movk_i32 vcc_lo, 0x7fff
	v_add3_u32 v5, v4, v5, vcc_lo
	v_lshrrev_b32_e32 v5, 16, v5
	v_mov_b32_e32 v36, 0x7fc0
	v_cmp_o_f32_e32 vcc, v4, v4
	v_cndmask_b32_e32 v4, v36, v5, vcc
	flat_store_short v[2:3], v4
	s_xor_b64 s[80:81], exec, -1
	s_or_b64 vcc, s[76:77], exec
.LBB14_6964:
	s_or_b64 exec, exec, s[78:79]
	s_andn2_b64 s[78:79], s[70:71], exec
	s_and_b64 s[80:81], s[80:81], exec
	s_or_b64 s[80:81], s[78:79], s[80:81]
	s_andn2_b64 s[78:79], s[76:77], exec
	s_and_b64 vcc, vcc, exec
	s_or_b64 s[78:79], s[78:79], vcc
                                        ; implicit-def: $vgpr4
                                        ; implicit-def: $vgpr2_vgpr3
.LBB14_6965:
	s_andn2_saveexec_b64 s[82:83], s[82:83]
	s_cbranch_execz .LBB14_6969
; %bb.6966:
	v_mov_b32_e32 v5, 11
	v_cmp_eq_u16_sdwa s[88:89], v11, v5 src0_sel:BYTE_0 src1_sel:DWORD
	s_mov_b64 s[84:85], -1
	s_mov_b64 vcc, s[78:79]
	s_and_saveexec_b64 s[86:87], s[88:89]
	s_cbranch_execz .LBB14_6968
; %bb.6967:
	v_cmp_neq_f32_e32 vcc, 0, v4
	v_cndmask_b32_e64 v4, 0, 1, vcc
	flat_store_byte v[2:3], v4
	s_xor_b64 s[84:85], exec, -1
	s_or_b64 vcc, s[78:79], exec
.LBB14_6968:
	s_or_b64 exec, exec, s[86:87]
	s_andn2_b64 s[80:81], s[80:81], exec
	s_and_b64 s[84:85], s[84:85], exec
	s_andn2_b64 s[78:79], s[78:79], exec
	s_and_b64 vcc, vcc, exec
	s_or_b64 s[80:81], s[80:81], s[84:85]
	s_or_b64 s[78:79], s[78:79], vcc
.LBB14_6969:
	s_or_b64 exec, exec, s[82:83]
	s_andn2_b64 vcc, s[70:71], exec
	s_and_b64 s[80:81], s[80:81], exec
	s_andn2_b64 s[76:77], s[76:77], exec
	s_and_b64 s[78:79], s[78:79], exec
	s_or_b64 vcc, vcc, s[80:81]
	s_or_b64 s[76:77], s[76:77], s[78:79]
.LBB14_6970:
	s_or_b64 exec, exec, s[74:75]
	s_andn2_b64 s[70:71], s[70:71], exec
	s_and_b64 vcc, vcc, exec
	s_or_b64 s[70:71], s[70:71], vcc
	s_andn2_b64 s[4:5], s[4:5], exec
	s_and_b64 vcc, s[76:77], exec
	s_or_b64 s[4:5], s[4:5], vcc
.LBB14_6971:
	s_or_b64 exec, exec, s[72:73]
	s_andn2_b64 vcc, s[62:63], exec
	s_and_b64 s[70:71], s[70:71], exec
	s_or_b64 s[70:71], vcc, s[70:71]
	s_and_b64 s[4:5], s[4:5], exec
                                        ; implicit-def: $vgpr4
                                        ; implicit-def: $vgpr2_vgpr3
	s_andn2_saveexec_b64 s[66:67], s[66:67]
	s_cbranch_execz .LBB14_3908
.LBB14_6972:
	v_mov_b32_e32 v5, 4
	v_cmp_gt_i16_sdwa vcc, v11, v5 src0_sel:BYTE_0 src1_sel:DWORD
	s_and_saveexec_b64 s[72:73], vcc
	s_xor_b64 vcc, exec, s[72:73]
	s_cbranch_execz .LBB14_6994
; %bb.6973:
	v_mov_b32_e32 v5, 7
	v_cmp_gt_i16_sdwa s[72:73], v11, v5 src0_sel:BYTE_0 src1_sel:DWORD
	s_and_saveexec_b64 s[74:75], s[72:73]
	s_xor_b64 s[72:73], exec, s[74:75]
	s_cbranch_execz .LBB14_6983
; %bb.6974:
	v_mov_b32_e32 v5, 8
	v_cmp_gt_i16_sdwa s[74:75], v11, v5 src0_sel:BYTE_0 src1_sel:DWORD
	s_and_saveexec_b64 s[76:77], s[74:75]
	s_xor_b64 s[74:75], exec, s[76:77]
	;; [unrolled: 6-line block ×3, first 2 shown]
	s_cbranch_execz .LBB14_6977
; %bb.6976:
	v_mov_b32_e32 v38, 0
	v_cvt_f64_f32_e32 v[36:37], v4
	v_mov_b32_e32 v39, v38
	flat_store_dwordx4 v[2:3], v[36:39]
                                        ; implicit-def: $vgpr4
                                        ; implicit-def: $vgpr2_vgpr3
.LBB14_6977:
	s_andn2_saveexec_b64 s[76:77], s[76:77]
	s_cbranch_execz .LBB14_6979
; %bb.6978:
	v_mov_b32_e32 v5, 0
	flat_store_dwordx2 v[2:3], v[4:5]
.LBB14_6979:
	s_or_b64 exec, exec, s[76:77]
                                        ; implicit-def: $vgpr4
                                        ; implicit-def: $vgpr2_vgpr3
.LBB14_6980:
	s_andn2_saveexec_b64 s[74:75], s[74:75]
	s_cbranch_execz .LBB14_6982
; %bb.6981:
	v_cvt_f16_f32_e32 v4, v4
	flat_store_dword v[2:3], v4
.LBB14_6982:
	s_or_b64 exec, exec, s[74:75]
                                        ; implicit-def: $vgpr4
                                        ; implicit-def: $vgpr2_vgpr3
.LBB14_6983:
	s_andn2_saveexec_b64 s[72:73], s[72:73]
	s_cbranch_execz .LBB14_6993
; %bb.6984:
	v_mov_b32_e32 v5, 5
	v_cmp_gt_i16_sdwa s[74:75], v11, v5 src0_sel:BYTE_0 src1_sel:DWORD
	s_and_saveexec_b64 s[76:77], s[74:75]
	s_xor_b64 s[74:75], exec, s[76:77]
	s_cbranch_execz .LBB14_6990
; %bb.6985:
	v_mov_b32_e32 v5, 6
	v_cmp_gt_i16_sdwa s[76:77], v11, v5 src0_sel:BYTE_0 src1_sel:DWORD
	s_and_saveexec_b64 s[78:79], s[76:77]
	s_xor_b64 s[76:77], exec, s[78:79]
	s_cbranch_execz .LBB14_6987
; %bb.6986:
	v_cvt_f64_f32_e32 v[4:5], v4
	flat_store_dwordx2 v[2:3], v[4:5]
                                        ; implicit-def: $vgpr2_vgpr3
                                        ; implicit-def: $vgpr4
.LBB14_6987:
	s_andn2_saveexec_b64 s[76:77], s[76:77]
	s_cbranch_execz .LBB14_6989
; %bb.6988:
	flat_store_dword v[2:3], v4
.LBB14_6989:
	s_or_b64 exec, exec, s[76:77]
                                        ; implicit-def: $vgpr4
                                        ; implicit-def: $vgpr2_vgpr3
.LBB14_6990:
	s_andn2_saveexec_b64 s[74:75], s[74:75]
	s_cbranch_execz .LBB14_6992
; %bb.6991:
	v_cvt_f16_f32_e32 v4, v4
	flat_store_short v[2:3], v4
.LBB14_6992:
	s_or_b64 exec, exec, s[74:75]
.LBB14_6993:
	s_or_b64 exec, exec, s[72:73]
                                        ; implicit-def: $vgpr4
                                        ; implicit-def: $vgpr2_vgpr3
.LBB14_6994:
	s_andn2_saveexec_b64 s[72:73], vcc
	s_cbranch_execz .LBB14_7012
; %bb.6995:
	v_mov_b32_e32 v5, 1
	v_cmp_gt_i16_sdwa vcc, v11, v5 src0_sel:BYTE_0 src1_sel:DWORD
	s_and_saveexec_b64 s[74:75], vcc
	s_xor_b64 s[74:75], exec, s[74:75]
	s_cbranch_execz .LBB14_7005
; %bb.6996:
	v_mov_b32_e32 v5, 2
	v_cmp_gt_i16_sdwa vcc, v11, v5 src0_sel:BYTE_0 src1_sel:DWORD
	s_and_saveexec_b64 s[76:77], vcc
	s_xor_b64 s[76:77], exec, s[76:77]
	s_cbranch_execz .LBB14_7002
; %bb.6997:
	v_mov_b32_e32 v5, 3
	v_cmp_gt_i16_sdwa vcc, v11, v5 src0_sel:BYTE_0 src1_sel:DWORD
	s_and_saveexec_b64 s[78:79], vcc
	s_xor_b64 s[78:79], exec, s[78:79]
	s_cbranch_execz .LBB14_6999
; %bb.6998:
	v_trunc_f32_e32 v4, v4
	s_mov_b32 s80, 0x2f800000
	v_mul_f32_e64 v5, |v4|, s80
	v_floor_f32_e32 v5, v5
	s_mov_b32 s80, 0xcf800000
	v_cvt_u32_f32_e32 v36, v5
	v_fma_f32 v5, v5, s80, |v4|
	v_cvt_u32_f32_e32 v5, v5
	v_ashrrev_i32_e32 v37, 31, v4
	v_xor_b32_e32 v36, v36, v37
	v_xor_b32_e32 v4, v5, v37
	v_sub_co_u32_e32 v4, vcc, v4, v37
	v_subb_co_u32_e32 v5, vcc, v36, v37, vcc
	flat_store_dwordx2 v[2:3], v[4:5]
                                        ; implicit-def: $vgpr4
                                        ; implicit-def: $vgpr2_vgpr3
.LBB14_6999:
	s_andn2_saveexec_b64 vcc, s[78:79]
	s_cbranch_execz .LBB14_7001
; %bb.7000:
	v_cvt_i32_f32_e32 v4, v4
	flat_store_dword v[2:3], v4
.LBB14_7001:
	s_or_b64 exec, exec, vcc
                                        ; implicit-def: $vgpr4
                                        ; implicit-def: $vgpr2_vgpr3
.LBB14_7002:
	s_andn2_saveexec_b64 vcc, s[76:77]
	s_cbranch_execz .LBB14_7004
; %bb.7003:
	v_cvt_i32_f32_e32 v4, v4
	flat_store_short v[2:3], v4
.LBB14_7004:
	s_or_b64 exec, exec, vcc
                                        ; implicit-def: $vgpr4
                                        ; implicit-def: $vgpr2_vgpr3
.LBB14_7005:
	s_andn2_saveexec_b64 vcc, s[74:75]
	s_cbranch_execz .LBB14_7011
; %bb.7006:
	v_mov_b32_e32 v5, 0
	v_cmp_gt_i16_sdwa s[74:75], v11, v5 src0_sel:BYTE_0 src1_sel:DWORD
	s_and_saveexec_b64 s[76:77], s[74:75]
	s_xor_b64 s[74:75], exec, s[76:77]
	s_cbranch_execz .LBB14_7008
; %bb.7007:
	v_cvt_i32_f32_e32 v4, v4
	flat_store_byte v[2:3], v4
                                        ; implicit-def: $vgpr4
                                        ; implicit-def: $vgpr2_vgpr3
.LBB14_7008:
	s_andn2_saveexec_b64 s[74:75], s[74:75]
	s_cbranch_execz .LBB14_7010
; %bb.7009:
	v_trunc_f32_e32 v4, v4
	s_mov_b32 s76, 0x2f800000
	v_mul_f32_e64 v5, |v4|, s76
	v_floor_f32_e32 v5, v5
	s_mov_b32 s76, 0xcf800000
	v_fma_f32 v5, v5, s76, |v4|
	v_cvt_u32_f32_e32 v5, v5
	v_ashrrev_i32_e32 v4, 31, v4
	v_xor_b32_e32 v5, v5, v4
	v_sub_u32_e32 v4, v5, v4
	flat_store_byte v[2:3], v4
.LBB14_7010:
	s_or_b64 exec, exec, s[74:75]
.LBB14_7011:
	s_or_b64 exec, exec, vcc
.LBB14_7012:
	s_or_b64 exec, exec, s[72:73]
	s_or_b64 s[4:5], s[4:5], exec
	s_or_b64 exec, exec, s[66:67]
	s_mov_b64 vcc, 0
	s_and_saveexec_b64 s[66:67], s[4:5]
	s_cbranch_execnz .LBB14_3909
	s_branch .LBB14_3910
.LBB14_7013:
	v_bfe_u32 v5, v4, 21, 1
	s_mov_b32 s60, 0x88fffff
	v_add3_u32 v5, v4, v5, s60
	s_mov_b64 s[58:59], exec
	v_lshrrev_b32_e32 v5, 21, v5
	s_or_saveexec_b64 s[60:61], vcc
                                        ; implicit-def: $sgpr62
	s_xor_b64 exec, exec, s[60:61]
	s_cbranch_execz .LBB14_6178
.LBB14_7014:
	s_mov_b32 s62, 0x42800000
	v_add_f32_e64 v5, |v4|, s62
	v_and_b32_e32 v5, 0xff, v5
	v_cmp_ne_u32_e32 vcc, 0, v5
	s_andn2_b64 s[58:59], s[58:59], exec
	s_and_b64 vcc, vcc, exec
	s_mov_b32 s62, 0
	s_or_b64 s[58:59], s[58:59], vcc
	s_or_b64 exec, exec, s[60:61]
	v_mov_b32_e32 v64, s62
	s_and_saveexec_b64 vcc, s[58:59]
	s_cbranch_execnz .LBB14_6179
	s_branch .LBB14_6180
.LBB14_7015:
	v_bfe_u32 v5, v4, 20, 1
	s_mov_b32 s62, 0x487ffff
	v_add3_u32 v5, v4, v5, s62
	s_mov_b64 s[60:61], exec
	v_lshrrev_b32_e32 v5, 20, v5
	s_or_saveexec_b64 s[62:63], vcc
                                        ; implicit-def: $sgpr64
	s_xor_b64 exec, exec, s[62:63]
	s_cbranch_execz .LBB14_6291
.LBB14_7016:
	s_mov_b32 s64, 0x46000000
	v_add_f32_e64 v5, |v4|, s64
	v_and_b32_e32 v5, 0xff, v5
	v_cmp_ne_u32_e32 vcc, 0, v5
	s_andn2_b64 s[60:61], s[60:61], exec
	s_and_b64 vcc, vcc, exec
	s_mov_b32 s64, 0
	s_or_b64 s[60:61], s[60:61], vcc
	s_or_b64 exec, exec, s[62:63]
	v_mov_b32_e32 v54, s64
	s_and_saveexec_b64 vcc, s[60:61]
	s_cbranch_execnz .LBB14_6292
	s_branch .LBB14_6293
.LBB14_7017:
	v_mov_b32_e32 v5, 25
	v_cmp_gt_i16_sdwa vcc, v11, v5 src0_sel:BYTE_0 src1_sel:DWORD
	s_mov_b64 s[74:75], s[66:67]
	s_and_saveexec_b64 s[76:77], vcc
	s_xor_b64 s[76:77], exec, s[76:77]
	s_cbranch_execz .LBB14_7053
; %bb.7018:
	v_mov_b32_e32 v5, 28
	v_cmp_gt_i16_sdwa vcc, v11, v5 src0_sel:BYTE_0 src1_sel:DWORD
	s_mov_b64 s[78:79], s[66:67]
	s_and_saveexec_b64 s[74:75], vcc
	s_xor_b64 s[74:75], exec, s[74:75]
	s_cbranch_execz .LBB14_7036
; %bb.7019:
	v_mov_b32_e32 v5, 43
	v_cmp_gt_i16_sdwa s[78:79], v11, v5 src0_sel:BYTE_0 src1_sel:DWORD
	s_mov_b64 vcc, s[66:67]
	s_and_saveexec_b64 s[80:81], s[78:79]
	s_xor_b64 s[78:79], exec, s[80:81]
	s_cbranch_execz .LBB14_7031
; %bb.7020:
	v_mov_b32_e32 v5, 45
	v_cmp_gt_i16_sdwa s[4:5], v11, v5 src0_sel:BYTE_0 src1_sel:DWORD
	s_mov_b64 s[80:81], 0
	s_mov_b64 s[82:83], s[66:67]
	s_and_saveexec_b64 vcc, s[4:5]
	s_xor_b64 s[4:5], exec, vcc
	s_cbranch_execz .LBB14_7024
; %bb.7021:
	v_mov_b32_e32 v5, 46
	v_cmp_eq_u16_sdwa s[84:85], v11, v5 src0_sel:BYTE_0 src1_sel:DWORD
	s_mov_b64 vcc, -1
	s_and_saveexec_b64 s[82:83], s[84:85]
	s_cbranch_execz .LBB14_7023
; %bb.7022:
	v_bfe_u32 v5, v4, 16, 1
	s_movk_i32 vcc_lo, 0x7fff
	v_add3_u32 v5, v4, v5, vcc_lo
	v_lshrrev_b32_e32 v5, 16, v5
	v_mov_b32_e32 v34, 0x7fc0
	v_cmp_o_f32_e32 vcc, v4, v4
	v_cndmask_b32_e32 v4, v34, v5, vcc
	s_mov_b64 s[80:81], exec
	flat_store_dword v[2:3], v4
	s_xor_b64 vcc, exec, -1
.LBB14_7023:
	s_or_b64 exec, exec, s[82:83]
	s_andn2_b64 s[82:83], s[66:67], exec
	s_and_b64 vcc, vcc, exec
	s_or_b64 s[82:83], s[82:83], vcc
	s_and_b64 s[80:81], s[80:81], exec
                                        ; implicit-def: $vgpr2_vgpr3
                                        ; implicit-def: $vgpr4
.LBB14_7024:
	s_andn2_saveexec_b64 s[84:85], s[4:5]
	s_cbranch_execz .LBB14_7030
; %bb.7025:
	v_mov_b32_e32 v5, 44
	v_cmp_eq_u16_sdwa s[88:89], v11, v5 src0_sel:BYTE_0 src1_sel:DWORD
	s_mov_b64 vcc, -1
	s_mov_b64 s[4:5], s[80:81]
	s_and_saveexec_b64 s[86:87], s[88:89]
	s_cbranch_execz .LBB14_7029
; %bb.7026:
	v_bfe_u32 v5, v4, 23, 8
	s_movk_i32 s4, 0xff
	v_cmp_ne_u32_e32 vcc, s4, v5
	v_mov_b32_e32 v34, 0xff
	s_and_saveexec_b64 s[88:89], vcc
; %bb.7027:
	s_mov_b32 s4, 0x3fffff
	v_lshrrev_b32_e32 v34, 23, v4
	v_and_b32_e32 v35, 0x400000, v4
	v_and_or_b32 v4, v4, s4, v5
	v_cmp_ne_u32_e32 vcc, 0, v35
	v_cmp_ne_u32_e64 s[4:5], 0, v4
	s_and_b64 s[4:5], vcc, s[4:5]
	v_cndmask_b32_e64 v4, 0, 1, s[4:5]
	v_add_u32_e32 v34, v34, v4
; %bb.7028:
	s_or_b64 exec, exec, s[88:89]
	s_xor_b64 vcc, exec, -1
	s_or_b64 s[4:5], s[80:81], exec
	flat_store_byte v[2:3], v34
.LBB14_7029:
	s_or_b64 exec, exec, s[86:87]
	s_andn2_b64 s[82:83], s[82:83], exec
	s_and_b64 vcc, vcc, exec
	s_or_b64 s[82:83], s[82:83], vcc
	s_andn2_b64 vcc, s[80:81], exec
	s_and_b64 s[4:5], s[4:5], exec
	s_or_b64 s[80:81], vcc, s[4:5]
.LBB14_7030:
	s_or_b64 exec, exec, s[84:85]
	s_andn2_b64 s[4:5], s[66:67], exec
	s_and_b64 vcc, s[82:83], exec
	s_or_b64 vcc, s[4:5], vcc
	s_and_b64 s[4:5], s[80:81], exec
                                        ; implicit-def: $vgpr4
                                        ; implicit-def: $vgpr2_vgpr3
.LBB14_7031:
	s_andn2_saveexec_b64 s[78:79], s[78:79]
	s_cbranch_execz .LBB14_7035
; %bb.7032:
	v_mov_b32_e32 v5, 29
	v_cmp_eq_u16_sdwa s[86:87], v11, v5 src0_sel:BYTE_0 src1_sel:DWORD
	s_mov_b64 s[84:85], -1
	s_mov_b64 s[82:83], s[4:5]
	s_and_saveexec_b64 s[80:81], s[86:87]
	s_cbranch_execz .LBB14_7034
; %bb.7033:
	v_trunc_f32_e32 v4, v4
	v_mul_f32_e32 v5, 0x2f800000, v4
	v_floor_f32_e32 v34, v5
	v_fmac_f32_e32 v4, 0xcf800000, v34
	v_cvt_u32_f32_e32 v5, v34
	v_cvt_u32_f32_e32 v4, v4
	s_xor_b64 s[84:85], exec, -1
	s_or_b64 s[82:83], s[4:5], exec
	flat_store_dwordx2 v[2:3], v[4:5]
.LBB14_7034:
	s_or_b64 exec, exec, s[80:81]
	s_andn2_b64 vcc, vcc, exec
	s_and_b64 s[80:81], s[84:85], exec
	s_or_b64 vcc, vcc, s[80:81]
	s_andn2_b64 s[4:5], s[4:5], exec
	s_and_b64 s[80:81], s[82:83], exec
	s_or_b64 s[4:5], s[4:5], s[80:81]
.LBB14_7035:
	s_or_b64 exec, exec, s[78:79]
	s_andn2_b64 s[78:79], s[66:67], exec
	s_and_b64 vcc, vcc, exec
	s_or_b64 s[78:79], s[78:79], vcc
	s_and_b64 s[4:5], s[4:5], exec
                                        ; implicit-def: $vgpr2_vgpr3
                                        ; implicit-def: $vgpr4
.LBB14_7036:
	s_andn2_saveexec_b64 s[74:75], s[74:75]
	s_cbranch_execz .LBB14_7052
; %bb.7037:
	v_mov_b32_e32 v5, 26
	v_cmp_gt_i16_sdwa vcc, v11, v5 src0_sel:BYTE_0 src1_sel:DWORD
	s_and_saveexec_b64 s[80:81], vcc
	s_xor_b64 vcc, exec, s[80:81]
	s_cbranch_execz .LBB14_7043
; %bb.7038:
	v_cvt_u32_f32_e32 v4, v4
	v_mov_b32_e32 v5, 27
	v_cmp_gt_i16_sdwa s[80:81], v11, v5 src0_sel:BYTE_0 src1_sel:DWORD
	s_and_saveexec_b64 s[82:83], s[80:81]
	s_xor_b64 s[80:81], exec, s[82:83]
	s_cbranch_execz .LBB14_7040
; %bb.7039:
	flat_store_dword v[2:3], v4
                                        ; implicit-def: $vgpr2_vgpr3
                                        ; implicit-def: $vgpr4
.LBB14_7040:
	s_andn2_saveexec_b64 s[80:81], s[80:81]
	s_cbranch_execz .LBB14_7042
; %bb.7041:
	flat_store_short v[2:3], v4
.LBB14_7042:
	s_or_b64 exec, exec, s[80:81]
                                        ; implicit-def: $vgpr2_vgpr3
                                        ; implicit-def: $vgpr4
.LBB14_7043:
	s_andn2_saveexec_b64 s[80:81], vcc
	s_cbranch_execz .LBB14_7051
; %bb.7044:
	v_and_b32_e32 v5, 0x7fffffff, v4
	s_mov_b32 vcc_lo, 0x43800000
	v_cmp_gt_u32_e32 vcc, vcc_lo, v5
	v_mov_b32_e32 v34, 0x80
	s_and_saveexec_b64 s[82:83], vcc
	s_cbranch_execz .LBB14_7050
; %bb.7045:
	s_mov_b32 vcc_lo, 0x3bffffff
	v_cmp_lt_u32_e32 vcc, vcc_lo, v5
	s_mov_b64 s[84:85], 0
                                        ; implicit-def: $vgpr5
	s_and_saveexec_b64 s[86:87], vcc
	s_xor_b64 vcc, exec, s[86:87]
	s_cbranch_execnz .LBB14_7771
; %bb.7046:
	s_or_saveexec_b64 s[86:87], vcc
                                        ; implicit-def: $sgpr88
	s_xor_b64 exec, exec, s[86:87]
	s_cbranch_execnz .LBB14_7772
.LBB14_7047:
	s_or_b64 exec, exec, s[86:87]
	v_mov_b32_e32 v34, s88
	s_and_saveexec_b64 vcc, s[84:85]
.LBB14_7048:
	v_lshrrev_b32_e32 v4, 24, v4
	s_movk_i32 s84, 0x80
	v_and_or_b32 v34, v4, s84, v5
.LBB14_7049:
	s_or_b64 exec, exec, vcc
.LBB14_7050:
	s_or_b64 exec, exec, s[82:83]
	flat_store_byte v[2:3], v34
.LBB14_7051:
	s_or_b64 exec, exec, s[80:81]
	s_or_b64 s[4:5], s[4:5], exec
.LBB14_7052:
	s_or_b64 exec, exec, s[74:75]
	s_andn2_b64 vcc, s[66:67], exec
	s_and_b64 s[74:75], s[78:79], exec
	s_or_b64 s[74:75], vcc, s[74:75]
	s_and_b64 s[4:5], s[4:5], exec
                                        ; implicit-def: $vgpr4
                                        ; implicit-def: $vgpr2_vgpr3
.LBB14_7053:
	s_andn2_saveexec_b64 s[76:77], s[76:77]
	s_cbranch_execz .LBB14_7097
; %bb.7054:
	v_mov_b32_e32 v5, 22
	v_cmp_gt_i16_sdwa vcc, v11, v5 src0_sel:BYTE_0 src1_sel:DWORD
	s_mov_b64 s[80:81], s[4:5]
	s_and_saveexec_b64 s[78:79], vcc
	s_xor_b64 s[78:79], exec, s[78:79]
	s_cbranch_execz .LBB14_7086
; %bb.7055:
	v_mov_b32_e32 v5, 23
	v_cmp_gt_i16_sdwa vcc, v11, v5 src0_sel:BYTE_0 src1_sel:DWORD
	s_and_saveexec_b64 s[80:81], vcc
	s_xor_b64 s[80:81], exec, s[80:81]
	s_cbranch_execz .LBB14_7075
; %bb.7056:
	v_mov_b32_e32 v5, 24
	v_cmp_gt_i16_sdwa vcc, v11, v5 src0_sel:BYTE_0 src1_sel:DWORD
	s_and_saveexec_b64 s[82:83], vcc
	s_xor_b64 s[82:83], exec, s[82:83]
	s_cbranch_execz .LBB14_7064
; %bb.7057:
	v_and_b32_e32 v5, 0x7fffffff, v4
	s_mov_b32 vcc_lo, 0x47800000
	v_cmp_gt_u32_e32 vcc, vcc_lo, v5
	v_mov_b32_e32 v34, 0x80
	s_and_saveexec_b64 s[84:85], vcc
	s_cbranch_execz .LBB14_7063
; %bb.7058:
	s_mov_b32 vcc_lo, 0x37ffffff
	v_cmp_lt_u32_e32 vcc, vcc_lo, v5
	s_mov_b64 s[86:87], 0
                                        ; implicit-def: $vgpr5
	s_and_saveexec_b64 s[88:89], vcc
	s_xor_b64 vcc, exec, s[88:89]
	s_cbranch_execnz .LBB14_7773
; %bb.7059:
	s_or_saveexec_b64 s[88:89], vcc
                                        ; implicit-def: $sgpr90
	s_xor_b64 exec, exec, s[88:89]
	s_cbranch_execnz .LBB14_7774
.LBB14_7060:
	s_or_b64 exec, exec, s[88:89]
	v_mov_b32_e32 v34, s90
	s_and_saveexec_b64 vcc, s[86:87]
.LBB14_7061:
	v_lshrrev_b32_e32 v4, 24, v4
	s_movk_i32 s86, 0x80
	v_and_or_b32 v34, v4, s86, v5
.LBB14_7062:
	s_or_b64 exec, exec, vcc
.LBB14_7063:
	s_or_b64 exec, exec, s[84:85]
	flat_store_byte v[2:3], v34
                                        ; implicit-def: $vgpr4
                                        ; implicit-def: $vgpr2_vgpr3
.LBB14_7064:
	s_andn2_saveexec_b64 s[82:83], s[82:83]
	s_cbranch_execz .LBB14_7074
; %bb.7065:
	v_and_b32_e32 v34, 0x7fffffff, v4
	s_mov_b32 vcc_lo, 0x43f00000
	v_cmp_gt_u32_e32 vcc, vcc_lo, v34
                                        ; implicit-def: $vgpr5
	s_and_saveexec_b64 s[84:85], vcc
	s_xor_b64 s[84:85], exec, s[84:85]
	s_cbranch_execz .LBB14_7071
; %bb.7066:
	s_mov_b32 vcc_lo, 0x3c7fffff
	v_cmp_lt_u32_e32 vcc, vcc_lo, v34
                                        ; implicit-def: $vgpr5
	s_and_saveexec_b64 s[86:87], vcc
	s_xor_b64 s[86:87], exec, s[86:87]
; %bb.7067:
	v_bfe_u32 v5, v4, 20, 1
	s_mov_b32 vcc_lo, 0x407ffff
	v_add3_u32 v5, v4, v5, vcc_lo
	v_lshrrev_b32_e32 v34, 20, v5
	v_and_b32_e32 v5, 0xff00000, v5
	s_mov_b32 vcc_lo, 0x7f00000
	v_mov_b32_e32 v35, 0x7e
	v_cmp_ne_u32_e32 vcc, vcc_lo, v5
	v_cndmask_b32_e32 v5, v35, v34, vcc
; %bb.7068:
	s_andn2_saveexec_b64 vcc, s[86:87]
; %bb.7069:
	s_mov_b32 s86, 0x46800000
	v_add_f32_e64 v5, |v4|, s86
; %bb.7070:
	s_or_b64 exec, exec, vcc
                                        ; implicit-def: $vgpr34
.LBB14_7071:
	s_andn2_saveexec_b64 s[84:85], s[84:85]
; %bb.7072:
	s_mov_b32 vcc_lo, 0x7f800000
	v_mov_b32_e32 v5, 0x7e
	v_mov_b32_e32 v35, 0x7f
	v_cmp_lt_u32_e32 vcc, vcc_lo, v34
	v_cndmask_b32_e32 v5, v5, v35, vcc
; %bb.7073:
	s_or_b64 exec, exec, s[84:85]
	v_lshrrev_b32_e32 v4, 24, v4
	s_movk_i32 vcc_lo, 0x80
	v_and_or_b32 v4, v4, vcc_lo, v5
	flat_store_byte v[2:3], v4
.LBB14_7074:
	s_or_b64 exec, exec, s[82:83]
                                        ; implicit-def: $vgpr4
                                        ; implicit-def: $vgpr2_vgpr3
.LBB14_7075:
	s_andn2_saveexec_b64 s[80:81], s[80:81]
	s_cbranch_execz .LBB14_7085
; %bb.7076:
	v_and_b32_e32 v34, 0x7fffffff, v4
	s_mov_b32 vcc_lo, 0x47800000
	v_cmp_gt_u32_e32 vcc, vcc_lo, v34
                                        ; implicit-def: $vgpr5
	s_and_saveexec_b64 s[82:83], vcc
	s_xor_b64 s[82:83], exec, s[82:83]
	s_cbranch_execz .LBB14_7082
; %bb.7077:
	s_mov_b32 vcc_lo, 0x387fffff
	v_cmp_lt_u32_e32 vcc, vcc_lo, v34
                                        ; implicit-def: $vgpr5
	s_and_saveexec_b64 s[84:85], vcc
	s_xor_b64 vcc, exec, s[84:85]
; %bb.7078:
	v_bfe_u32 v5, v4, 21, 1
	s_mov_b32 s84, 0x80fffff
	v_add3_u32 v5, v4, v5, s84
	v_lshrrev_b32_e32 v5, 21, v5
; %bb.7079:
	s_andn2_saveexec_b64 vcc, vcc
; %bb.7080:
	s_mov_b32 s84, 0x43000000
	v_add_f32_e64 v5, |v4|, s84
; %bb.7081:
	s_or_b64 exec, exec, vcc
                                        ; implicit-def: $vgpr34
.LBB14_7082:
	s_andn2_saveexec_b64 s[82:83], s[82:83]
; %bb.7083:
	s_mov_b32 vcc_lo, 0x7f800000
	v_mov_b32_e32 v5, 0x7c
	v_mov_b32_e32 v35, 0x7f
	v_cmp_lt_u32_e32 vcc, vcc_lo, v34
	v_cndmask_b32_e32 v5, v5, v35, vcc
; %bb.7084:
	s_or_b64 exec, exec, s[82:83]
	v_lshrrev_b32_e32 v4, 24, v4
	s_movk_i32 vcc_lo, 0x80
	v_and_or_b32 v4, v4, vcc_lo, v5
	flat_store_byte v[2:3], v4
.LBB14_7085:
	s_or_b64 exec, exec, s[80:81]
	s_or_b64 s[80:81], s[4:5], exec
                                        ; implicit-def: $vgpr4
                                        ; implicit-def: $vgpr2_vgpr3
.LBB14_7086:
	s_or_saveexec_b64 s[78:79], s[78:79]
	s_mov_b64 vcc, s[74:75]
	s_xor_b64 exec, exec, s[78:79]
	s_cbranch_execz .LBB14_7096
; %bb.7087:
	v_mov_b32_e32 v5, 14
	v_cmp_gt_i16_sdwa vcc, v11, v5 src0_sel:BYTE_0 src1_sel:DWORD
	s_mov_b64 s[82:83], s[80:81]
	s_mov_b64 s[84:85], s[74:75]
	s_and_saveexec_b64 s[86:87], vcc
	s_xor_b64 s[86:87], exec, s[86:87]
	s_cbranch_execz .LBB14_7091
; %bb.7088:
	v_mov_b32_e32 v5, 15
	v_cmp_eq_u16_sdwa s[88:89], v11, v5 src0_sel:BYTE_0 src1_sel:DWORD
	s_mov_b64 s[84:85], -1
	s_mov_b64 vcc, s[80:81]
	s_and_saveexec_b64 s[82:83], s[88:89]
	s_cbranch_execz .LBB14_7090
; %bb.7089:
	v_bfe_u32 v5, v4, 16, 1
	s_movk_i32 vcc_lo, 0x7fff
	v_add3_u32 v5, v4, v5, vcc_lo
	v_lshrrev_b32_e32 v5, 16, v5
	v_mov_b32_e32 v34, 0x7fc0
	v_cmp_o_f32_e32 vcc, v4, v4
	v_cndmask_b32_e32 v4, v34, v5, vcc
	flat_store_short v[2:3], v4
	s_xor_b64 s[84:85], exec, -1
	s_or_b64 vcc, s[80:81], exec
.LBB14_7090:
	s_or_b64 exec, exec, s[82:83]
	s_andn2_b64 s[82:83], s[74:75], exec
	s_and_b64 s[84:85], s[84:85], exec
	s_or_b64 s[84:85], s[82:83], s[84:85]
	s_andn2_b64 s[82:83], s[80:81], exec
	s_and_b64 vcc, vcc, exec
	s_or_b64 s[82:83], s[82:83], vcc
                                        ; implicit-def: $vgpr4
                                        ; implicit-def: $vgpr2_vgpr3
.LBB14_7091:
	s_andn2_saveexec_b64 s[86:87], s[86:87]
	s_cbranch_execz .LBB14_7095
; %bb.7092:
	v_mov_b32_e32 v5, 11
	v_cmp_eq_u16_sdwa s[92:93], v11, v5 src0_sel:BYTE_0 src1_sel:DWORD
	s_mov_b64 s[88:89], -1
	s_mov_b64 vcc, s[82:83]
	s_and_saveexec_b64 s[90:91], s[92:93]
	s_cbranch_execz .LBB14_7094
; %bb.7093:
	v_cmp_neq_f32_e32 vcc, 0, v4
	v_cndmask_b32_e64 v4, 0, 1, vcc
	flat_store_byte v[2:3], v4
	s_xor_b64 s[88:89], exec, -1
	s_or_b64 vcc, s[82:83], exec
.LBB14_7094:
	s_or_b64 exec, exec, s[90:91]
	s_andn2_b64 s[84:85], s[84:85], exec
	s_and_b64 s[88:89], s[88:89], exec
	s_andn2_b64 s[82:83], s[82:83], exec
	s_and_b64 vcc, vcc, exec
	s_or_b64 s[84:85], s[84:85], s[88:89]
	s_or_b64 s[82:83], s[82:83], vcc
.LBB14_7095:
	s_or_b64 exec, exec, s[86:87]
	s_andn2_b64 vcc, s[74:75], exec
	s_and_b64 s[84:85], s[84:85], exec
	s_andn2_b64 s[80:81], s[80:81], exec
	s_and_b64 s[82:83], s[82:83], exec
	s_or_b64 vcc, vcc, s[84:85]
	s_or_b64 s[80:81], s[80:81], s[82:83]
.LBB14_7096:
	s_or_b64 exec, exec, s[78:79]
	s_andn2_b64 s[74:75], s[74:75], exec
	s_and_b64 vcc, vcc, exec
	s_or_b64 s[74:75], s[74:75], vcc
	s_andn2_b64 s[4:5], s[4:5], exec
	s_and_b64 vcc, s[80:81], exec
	s_or_b64 s[4:5], s[4:5], vcc
.LBB14_7097:
	s_or_b64 exec, exec, s[76:77]
	s_andn2_b64 vcc, s[66:67], exec
	s_and_b64 s[74:75], s[74:75], exec
	s_or_b64 s[74:75], vcc, s[74:75]
	s_and_b64 s[4:5], s[4:5], exec
                                        ; implicit-def: $vgpr4
                                        ; implicit-def: $vgpr2_vgpr3
	s_andn2_saveexec_b64 s[70:71], s[70:71]
	s_cbranch_execz .LBB14_3915
.LBB14_7098:
	v_mov_b32_e32 v5, 4
	v_cmp_gt_i16_sdwa vcc, v11, v5 src0_sel:BYTE_0 src1_sel:DWORD
	s_and_saveexec_b64 s[76:77], vcc
	s_xor_b64 vcc, exec, s[76:77]
	s_cbranch_execz .LBB14_7120
; %bb.7099:
	v_mov_b32_e32 v5, 7
	v_cmp_gt_i16_sdwa s[76:77], v11, v5 src0_sel:BYTE_0 src1_sel:DWORD
	s_and_saveexec_b64 s[78:79], s[76:77]
	s_xor_b64 s[76:77], exec, s[78:79]
	s_cbranch_execz .LBB14_7109
; %bb.7100:
	v_mov_b32_e32 v5, 8
	v_cmp_gt_i16_sdwa s[78:79], v11, v5 src0_sel:BYTE_0 src1_sel:DWORD
	s_and_saveexec_b64 s[80:81], s[78:79]
	s_xor_b64 s[78:79], exec, s[80:81]
	;; [unrolled: 6-line block ×3, first 2 shown]
	s_cbranch_execz .LBB14_7103
; %bb.7102:
	v_mov_b32_e32 v36, 0
	v_cvt_f64_f32_e32 v[34:35], v4
	v_mov_b32_e32 v37, v36
	flat_store_dwordx4 v[2:3], v[34:37]
                                        ; implicit-def: $vgpr4
                                        ; implicit-def: $vgpr2_vgpr3
.LBB14_7103:
	s_andn2_saveexec_b64 s[80:81], s[80:81]
	s_cbranch_execz .LBB14_7105
; %bb.7104:
	v_mov_b32_e32 v5, 0
	flat_store_dwordx2 v[2:3], v[4:5]
.LBB14_7105:
	s_or_b64 exec, exec, s[80:81]
                                        ; implicit-def: $vgpr4
                                        ; implicit-def: $vgpr2_vgpr3
.LBB14_7106:
	s_andn2_saveexec_b64 s[78:79], s[78:79]
	s_cbranch_execz .LBB14_7108
; %bb.7107:
	v_cvt_f16_f32_e32 v4, v4
	flat_store_dword v[2:3], v4
.LBB14_7108:
	s_or_b64 exec, exec, s[78:79]
                                        ; implicit-def: $vgpr4
                                        ; implicit-def: $vgpr2_vgpr3
.LBB14_7109:
	s_andn2_saveexec_b64 s[76:77], s[76:77]
	s_cbranch_execz .LBB14_7119
; %bb.7110:
	v_mov_b32_e32 v5, 5
	v_cmp_gt_i16_sdwa s[78:79], v11, v5 src0_sel:BYTE_0 src1_sel:DWORD
	s_and_saveexec_b64 s[80:81], s[78:79]
	s_xor_b64 s[78:79], exec, s[80:81]
	s_cbranch_execz .LBB14_7116
; %bb.7111:
	v_mov_b32_e32 v5, 6
	v_cmp_gt_i16_sdwa s[80:81], v11, v5 src0_sel:BYTE_0 src1_sel:DWORD
	s_and_saveexec_b64 s[82:83], s[80:81]
	s_xor_b64 s[80:81], exec, s[82:83]
	s_cbranch_execz .LBB14_7113
; %bb.7112:
	v_cvt_f64_f32_e32 v[4:5], v4
	flat_store_dwordx2 v[2:3], v[4:5]
                                        ; implicit-def: $vgpr2_vgpr3
                                        ; implicit-def: $vgpr4
.LBB14_7113:
	s_andn2_saveexec_b64 s[80:81], s[80:81]
	s_cbranch_execz .LBB14_7115
; %bb.7114:
	flat_store_dword v[2:3], v4
.LBB14_7115:
	s_or_b64 exec, exec, s[80:81]
                                        ; implicit-def: $vgpr4
                                        ; implicit-def: $vgpr2_vgpr3
.LBB14_7116:
	s_andn2_saveexec_b64 s[78:79], s[78:79]
	s_cbranch_execz .LBB14_7118
; %bb.7117:
	v_cvt_f16_f32_e32 v4, v4
	flat_store_short v[2:3], v4
.LBB14_7118:
	s_or_b64 exec, exec, s[78:79]
.LBB14_7119:
	s_or_b64 exec, exec, s[76:77]
                                        ; implicit-def: $vgpr4
                                        ; implicit-def: $vgpr2_vgpr3
.LBB14_7120:
	s_andn2_saveexec_b64 s[76:77], vcc
	s_cbranch_execz .LBB14_7138
; %bb.7121:
	v_mov_b32_e32 v5, 1
	v_cmp_gt_i16_sdwa vcc, v11, v5 src0_sel:BYTE_0 src1_sel:DWORD
	s_and_saveexec_b64 s[78:79], vcc
	s_xor_b64 s[78:79], exec, s[78:79]
	s_cbranch_execz .LBB14_7131
; %bb.7122:
	v_mov_b32_e32 v5, 2
	v_cmp_gt_i16_sdwa vcc, v11, v5 src0_sel:BYTE_0 src1_sel:DWORD
	s_and_saveexec_b64 s[80:81], vcc
	s_xor_b64 s[80:81], exec, s[80:81]
	;; [unrolled: 6-line block ×3, first 2 shown]
	s_cbranch_execz .LBB14_7125
; %bb.7124:
	v_trunc_f32_e32 v4, v4
	s_mov_b32 s84, 0x2f800000
	v_mul_f32_e64 v5, |v4|, s84
	v_floor_f32_e32 v5, v5
	s_mov_b32 s84, 0xcf800000
	v_cvt_u32_f32_e32 v34, v5
	v_fma_f32 v5, v5, s84, |v4|
	v_cvt_u32_f32_e32 v5, v5
	v_ashrrev_i32_e32 v35, 31, v4
	v_xor_b32_e32 v34, v34, v35
	v_xor_b32_e32 v4, v5, v35
	v_sub_co_u32_e32 v4, vcc, v4, v35
	v_subb_co_u32_e32 v5, vcc, v34, v35, vcc
	flat_store_dwordx2 v[2:3], v[4:5]
                                        ; implicit-def: $vgpr4
                                        ; implicit-def: $vgpr2_vgpr3
.LBB14_7125:
	s_andn2_saveexec_b64 vcc, s[82:83]
	s_cbranch_execz .LBB14_7127
; %bb.7126:
	v_cvt_i32_f32_e32 v4, v4
	flat_store_dword v[2:3], v4
.LBB14_7127:
	s_or_b64 exec, exec, vcc
                                        ; implicit-def: $vgpr4
                                        ; implicit-def: $vgpr2_vgpr3
.LBB14_7128:
	s_andn2_saveexec_b64 vcc, s[80:81]
	s_cbranch_execz .LBB14_7130
; %bb.7129:
	v_cvt_i32_f32_e32 v4, v4
	flat_store_short v[2:3], v4
.LBB14_7130:
	s_or_b64 exec, exec, vcc
                                        ; implicit-def: $vgpr4
                                        ; implicit-def: $vgpr2_vgpr3
.LBB14_7131:
	s_andn2_saveexec_b64 vcc, s[78:79]
	s_cbranch_execz .LBB14_7137
; %bb.7132:
	v_mov_b32_e32 v5, 0
	v_cmp_gt_i16_sdwa s[78:79], v11, v5 src0_sel:BYTE_0 src1_sel:DWORD
	s_and_saveexec_b64 s[80:81], s[78:79]
	s_xor_b64 s[78:79], exec, s[80:81]
	s_cbranch_execz .LBB14_7134
; %bb.7133:
	v_cvt_i32_f32_e32 v4, v4
	flat_store_byte v[2:3], v4
                                        ; implicit-def: $vgpr4
                                        ; implicit-def: $vgpr2_vgpr3
.LBB14_7134:
	s_andn2_saveexec_b64 s[78:79], s[78:79]
	s_cbranch_execz .LBB14_7136
; %bb.7135:
	v_trunc_f32_e32 v4, v4
	s_mov_b32 s80, 0x2f800000
	v_mul_f32_e64 v5, |v4|, s80
	v_floor_f32_e32 v5, v5
	s_mov_b32 s80, 0xcf800000
	v_fma_f32 v5, v5, s80, |v4|
	v_cvt_u32_f32_e32 v5, v5
	v_ashrrev_i32_e32 v4, 31, v4
	v_xor_b32_e32 v5, v5, v4
	v_sub_u32_e32 v4, v5, v4
	flat_store_byte v[2:3], v4
.LBB14_7136:
	s_or_b64 exec, exec, s[78:79]
.LBB14_7137:
	s_or_b64 exec, exec, vcc
.LBB14_7138:
	s_or_b64 exec, exec, s[76:77]
	s_or_b64 s[4:5], s[4:5], exec
	s_or_b64 exec, exec, s[70:71]
	s_mov_b64 vcc, 0
	s_and_saveexec_b64 s[70:71], s[4:5]
	s_cbranch_execnz .LBB14_3916
	s_branch .LBB14_3917
.LBB14_7139:
	v_bfe_u32 v5, v4, 21, 1
	s_mov_b32 s64, 0x88fffff
	v_add3_u32 v5, v4, v5, s64
	s_mov_b64 s[62:63], exec
	v_lshrrev_b32_e32 v5, 21, v5
	s_or_saveexec_b64 s[64:65], vcc
                                        ; implicit-def: $sgpr66
	s_xor_b64 exec, exec, s[64:65]
	s_cbranch_execz .LBB14_6304
.LBB14_7140:
	s_mov_b32 s66, 0x42800000
	v_add_f32_e64 v5, |v4|, s66
	v_and_b32_e32 v5, 0xff, v5
	v_cmp_ne_u32_e32 vcc, 0, v5
	s_andn2_b64 s[62:63], s[62:63], exec
	s_and_b64 vcc, vcc, exec
	s_mov_b32 s66, 0
	s_or_b64 s[62:63], s[62:63], vcc
	s_or_b64 exec, exec, s[64:65]
	v_mov_b32_e32 v54, s66
	s_and_saveexec_b64 vcc, s[62:63]
	s_cbranch_execnz .LBB14_6305
	s_branch .LBB14_6306
.LBB14_7141:
	v_bfe_u32 v5, v4, 20, 1
	s_mov_b32 s66, 0x487ffff
	v_add3_u32 v5, v4, v5, s66
	s_mov_b64 s[64:65], exec
	v_lshrrev_b32_e32 v5, 20, v5
	s_or_saveexec_b64 s[66:67], vcc
                                        ; implicit-def: $sgpr68
	s_xor_b64 exec, exec, s[66:67]
	s_cbranch_execz .LBB14_6417
.LBB14_7142:
	s_mov_b32 s68, 0x46000000
	v_add_f32_e64 v5, |v4|, s68
	v_and_b32_e32 v5, 0xff, v5
	v_cmp_ne_u32_e32 vcc, 0, v5
	s_andn2_b64 s[64:65], s[64:65], exec
	s_and_b64 vcc, vcc, exec
	s_mov_b32 s68, 0
	s_or_b64 s[64:65], s[64:65], vcc
	s_or_b64 exec, exec, s[66:67]
	v_mov_b32_e32 v52, s68
	s_and_saveexec_b64 vcc, s[64:65]
	s_cbranch_execnz .LBB14_6418
	s_branch .LBB14_6419
.LBB14_7143:
	v_mov_b32_e32 v5, 25
	v_cmp_gt_i16_sdwa vcc, v11, v5 src0_sel:BYTE_0 src1_sel:DWORD
	s_mov_b64 s[78:79], s[70:71]
	s_and_saveexec_b64 s[80:81], vcc
	s_xor_b64 s[80:81], exec, s[80:81]
	s_cbranch_execz .LBB14_7179
; %bb.7144:
	v_mov_b32_e32 v5, 28
	v_cmp_gt_i16_sdwa vcc, v11, v5 src0_sel:BYTE_0 src1_sel:DWORD
	s_mov_b64 s[82:83], s[70:71]
	s_and_saveexec_b64 s[78:79], vcc
	s_xor_b64 s[78:79], exec, s[78:79]
	s_cbranch_execz .LBB14_7162
; %bb.7145:
	v_mov_b32_e32 v5, 43
	v_cmp_gt_i16_sdwa s[82:83], v11, v5 src0_sel:BYTE_0 src1_sel:DWORD
	s_mov_b64 vcc, s[70:71]
	s_and_saveexec_b64 s[84:85], s[82:83]
	s_xor_b64 s[82:83], exec, s[84:85]
	s_cbranch_execz .LBB14_7157
; %bb.7146:
	v_mov_b32_e32 v5, 45
	v_cmp_gt_i16_sdwa s[4:5], v11, v5 src0_sel:BYTE_0 src1_sel:DWORD
	s_mov_b64 s[84:85], 0
	s_mov_b64 s[86:87], s[70:71]
	s_and_saveexec_b64 vcc, s[4:5]
	s_xor_b64 s[4:5], exec, vcc
	s_cbranch_execz .LBB14_7150
; %bb.7147:
	v_mov_b32_e32 v5, 46
	v_cmp_eq_u16_sdwa s[88:89], v11, v5 src0_sel:BYTE_0 src1_sel:DWORD
	s_mov_b64 vcc, -1
	s_and_saveexec_b64 s[86:87], s[88:89]
	s_cbranch_execz .LBB14_7149
; %bb.7148:
	v_bfe_u32 v5, v4, 16, 1
	s_movk_i32 vcc_lo, 0x7fff
	v_add3_u32 v5, v4, v5, vcc_lo
	v_lshrrev_b32_e32 v5, 16, v5
	v_mov_b32_e32 v32, 0x7fc0
	v_cmp_o_f32_e32 vcc, v4, v4
	v_cndmask_b32_e32 v4, v32, v5, vcc
	s_mov_b64 s[84:85], exec
	flat_store_dword v[2:3], v4
	s_xor_b64 vcc, exec, -1
.LBB14_7149:
	s_or_b64 exec, exec, s[86:87]
	s_andn2_b64 s[86:87], s[70:71], exec
	s_and_b64 vcc, vcc, exec
	s_or_b64 s[86:87], s[86:87], vcc
	s_and_b64 s[84:85], s[84:85], exec
                                        ; implicit-def: $vgpr2_vgpr3
                                        ; implicit-def: $vgpr4
.LBB14_7150:
	s_andn2_saveexec_b64 s[88:89], s[4:5]
	s_cbranch_execz .LBB14_7156
; %bb.7151:
	v_mov_b32_e32 v5, 44
	v_cmp_eq_u16_sdwa s[92:93], v11, v5 src0_sel:BYTE_0 src1_sel:DWORD
	s_mov_b64 vcc, -1
	s_mov_b64 s[4:5], s[84:85]
	s_and_saveexec_b64 s[90:91], s[92:93]
	s_cbranch_execz .LBB14_7155
; %bb.7152:
	v_bfe_u32 v5, v4, 23, 8
	s_movk_i32 s4, 0xff
	v_cmp_ne_u32_e32 vcc, s4, v5
	v_mov_b32_e32 v32, 0xff
	s_and_saveexec_b64 s[92:93], vcc
; %bb.7153:
	s_mov_b32 s4, 0x3fffff
	v_lshrrev_b32_e32 v32, 23, v4
	v_and_b32_e32 v33, 0x400000, v4
	v_and_or_b32 v4, v4, s4, v5
	v_cmp_ne_u32_e32 vcc, 0, v33
	v_cmp_ne_u32_e64 s[4:5], 0, v4
	s_and_b64 s[4:5], vcc, s[4:5]
	v_cndmask_b32_e64 v4, 0, 1, s[4:5]
	v_add_u32_e32 v32, v32, v4
; %bb.7154:
	s_or_b64 exec, exec, s[92:93]
	s_xor_b64 vcc, exec, -1
	s_or_b64 s[4:5], s[84:85], exec
	flat_store_byte v[2:3], v32
.LBB14_7155:
	s_or_b64 exec, exec, s[90:91]
	s_andn2_b64 s[86:87], s[86:87], exec
	s_and_b64 vcc, vcc, exec
	s_or_b64 s[86:87], s[86:87], vcc
	s_andn2_b64 vcc, s[84:85], exec
	s_and_b64 s[4:5], s[4:5], exec
	s_or_b64 s[84:85], vcc, s[4:5]
.LBB14_7156:
	s_or_b64 exec, exec, s[88:89]
	s_andn2_b64 s[4:5], s[70:71], exec
	s_and_b64 vcc, s[86:87], exec
	s_or_b64 vcc, s[4:5], vcc
	s_and_b64 s[4:5], s[84:85], exec
                                        ; implicit-def: $vgpr4
                                        ; implicit-def: $vgpr2_vgpr3
.LBB14_7157:
	s_andn2_saveexec_b64 s[82:83], s[82:83]
	s_cbranch_execz .LBB14_7161
; %bb.7158:
	v_mov_b32_e32 v5, 29
	v_cmp_eq_u16_sdwa s[90:91], v11, v5 src0_sel:BYTE_0 src1_sel:DWORD
	s_mov_b64 s[88:89], -1
	s_mov_b64 s[86:87], s[4:5]
	s_and_saveexec_b64 s[84:85], s[90:91]
	s_cbranch_execz .LBB14_7160
; %bb.7159:
	v_trunc_f32_e32 v4, v4
	v_mul_f32_e32 v5, 0x2f800000, v4
	v_floor_f32_e32 v32, v5
	v_fmac_f32_e32 v4, 0xcf800000, v32
	v_cvt_u32_f32_e32 v5, v32
	v_cvt_u32_f32_e32 v4, v4
	s_xor_b64 s[88:89], exec, -1
	s_or_b64 s[86:87], s[4:5], exec
	flat_store_dwordx2 v[2:3], v[4:5]
.LBB14_7160:
	s_or_b64 exec, exec, s[84:85]
	s_andn2_b64 vcc, vcc, exec
	s_and_b64 s[84:85], s[88:89], exec
	s_or_b64 vcc, vcc, s[84:85]
	s_andn2_b64 s[4:5], s[4:5], exec
	s_and_b64 s[84:85], s[86:87], exec
	s_or_b64 s[4:5], s[4:5], s[84:85]
.LBB14_7161:
	s_or_b64 exec, exec, s[82:83]
	s_andn2_b64 s[82:83], s[70:71], exec
	s_and_b64 vcc, vcc, exec
	s_or_b64 s[82:83], s[82:83], vcc
	s_and_b64 s[4:5], s[4:5], exec
                                        ; implicit-def: $vgpr2_vgpr3
                                        ; implicit-def: $vgpr4
.LBB14_7162:
	s_andn2_saveexec_b64 s[78:79], s[78:79]
	s_cbranch_execz .LBB14_7178
; %bb.7163:
	v_mov_b32_e32 v5, 26
	v_cmp_gt_i16_sdwa vcc, v11, v5 src0_sel:BYTE_0 src1_sel:DWORD
	s_and_saveexec_b64 s[84:85], vcc
	s_xor_b64 vcc, exec, s[84:85]
	s_cbranch_execz .LBB14_7169
; %bb.7164:
	v_cvt_u32_f32_e32 v4, v4
	v_mov_b32_e32 v5, 27
	v_cmp_gt_i16_sdwa s[84:85], v11, v5 src0_sel:BYTE_0 src1_sel:DWORD
	s_and_saveexec_b64 s[86:87], s[84:85]
	s_xor_b64 s[84:85], exec, s[86:87]
	s_cbranch_execz .LBB14_7166
; %bb.7165:
	flat_store_dword v[2:3], v4
                                        ; implicit-def: $vgpr2_vgpr3
                                        ; implicit-def: $vgpr4
.LBB14_7166:
	s_andn2_saveexec_b64 s[84:85], s[84:85]
	s_cbranch_execz .LBB14_7168
; %bb.7167:
	flat_store_short v[2:3], v4
.LBB14_7168:
	s_or_b64 exec, exec, s[84:85]
                                        ; implicit-def: $vgpr2_vgpr3
                                        ; implicit-def: $vgpr4
.LBB14_7169:
	s_andn2_saveexec_b64 s[84:85], vcc
	s_cbranch_execz .LBB14_7177
; %bb.7170:
	v_and_b32_e32 v5, 0x7fffffff, v4
	s_mov_b32 vcc_lo, 0x43800000
	v_cmp_gt_u32_e32 vcc, vcc_lo, v5
	v_mov_b32_e32 v32, 0x80
	s_and_saveexec_b64 s[86:87], vcc
	s_cbranch_execz .LBB14_7176
; %bb.7171:
	s_mov_b32 vcc_lo, 0x3bffffff
	v_cmp_lt_u32_e32 vcc, vcc_lo, v5
	s_mov_b64 s[88:89], 0
                                        ; implicit-def: $vgpr5
	s_and_saveexec_b64 s[90:91], vcc
	s_xor_b64 vcc, exec, s[90:91]
	s_cbranch_execnz .LBB14_7775
; %bb.7172:
	s_or_saveexec_b64 s[90:91], vcc
                                        ; implicit-def: $sgpr92
	s_xor_b64 exec, exec, s[90:91]
	s_cbranch_execnz .LBB14_7776
.LBB14_7173:
	s_or_b64 exec, exec, s[90:91]
	v_mov_b32_e32 v32, s92
	s_and_saveexec_b64 vcc, s[88:89]
.LBB14_7174:
	v_lshrrev_b32_e32 v4, 24, v4
	s_movk_i32 s88, 0x80
	v_and_or_b32 v32, v4, s88, v5
.LBB14_7175:
	s_or_b64 exec, exec, vcc
.LBB14_7176:
	s_or_b64 exec, exec, s[86:87]
	flat_store_byte v[2:3], v32
.LBB14_7177:
	s_or_b64 exec, exec, s[84:85]
	s_or_b64 s[4:5], s[4:5], exec
.LBB14_7178:
	s_or_b64 exec, exec, s[78:79]
	s_andn2_b64 vcc, s[70:71], exec
	s_and_b64 s[78:79], s[82:83], exec
	s_or_b64 s[78:79], vcc, s[78:79]
	s_and_b64 s[4:5], s[4:5], exec
                                        ; implicit-def: $vgpr4
                                        ; implicit-def: $vgpr2_vgpr3
.LBB14_7179:
	s_andn2_saveexec_b64 s[80:81], s[80:81]
	s_cbranch_execz .LBB14_7223
; %bb.7180:
	v_mov_b32_e32 v5, 22
	v_cmp_gt_i16_sdwa vcc, v11, v5 src0_sel:BYTE_0 src1_sel:DWORD
	s_mov_b64 s[84:85], s[4:5]
	s_and_saveexec_b64 s[82:83], vcc
	s_xor_b64 s[82:83], exec, s[82:83]
	s_cbranch_execz .LBB14_7212
; %bb.7181:
	v_mov_b32_e32 v5, 23
	v_cmp_gt_i16_sdwa vcc, v11, v5 src0_sel:BYTE_0 src1_sel:DWORD
	s_and_saveexec_b64 s[84:85], vcc
	s_xor_b64 s[84:85], exec, s[84:85]
	s_cbranch_execz .LBB14_7201
; %bb.7182:
	v_mov_b32_e32 v5, 24
	v_cmp_gt_i16_sdwa vcc, v11, v5 src0_sel:BYTE_0 src1_sel:DWORD
	s_and_saveexec_b64 s[86:87], vcc
	s_xor_b64 s[86:87], exec, s[86:87]
	s_cbranch_execz .LBB14_7190
; %bb.7183:
	v_and_b32_e32 v5, 0x7fffffff, v4
	s_mov_b32 vcc_lo, 0x47800000
	v_cmp_gt_u32_e32 vcc, vcc_lo, v5
	v_mov_b32_e32 v32, 0x80
	s_and_saveexec_b64 s[88:89], vcc
	s_cbranch_execz .LBB14_7189
; %bb.7184:
	s_mov_b32 vcc_lo, 0x37ffffff
	v_cmp_lt_u32_e32 vcc, vcc_lo, v5
	s_mov_b64 s[90:91], 0
                                        ; implicit-def: $vgpr5
	s_and_saveexec_b64 s[92:93], vcc
	s_xor_b64 vcc, exec, s[92:93]
	s_cbranch_execnz .LBB14_7777
; %bb.7185:
	s_or_saveexec_b64 s[92:93], vcc
                                        ; implicit-def: $sgpr94
	s_xor_b64 exec, exec, s[92:93]
	s_cbranch_execnz .LBB14_7778
.LBB14_7186:
	s_or_b64 exec, exec, s[92:93]
	v_mov_b32_e32 v32, s94
	s_and_saveexec_b64 vcc, s[90:91]
.LBB14_7187:
	v_lshrrev_b32_e32 v4, 24, v4
	s_movk_i32 s90, 0x80
	v_and_or_b32 v32, v4, s90, v5
.LBB14_7188:
	s_or_b64 exec, exec, vcc
.LBB14_7189:
	s_or_b64 exec, exec, s[88:89]
	flat_store_byte v[2:3], v32
                                        ; implicit-def: $vgpr4
                                        ; implicit-def: $vgpr2_vgpr3
.LBB14_7190:
	s_andn2_saveexec_b64 s[86:87], s[86:87]
	s_cbranch_execz .LBB14_7200
; %bb.7191:
	v_and_b32_e32 v32, 0x7fffffff, v4
	s_mov_b32 vcc_lo, 0x43f00000
	v_cmp_gt_u32_e32 vcc, vcc_lo, v32
                                        ; implicit-def: $vgpr5
	s_and_saveexec_b64 s[88:89], vcc
	s_xor_b64 s[88:89], exec, s[88:89]
	s_cbranch_execz .LBB14_7197
; %bb.7192:
	s_mov_b32 vcc_lo, 0x3c7fffff
	v_cmp_lt_u32_e32 vcc, vcc_lo, v32
                                        ; implicit-def: $vgpr5
	s_and_saveexec_b64 s[90:91], vcc
	s_xor_b64 s[90:91], exec, s[90:91]
; %bb.7193:
	v_bfe_u32 v5, v4, 20, 1
	s_mov_b32 vcc_lo, 0x407ffff
	v_add3_u32 v5, v4, v5, vcc_lo
	v_lshrrev_b32_e32 v32, 20, v5
	v_and_b32_e32 v5, 0xff00000, v5
	s_mov_b32 vcc_lo, 0x7f00000
	v_mov_b32_e32 v33, 0x7e
	v_cmp_ne_u32_e32 vcc, vcc_lo, v5
	v_cndmask_b32_e32 v5, v33, v32, vcc
; %bb.7194:
	s_andn2_saveexec_b64 vcc, s[90:91]
; %bb.7195:
	s_mov_b32 s90, 0x46800000
	v_add_f32_e64 v5, |v4|, s90
; %bb.7196:
	s_or_b64 exec, exec, vcc
                                        ; implicit-def: $vgpr32
.LBB14_7197:
	s_andn2_saveexec_b64 s[88:89], s[88:89]
; %bb.7198:
	s_mov_b32 vcc_lo, 0x7f800000
	v_mov_b32_e32 v5, 0x7e
	v_mov_b32_e32 v33, 0x7f
	v_cmp_lt_u32_e32 vcc, vcc_lo, v32
	v_cndmask_b32_e32 v5, v5, v33, vcc
; %bb.7199:
	s_or_b64 exec, exec, s[88:89]
	v_lshrrev_b32_e32 v4, 24, v4
	s_movk_i32 vcc_lo, 0x80
	v_and_or_b32 v4, v4, vcc_lo, v5
	flat_store_byte v[2:3], v4
.LBB14_7200:
	s_or_b64 exec, exec, s[86:87]
                                        ; implicit-def: $vgpr4
                                        ; implicit-def: $vgpr2_vgpr3
.LBB14_7201:
	s_andn2_saveexec_b64 s[84:85], s[84:85]
	s_cbranch_execz .LBB14_7211
; %bb.7202:
	v_and_b32_e32 v32, 0x7fffffff, v4
	s_mov_b32 vcc_lo, 0x47800000
	v_cmp_gt_u32_e32 vcc, vcc_lo, v32
                                        ; implicit-def: $vgpr5
	s_and_saveexec_b64 s[86:87], vcc
	s_xor_b64 s[86:87], exec, s[86:87]
	s_cbranch_execz .LBB14_7208
; %bb.7203:
	s_mov_b32 vcc_lo, 0x387fffff
	v_cmp_lt_u32_e32 vcc, vcc_lo, v32
                                        ; implicit-def: $vgpr5
	s_and_saveexec_b64 s[88:89], vcc
	s_xor_b64 vcc, exec, s[88:89]
; %bb.7204:
	v_bfe_u32 v5, v4, 21, 1
	s_mov_b32 s88, 0x80fffff
	v_add3_u32 v5, v4, v5, s88
	v_lshrrev_b32_e32 v5, 21, v5
; %bb.7205:
	s_andn2_saveexec_b64 vcc, vcc
; %bb.7206:
	s_mov_b32 s88, 0x43000000
	v_add_f32_e64 v5, |v4|, s88
; %bb.7207:
	s_or_b64 exec, exec, vcc
                                        ; implicit-def: $vgpr32
.LBB14_7208:
	s_andn2_saveexec_b64 s[86:87], s[86:87]
; %bb.7209:
	s_mov_b32 vcc_lo, 0x7f800000
	v_mov_b32_e32 v5, 0x7c
	v_mov_b32_e32 v33, 0x7f
	v_cmp_lt_u32_e32 vcc, vcc_lo, v32
	v_cndmask_b32_e32 v5, v5, v33, vcc
; %bb.7210:
	s_or_b64 exec, exec, s[86:87]
	v_lshrrev_b32_e32 v4, 24, v4
	s_movk_i32 vcc_lo, 0x80
	v_and_or_b32 v4, v4, vcc_lo, v5
	flat_store_byte v[2:3], v4
.LBB14_7211:
	s_or_b64 exec, exec, s[84:85]
	s_or_b64 s[84:85], s[4:5], exec
                                        ; implicit-def: $vgpr4
                                        ; implicit-def: $vgpr2_vgpr3
.LBB14_7212:
	s_or_saveexec_b64 s[82:83], s[82:83]
	s_mov_b64 vcc, s[78:79]
	s_xor_b64 exec, exec, s[82:83]
	s_cbranch_execz .LBB14_7222
; %bb.7213:
	v_mov_b32_e32 v5, 14
	v_cmp_gt_i16_sdwa vcc, v11, v5 src0_sel:BYTE_0 src1_sel:DWORD
	s_mov_b64 s[86:87], s[84:85]
	s_mov_b64 s[88:89], s[78:79]
	s_and_saveexec_b64 s[90:91], vcc
	s_xor_b64 s[90:91], exec, s[90:91]
	s_cbranch_execz .LBB14_7217
; %bb.7214:
	v_mov_b32_e32 v5, 15
	v_cmp_eq_u16_sdwa s[92:93], v11, v5 src0_sel:BYTE_0 src1_sel:DWORD
	s_mov_b64 s[88:89], -1
	s_mov_b64 vcc, s[84:85]
	s_and_saveexec_b64 s[86:87], s[92:93]
	s_cbranch_execz .LBB14_7216
; %bb.7215:
	v_bfe_u32 v5, v4, 16, 1
	s_movk_i32 vcc_lo, 0x7fff
	v_add3_u32 v5, v4, v5, vcc_lo
	v_lshrrev_b32_e32 v5, 16, v5
	v_mov_b32_e32 v32, 0x7fc0
	v_cmp_o_f32_e32 vcc, v4, v4
	v_cndmask_b32_e32 v4, v32, v5, vcc
	flat_store_short v[2:3], v4
	s_xor_b64 s[88:89], exec, -1
	s_or_b64 vcc, s[84:85], exec
.LBB14_7216:
	s_or_b64 exec, exec, s[86:87]
	s_andn2_b64 s[86:87], s[78:79], exec
	s_and_b64 s[88:89], s[88:89], exec
	s_or_b64 s[88:89], s[86:87], s[88:89]
	s_andn2_b64 s[86:87], s[84:85], exec
	s_and_b64 vcc, vcc, exec
	s_or_b64 s[86:87], s[86:87], vcc
                                        ; implicit-def: $vgpr4
                                        ; implicit-def: $vgpr2_vgpr3
.LBB14_7217:
	s_andn2_saveexec_b64 s[90:91], s[90:91]
	s_cbranch_execz .LBB14_7221
; %bb.7218:
	v_mov_b32_e32 v5, 11
	v_cmp_eq_u16_sdwa s[96:97], v11, v5 src0_sel:BYTE_0 src1_sel:DWORD
	s_mov_b64 s[92:93], -1
	s_mov_b64 vcc, s[86:87]
	s_and_saveexec_b64 s[94:95], s[96:97]
	s_cbranch_execz .LBB14_7220
; %bb.7219:
	v_cmp_neq_f32_e32 vcc, 0, v4
	v_cndmask_b32_e64 v4, 0, 1, vcc
	flat_store_byte v[2:3], v4
	s_xor_b64 s[92:93], exec, -1
	s_or_b64 vcc, s[86:87], exec
.LBB14_7220:
	s_or_b64 exec, exec, s[94:95]
	s_andn2_b64 s[88:89], s[88:89], exec
	s_and_b64 s[92:93], s[92:93], exec
	s_andn2_b64 s[86:87], s[86:87], exec
	s_and_b64 vcc, vcc, exec
	s_or_b64 s[88:89], s[88:89], s[92:93]
	s_or_b64 s[86:87], s[86:87], vcc
.LBB14_7221:
	s_or_b64 exec, exec, s[90:91]
	s_andn2_b64 vcc, s[78:79], exec
	s_and_b64 s[88:89], s[88:89], exec
	s_andn2_b64 s[84:85], s[84:85], exec
	s_and_b64 s[86:87], s[86:87], exec
	s_or_b64 vcc, vcc, s[88:89]
	s_or_b64 s[84:85], s[84:85], s[86:87]
.LBB14_7222:
	s_or_b64 exec, exec, s[82:83]
	s_andn2_b64 s[78:79], s[78:79], exec
	s_and_b64 vcc, vcc, exec
	s_or_b64 s[78:79], s[78:79], vcc
	s_andn2_b64 s[4:5], s[4:5], exec
	s_and_b64 vcc, s[84:85], exec
	s_or_b64 s[4:5], s[4:5], vcc
.LBB14_7223:
	s_or_b64 exec, exec, s[80:81]
	s_andn2_b64 vcc, s[70:71], exec
	s_and_b64 s[78:79], s[78:79], exec
	s_or_b64 s[78:79], vcc, s[78:79]
	s_and_b64 s[4:5], s[4:5], exec
                                        ; implicit-def: $vgpr4
                                        ; implicit-def: $vgpr2_vgpr3
	s_andn2_saveexec_b64 s[74:75], s[74:75]
	s_cbranch_execz .LBB14_3922
.LBB14_7224:
	v_mov_b32_e32 v5, 4
	v_cmp_gt_i16_sdwa vcc, v11, v5 src0_sel:BYTE_0 src1_sel:DWORD
	s_and_saveexec_b64 s[80:81], vcc
	s_xor_b64 vcc, exec, s[80:81]
	s_cbranch_execz .LBB14_7246
; %bb.7225:
	v_mov_b32_e32 v5, 7
	v_cmp_gt_i16_sdwa s[80:81], v11, v5 src0_sel:BYTE_0 src1_sel:DWORD
	s_and_saveexec_b64 s[82:83], s[80:81]
	s_xor_b64 s[80:81], exec, s[82:83]
	s_cbranch_execz .LBB14_7235
; %bb.7226:
	v_mov_b32_e32 v5, 8
	v_cmp_gt_i16_sdwa s[82:83], v11, v5 src0_sel:BYTE_0 src1_sel:DWORD
	s_and_saveexec_b64 s[84:85], s[82:83]
	s_xor_b64 s[82:83], exec, s[84:85]
	;; [unrolled: 6-line block ×3, first 2 shown]
	s_cbranch_execz .LBB14_7229
; %bb.7228:
	v_mov_b32_e32 v34, 0
	v_cvt_f64_f32_e32 v[32:33], v4
	v_mov_b32_e32 v35, v34
	flat_store_dwordx4 v[2:3], v[32:35]
                                        ; implicit-def: $vgpr4
                                        ; implicit-def: $vgpr2_vgpr3
.LBB14_7229:
	s_andn2_saveexec_b64 s[84:85], s[84:85]
	s_cbranch_execz .LBB14_7231
; %bb.7230:
	v_mov_b32_e32 v5, 0
	flat_store_dwordx2 v[2:3], v[4:5]
.LBB14_7231:
	s_or_b64 exec, exec, s[84:85]
                                        ; implicit-def: $vgpr4
                                        ; implicit-def: $vgpr2_vgpr3
.LBB14_7232:
	s_andn2_saveexec_b64 s[82:83], s[82:83]
	s_cbranch_execz .LBB14_7234
; %bb.7233:
	v_cvt_f16_f32_e32 v4, v4
	flat_store_dword v[2:3], v4
.LBB14_7234:
	s_or_b64 exec, exec, s[82:83]
                                        ; implicit-def: $vgpr4
                                        ; implicit-def: $vgpr2_vgpr3
.LBB14_7235:
	s_andn2_saveexec_b64 s[80:81], s[80:81]
	s_cbranch_execz .LBB14_7245
; %bb.7236:
	v_mov_b32_e32 v5, 5
	v_cmp_gt_i16_sdwa s[82:83], v11, v5 src0_sel:BYTE_0 src1_sel:DWORD
	s_and_saveexec_b64 s[84:85], s[82:83]
	s_xor_b64 s[82:83], exec, s[84:85]
	s_cbranch_execz .LBB14_7242
; %bb.7237:
	v_mov_b32_e32 v5, 6
	v_cmp_gt_i16_sdwa s[84:85], v11, v5 src0_sel:BYTE_0 src1_sel:DWORD
	s_and_saveexec_b64 s[86:87], s[84:85]
	s_xor_b64 s[84:85], exec, s[86:87]
	s_cbranch_execz .LBB14_7239
; %bb.7238:
	v_cvt_f64_f32_e32 v[4:5], v4
	flat_store_dwordx2 v[2:3], v[4:5]
                                        ; implicit-def: $vgpr2_vgpr3
                                        ; implicit-def: $vgpr4
.LBB14_7239:
	s_andn2_saveexec_b64 s[84:85], s[84:85]
	s_cbranch_execz .LBB14_7241
; %bb.7240:
	flat_store_dword v[2:3], v4
.LBB14_7241:
	s_or_b64 exec, exec, s[84:85]
                                        ; implicit-def: $vgpr4
                                        ; implicit-def: $vgpr2_vgpr3
.LBB14_7242:
	s_andn2_saveexec_b64 s[82:83], s[82:83]
	s_cbranch_execz .LBB14_7244
; %bb.7243:
	v_cvt_f16_f32_e32 v4, v4
	flat_store_short v[2:3], v4
.LBB14_7244:
	s_or_b64 exec, exec, s[82:83]
.LBB14_7245:
	s_or_b64 exec, exec, s[80:81]
                                        ; implicit-def: $vgpr4
                                        ; implicit-def: $vgpr2_vgpr3
.LBB14_7246:
	s_andn2_saveexec_b64 s[80:81], vcc
	s_cbranch_execz .LBB14_7264
; %bb.7247:
	v_mov_b32_e32 v5, 1
	v_cmp_gt_i16_sdwa vcc, v11, v5 src0_sel:BYTE_0 src1_sel:DWORD
	s_and_saveexec_b64 s[82:83], vcc
	s_xor_b64 s[82:83], exec, s[82:83]
	s_cbranch_execz .LBB14_7257
; %bb.7248:
	v_mov_b32_e32 v5, 2
	v_cmp_gt_i16_sdwa vcc, v11, v5 src0_sel:BYTE_0 src1_sel:DWORD
	s_and_saveexec_b64 s[84:85], vcc
	s_xor_b64 s[84:85], exec, s[84:85]
	;; [unrolled: 6-line block ×3, first 2 shown]
	s_cbranch_execz .LBB14_7251
; %bb.7250:
	v_trunc_f32_e32 v4, v4
	s_mov_b32 s88, 0x2f800000
	v_mul_f32_e64 v5, |v4|, s88
	v_floor_f32_e32 v5, v5
	s_mov_b32 s88, 0xcf800000
	v_cvt_u32_f32_e32 v32, v5
	v_fma_f32 v5, v5, s88, |v4|
	v_cvt_u32_f32_e32 v5, v5
	v_ashrrev_i32_e32 v33, 31, v4
	v_xor_b32_e32 v32, v32, v33
	v_xor_b32_e32 v4, v5, v33
	v_sub_co_u32_e32 v4, vcc, v4, v33
	v_subb_co_u32_e32 v5, vcc, v32, v33, vcc
	flat_store_dwordx2 v[2:3], v[4:5]
                                        ; implicit-def: $vgpr4
                                        ; implicit-def: $vgpr2_vgpr3
.LBB14_7251:
	s_andn2_saveexec_b64 vcc, s[86:87]
	s_cbranch_execz .LBB14_7253
; %bb.7252:
	v_cvt_i32_f32_e32 v4, v4
	flat_store_dword v[2:3], v4
.LBB14_7253:
	s_or_b64 exec, exec, vcc
                                        ; implicit-def: $vgpr4
                                        ; implicit-def: $vgpr2_vgpr3
.LBB14_7254:
	s_andn2_saveexec_b64 vcc, s[84:85]
	s_cbranch_execz .LBB14_7256
; %bb.7255:
	v_cvt_i32_f32_e32 v4, v4
	flat_store_short v[2:3], v4
.LBB14_7256:
	s_or_b64 exec, exec, vcc
                                        ; implicit-def: $vgpr4
                                        ; implicit-def: $vgpr2_vgpr3
.LBB14_7257:
	s_andn2_saveexec_b64 vcc, s[82:83]
	s_cbranch_execz .LBB14_7263
; %bb.7258:
	v_mov_b32_e32 v5, 0
	v_cmp_gt_i16_sdwa s[82:83], v11, v5 src0_sel:BYTE_0 src1_sel:DWORD
	s_and_saveexec_b64 s[84:85], s[82:83]
	s_xor_b64 s[82:83], exec, s[84:85]
	s_cbranch_execz .LBB14_7260
; %bb.7259:
	v_cvt_i32_f32_e32 v4, v4
	flat_store_byte v[2:3], v4
                                        ; implicit-def: $vgpr4
                                        ; implicit-def: $vgpr2_vgpr3
.LBB14_7260:
	s_andn2_saveexec_b64 s[82:83], s[82:83]
	s_cbranch_execz .LBB14_7262
; %bb.7261:
	v_trunc_f32_e32 v4, v4
	s_mov_b32 s84, 0x2f800000
	v_mul_f32_e64 v5, |v4|, s84
	v_floor_f32_e32 v5, v5
	s_mov_b32 s84, 0xcf800000
	v_fma_f32 v5, v5, s84, |v4|
	v_cvt_u32_f32_e32 v5, v5
	v_ashrrev_i32_e32 v4, 31, v4
	v_xor_b32_e32 v5, v5, v4
	v_sub_u32_e32 v4, v5, v4
	flat_store_byte v[2:3], v4
.LBB14_7262:
	s_or_b64 exec, exec, s[82:83]
.LBB14_7263:
	s_or_b64 exec, exec, vcc
.LBB14_7264:
	s_or_b64 exec, exec, s[80:81]
	s_or_b64 s[4:5], s[4:5], exec
	s_or_b64 exec, exec, s[74:75]
	s_mov_b64 vcc, 0
	s_and_saveexec_b64 s[74:75], s[4:5]
	s_cbranch_execnz .LBB14_3923
	s_branch .LBB14_3924
.LBB14_7265:
	v_bfe_u32 v5, v4, 21, 1
	s_mov_b32 s68, 0x88fffff
	v_add3_u32 v5, v4, v5, s68
	s_mov_b64 s[66:67], exec
	v_lshrrev_b32_e32 v5, 21, v5
	s_or_saveexec_b64 s[68:69], vcc
                                        ; implicit-def: $sgpr70
	s_xor_b64 exec, exec, s[68:69]
	s_cbranch_execz .LBB14_6430
.LBB14_7266:
	s_mov_b32 s70, 0x42800000
	v_add_f32_e64 v5, |v4|, s70
	v_and_b32_e32 v5, 0xff, v5
	v_cmp_ne_u32_e32 vcc, 0, v5
	s_andn2_b64 s[66:67], s[66:67], exec
	s_and_b64 vcc, vcc, exec
	s_mov_b32 s70, 0
	s_or_b64 s[66:67], s[66:67], vcc
	s_or_b64 exec, exec, s[68:69]
	v_mov_b32_e32 v52, s70
	s_and_saveexec_b64 vcc, s[66:67]
	s_cbranch_execnz .LBB14_6431
	s_branch .LBB14_6432
.LBB14_7267:
	v_bfe_u32 v5, v4, 20, 1
	s_mov_b32 s70, 0x487ffff
	v_add3_u32 v5, v4, v5, s70
	s_mov_b64 s[68:69], exec
	v_lshrrev_b32_e32 v5, 20, v5
	s_or_saveexec_b64 s[70:71], vcc
                                        ; implicit-def: $sgpr72
	s_xor_b64 exec, exec, s[70:71]
	s_cbranch_execz .LBB14_6543
.LBB14_7268:
	s_mov_b32 s72, 0x46000000
	v_add_f32_e64 v5, |v4|, s72
	v_and_b32_e32 v5, 0xff, v5
	v_cmp_ne_u32_e32 vcc, 0, v5
	s_andn2_b64 s[68:69], s[68:69], exec
	s_and_b64 vcc, vcc, exec
	s_mov_b32 s72, 0
	s_or_b64 s[68:69], s[68:69], vcc
	s_or_b64 exec, exec, s[70:71]
	v_mov_b32_e32 v50, s72
	s_and_saveexec_b64 vcc, s[68:69]
	s_cbranch_execnz .LBB14_6544
	s_branch .LBB14_6545
.LBB14_7269:
	v_mov_b32_e32 v5, 25
	v_readlane_b32 s82, v43, 10
	v_cmp_gt_i16_sdwa vcc, v11, v5 src0_sel:BYTE_0 src1_sel:DWORD
	v_readlane_b32 s83, v43, 11
	s_and_saveexec_b64 s[76:77], vcc
	s_xor_b64 s[84:85], exec, s[76:77]
	s_cbranch_execz .LBB14_7305
; %bb.7270:
	v_mov_b32_e32 v5, 28
	v_readlane_b32 s86, v43, 10
	v_cmp_gt_i16_sdwa vcc, v11, v5 src0_sel:BYTE_0 src1_sel:DWORD
	v_readlane_b32 s87, v43, 11
	s_and_saveexec_b64 s[76:77], vcc
	s_xor_b64 s[82:83], exec, s[76:77]
	s_cbranch_execz .LBB14_7288
; %bb.7271:
	v_mov_b32_e32 v5, 43
	v_readlane_b32 vcc_lo, v43, 10
	v_cmp_gt_i16_sdwa s[76:77], v11, v5 src0_sel:BYTE_0 src1_sel:DWORD
	v_readlane_b32 vcc_hi, v43, 11
	s_and_saveexec_b64 s[86:87], s[76:77]
	s_xor_b64 s[86:87], exec, s[86:87]
	s_cbranch_execz .LBB14_7283
; %bb.7272:
	v_mov_b32_e32 v5, 45
	v_readlane_b32 s90, v43, 10
	v_cmp_gt_i16_sdwa s[4:5], v11, v5 src0_sel:BYTE_0 src1_sel:DWORD
	s_mov_b64 s[88:89], 0
	v_readlane_b32 s91, v43, 11
	s_and_saveexec_b64 vcc, s[4:5]
	s_xor_b64 s[4:5], exec, vcc
	s_cbranch_execz .LBB14_7276
; %bb.7273:
	v_mov_b32_e32 v5, 46
	v_cmp_eq_u16_sdwa s[76:77], v11, v5 src0_sel:BYTE_0 src1_sel:DWORD
	s_mov_b64 vcc, -1
	s_and_saveexec_b64 s[90:91], s[76:77]
	s_cbranch_execz .LBB14_7275
; %bb.7274:
	v_bfe_u32 v5, v4, 16, 1
	s_movk_i32 vcc_lo, 0x7fff
	v_add3_u32 v5, v4, v5, vcc_lo
	v_lshrrev_b32_e32 v5, 16, v5
	v_mov_b32_e32 v30, 0x7fc0
	v_cmp_o_f32_e32 vcc, v4, v4
	v_cndmask_b32_e32 v4, v30, v5, vcc
	s_mov_b64 s[88:89], exec
	flat_store_dword v[2:3], v4
	s_xor_b64 vcc, exec, -1
.LBB14_7275:
	s_or_b64 exec, exec, s[90:91]
	v_readlane_b32 s74, v43, 10
	v_readlane_b32 s75, v43, 11
	s_andn2_b64 s[76:77], s[74:75], exec
	s_and_b64 vcc, vcc, exec
	s_or_b64 s[90:91], s[76:77], vcc
	s_and_b64 s[88:89], s[88:89], exec
                                        ; implicit-def: $vgpr2_vgpr3
                                        ; implicit-def: $vgpr4
.LBB14_7276:
	s_andn2_saveexec_b64 s[92:93], s[4:5]
	s_cbranch_execz .LBB14_7282
; %bb.7277:
	v_mov_b32_e32 v5, 44
	v_cmp_eq_u16_sdwa s[76:77], v11, v5 src0_sel:BYTE_0 src1_sel:DWORD
	s_mov_b64 vcc, -1
	s_mov_b64 s[4:5], s[88:89]
	s_and_saveexec_b64 s[94:95], s[76:77]
	s_cbranch_execz .LBB14_7281
; %bb.7278:
	v_bfe_u32 v5, v4, 23, 8
	s_movk_i32 s4, 0xff
	v_cmp_ne_u32_e32 vcc, s4, v5
	v_mov_b32_e32 v30, 0xff
	s_and_saveexec_b64 s[96:97], vcc
; %bb.7279:
	s_mov_b32 s4, 0x3fffff
	v_lshrrev_b32_e32 v30, 23, v4
	v_and_b32_e32 v31, 0x400000, v4
	v_and_or_b32 v4, v4, s4, v5
	v_cmp_ne_u32_e32 vcc, 0, v31
	v_cmp_ne_u32_e64 s[4:5], 0, v4
	s_and_b64 s[4:5], vcc, s[4:5]
	v_cndmask_b32_e64 v4, 0, 1, s[4:5]
	v_add_u32_e32 v30, v30, v4
; %bb.7280:
	s_or_b64 exec, exec, s[96:97]
	s_xor_b64 vcc, exec, -1
	s_or_b64 s[4:5], s[88:89], exec
	flat_store_byte v[2:3], v30
.LBB14_7281:
	s_or_b64 exec, exec, s[94:95]
	s_andn2_b64 s[74:75], s[90:91], exec
	s_and_b64 vcc, vcc, exec
	s_or_b64 s[90:91], s[74:75], vcc
	s_andn2_b64 vcc, s[88:89], exec
	s_and_b64 s[4:5], s[4:5], exec
	s_or_b64 s[88:89], vcc, s[4:5]
.LBB14_7282:
	s_or_b64 exec, exec, s[92:93]
	v_readlane_b32 s4, v43, 10
	v_readlane_b32 s5, v43, 11
	s_andn2_b64 s[4:5], s[4:5], exec
	s_and_b64 vcc, s[90:91], exec
	s_or_b64 vcc, s[4:5], vcc
	s_and_b64 s[4:5], s[88:89], exec
                                        ; implicit-def: $vgpr4
                                        ; implicit-def: $vgpr2_vgpr3
.LBB14_7283:
	s_andn2_saveexec_b64 s[86:87], s[86:87]
	s_cbranch_execz .LBB14_7287
; %bb.7284:
	v_mov_b32_e32 v5, 29
	v_cmp_eq_u16_sdwa s[76:77], v11, v5 src0_sel:BYTE_0 src1_sel:DWORD
	s_mov_b64 s[92:93], -1
	s_mov_b64 s[90:91], s[4:5]
	s_and_saveexec_b64 s[88:89], s[76:77]
	s_cbranch_execz .LBB14_7286
; %bb.7285:
	v_trunc_f32_e32 v4, v4
	v_mul_f32_e32 v5, 0x2f800000, v4
	v_floor_f32_e32 v30, v5
	v_fmac_f32_e32 v4, 0xcf800000, v30
	v_cvt_u32_f32_e32 v5, v30
	v_cvt_u32_f32_e32 v4, v4
	s_xor_b64 s[92:93], exec, -1
	s_or_b64 s[90:91], s[4:5], exec
	flat_store_dwordx2 v[2:3], v[4:5]
.LBB14_7286:
	s_or_b64 exec, exec, s[88:89]
	s_andn2_b64 vcc, vcc, exec
	s_and_b64 s[76:77], s[92:93], exec
	s_or_b64 vcc, vcc, s[76:77]
	s_andn2_b64 s[4:5], s[4:5], exec
	s_and_b64 s[76:77], s[90:91], exec
	s_or_b64 s[4:5], s[4:5], s[76:77]
.LBB14_7287:
	s_or_b64 exec, exec, s[86:87]
	v_readlane_b32 s74, v43, 10
	v_readlane_b32 s75, v43, 11
	s_andn2_b64 s[74:75], s[74:75], exec
	s_and_b64 vcc, vcc, exec
	s_or_b64 s[86:87], s[74:75], vcc
	s_and_b64 s[4:5], s[4:5], exec
                                        ; implicit-def: $vgpr2_vgpr3
                                        ; implicit-def: $vgpr4
.LBB14_7288:
	s_andn2_saveexec_b64 s[82:83], s[82:83]
	s_cbranch_execz .LBB14_7304
; %bb.7289:
	v_mov_b32_e32 v5, 26
	v_cmp_gt_i16_sdwa vcc, v11, v5 src0_sel:BYTE_0 src1_sel:DWORD
	s_and_saveexec_b64 s[76:77], vcc
	s_xor_b64 vcc, exec, s[76:77]
	s_cbranch_execz .LBB14_7295
; %bb.7290:
	v_cvt_u32_f32_e32 v4, v4
	v_mov_b32_e32 v5, 27
	v_cmp_gt_i16_sdwa s[76:77], v11, v5 src0_sel:BYTE_0 src1_sel:DWORD
	s_and_saveexec_b64 s[88:89], s[76:77]
	s_xor_b64 s[76:77], exec, s[88:89]
	s_cbranch_execz .LBB14_7292
; %bb.7291:
	flat_store_dword v[2:3], v4
                                        ; implicit-def: $vgpr2_vgpr3
                                        ; implicit-def: $vgpr4
.LBB14_7292:
	s_andn2_saveexec_b64 s[76:77], s[76:77]
	s_cbranch_execz .LBB14_7294
; %bb.7293:
	flat_store_short v[2:3], v4
.LBB14_7294:
	s_or_b64 exec, exec, s[76:77]
                                        ; implicit-def: $vgpr2_vgpr3
                                        ; implicit-def: $vgpr4
.LBB14_7295:
	s_andn2_saveexec_b64 s[88:89], vcc
	s_cbranch_execz .LBB14_7303
; %bb.7296:
	v_and_b32_e32 v5, 0x7fffffff, v4
	s_mov_b32 vcc_lo, 0x43800000
	v_cmp_gt_u32_e32 vcc, vcc_lo, v5
	v_mov_b32_e32 v30, 0x80
	s_and_saveexec_b64 s[90:91], vcc
	s_cbranch_execz .LBB14_7302
; %bb.7297:
	s_mov_b32 vcc_lo, 0x3bffffff
	v_cmp_lt_u32_e32 vcc, vcc_lo, v5
	s_mov_b64 s[92:93], 0
                                        ; implicit-def: $vgpr5
	s_and_saveexec_b64 s[74:75], vcc
	s_xor_b64 vcc, exec, s[74:75]
	s_cbranch_execnz .LBB14_7779
; %bb.7298:
	s_or_saveexec_b64 s[94:95], vcc
                                        ; implicit-def: $sgpr76
	s_xor_b64 exec, exec, s[94:95]
	s_cbranch_execnz .LBB14_7780
.LBB14_7299:
	s_or_b64 exec, exec, s[94:95]
	v_mov_b32_e32 v30, s76
	s_and_saveexec_b64 vcc, s[92:93]
.LBB14_7300:
	v_lshrrev_b32_e32 v4, 24, v4
	s_movk_i32 s74, 0x80
	v_and_or_b32 v30, v4, s74, v5
.LBB14_7301:
	s_or_b64 exec, exec, vcc
.LBB14_7302:
	s_or_b64 exec, exec, s[90:91]
	flat_store_byte v[2:3], v30
.LBB14_7303:
	s_or_b64 exec, exec, s[88:89]
	s_or_b64 s[4:5], s[4:5], exec
.LBB14_7304:
	s_or_b64 exec, exec, s[82:83]
	v_readlane_b32 vcc_lo, v43, 10
	v_readlane_b32 vcc_hi, v43, 11
	s_andn2_b64 vcc, vcc, exec
	s_and_b64 s[76:77], s[86:87], exec
	s_or_b64 s[82:83], vcc, s[76:77]
	s_and_b64 s[4:5], s[4:5], exec
                                        ; implicit-def: $vgpr4
                                        ; implicit-def: $vgpr2_vgpr3
.LBB14_7305:
	s_andn2_saveexec_b64 s[84:85], s[84:85]
	s_cbranch_execz .LBB14_7349
; %bb.7306:
	v_mov_b32_e32 v5, 22
	v_cmp_gt_i16_sdwa vcc, v11, v5 src0_sel:BYTE_0 src1_sel:DWORD
	s_mov_b64 s[88:89], s[4:5]
	s_and_saveexec_b64 s[76:77], vcc
	s_xor_b64 s[86:87], exec, s[76:77]
	s_cbranch_execz .LBB14_7338
; %bb.7307:
	v_mov_b32_e32 v5, 23
	v_cmp_gt_i16_sdwa vcc, v11, v5 src0_sel:BYTE_0 src1_sel:DWORD
	s_and_saveexec_b64 s[76:77], vcc
	s_xor_b64 s[88:89], exec, s[76:77]
	s_cbranch_execz .LBB14_7327
; %bb.7308:
	v_mov_b32_e32 v5, 24
	v_cmp_gt_i16_sdwa vcc, v11, v5 src0_sel:BYTE_0 src1_sel:DWORD
	s_and_saveexec_b64 s[76:77], vcc
	s_xor_b64 s[90:91], exec, s[76:77]
	s_cbranch_execz .LBB14_7316
; %bb.7309:
	v_and_b32_e32 v5, 0x7fffffff, v4
	s_mov_b32 vcc_lo, 0x47800000
	v_cmp_gt_u32_e32 vcc, vcc_lo, v5
	v_mov_b32_e32 v30, 0x80
	s_and_saveexec_b64 s[92:93], vcc
	s_cbranch_execz .LBB14_7315
; %bb.7310:
	s_mov_b32 vcc_lo, 0x37ffffff
	v_cmp_lt_u32_e32 vcc, vcc_lo, v5
	s_mov_b64 s[94:95], 0
                                        ; implicit-def: $vgpr5
	s_and_saveexec_b64 s[74:75], vcc
	s_xor_b64 vcc, exec, s[74:75]
	s_cbranch_execnz .LBB14_7781
; %bb.7311:
	s_or_saveexec_b64 s[96:97], vcc
                                        ; implicit-def: $sgpr76
	s_xor_b64 exec, exec, s[96:97]
	s_cbranch_execnz .LBB14_7782
.LBB14_7312:
	s_or_b64 exec, exec, s[96:97]
	v_mov_b32_e32 v30, s76
	s_and_saveexec_b64 vcc, s[94:95]
.LBB14_7313:
	v_lshrrev_b32_e32 v4, 24, v4
	s_movk_i32 s74, 0x80
	v_and_or_b32 v30, v4, s74, v5
.LBB14_7314:
	s_or_b64 exec, exec, vcc
.LBB14_7315:
	s_or_b64 exec, exec, s[92:93]
	flat_store_byte v[2:3], v30
                                        ; implicit-def: $vgpr4
                                        ; implicit-def: $vgpr2_vgpr3
.LBB14_7316:
	s_andn2_saveexec_b64 s[90:91], s[90:91]
	s_cbranch_execz .LBB14_7326
; %bb.7317:
	v_and_b32_e32 v30, 0x7fffffff, v4
	s_mov_b32 vcc_lo, 0x43f00000
	v_cmp_gt_u32_e32 vcc, vcc_lo, v30
                                        ; implicit-def: $vgpr5
	s_and_saveexec_b64 s[74:75], vcc
	s_xor_b64 s[92:93], exec, s[74:75]
	s_cbranch_execz .LBB14_7323
; %bb.7318:
	s_mov_b32 vcc_lo, 0x3c7fffff
	v_cmp_lt_u32_e32 vcc, vcc_lo, v30
                                        ; implicit-def: $vgpr5
	s_and_saveexec_b64 s[74:75], vcc
	s_xor_b64 s[94:95], exec, s[74:75]
; %bb.7319:
	v_bfe_u32 v5, v4, 20, 1
	s_mov_b32 vcc_lo, 0x407ffff
	v_add3_u32 v5, v4, v5, vcc_lo
	v_lshrrev_b32_e32 v30, 20, v5
	v_and_b32_e32 v5, 0xff00000, v5
	s_mov_b32 vcc_lo, 0x7f00000
	v_mov_b32_e32 v31, 0x7e
	v_cmp_ne_u32_e32 vcc, vcc_lo, v5
	v_cndmask_b32_e32 v5, v31, v30, vcc
; %bb.7320:
	s_andn2_saveexec_b64 vcc, s[94:95]
; %bb.7321:
	s_mov_b32 s74, 0x46800000
	v_add_f32_e64 v5, |v4|, s74
; %bb.7322:
	s_or_b64 exec, exec, vcc
                                        ; implicit-def: $vgpr30
.LBB14_7323:
	s_andn2_saveexec_b64 s[92:93], s[92:93]
; %bb.7324:
	s_mov_b32 vcc_lo, 0x7f800000
	v_mov_b32_e32 v5, 0x7e
	v_mov_b32_e32 v31, 0x7f
	v_cmp_lt_u32_e32 vcc, vcc_lo, v30
	v_cndmask_b32_e32 v5, v5, v31, vcc
; %bb.7325:
	s_or_b64 exec, exec, s[92:93]
	v_lshrrev_b32_e32 v4, 24, v4
	s_movk_i32 vcc_lo, 0x80
	v_and_or_b32 v4, v4, vcc_lo, v5
	flat_store_byte v[2:3], v4
.LBB14_7326:
	s_or_b64 exec, exec, s[90:91]
                                        ; implicit-def: $vgpr4
                                        ; implicit-def: $vgpr2_vgpr3
.LBB14_7327:
	s_andn2_saveexec_b64 s[88:89], s[88:89]
	s_cbranch_execz .LBB14_7337
; %bb.7328:
	v_and_b32_e32 v30, 0x7fffffff, v4
	s_mov_b32 vcc_lo, 0x47800000
	v_cmp_gt_u32_e32 vcc, vcc_lo, v30
                                        ; implicit-def: $vgpr5
	s_and_saveexec_b64 s[74:75], vcc
	s_xor_b64 s[90:91], exec, s[74:75]
	s_cbranch_execz .LBB14_7334
; %bb.7329:
	s_mov_b32 vcc_lo, 0x387fffff
	v_cmp_lt_u32_e32 vcc, vcc_lo, v30
                                        ; implicit-def: $vgpr5
	s_and_saveexec_b64 s[74:75], vcc
	s_xor_b64 vcc, exec, s[74:75]
; %bb.7330:
	v_bfe_u32 v5, v4, 21, 1
	s_mov_b32 s74, 0x80fffff
	v_add3_u32 v5, v4, v5, s74
	v_lshrrev_b32_e32 v5, 21, v5
; %bb.7331:
	s_andn2_saveexec_b64 vcc, vcc
; %bb.7332:
	s_mov_b32 s74, 0x43000000
	v_add_f32_e64 v5, |v4|, s74
; %bb.7333:
	s_or_b64 exec, exec, vcc
                                        ; implicit-def: $vgpr30
.LBB14_7334:
	s_andn2_saveexec_b64 s[90:91], s[90:91]
; %bb.7335:
	s_mov_b32 vcc_lo, 0x7f800000
	v_mov_b32_e32 v5, 0x7c
	v_mov_b32_e32 v31, 0x7f
	v_cmp_lt_u32_e32 vcc, vcc_lo, v30
	v_cndmask_b32_e32 v5, v5, v31, vcc
; %bb.7336:
	s_or_b64 exec, exec, s[90:91]
	v_lshrrev_b32_e32 v4, 24, v4
	s_movk_i32 vcc_lo, 0x80
	v_and_or_b32 v4, v4, vcc_lo, v5
	flat_store_byte v[2:3], v4
.LBB14_7337:
	s_or_b64 exec, exec, s[88:89]
	s_or_b64 s[88:89], s[4:5], exec
                                        ; implicit-def: $vgpr4
                                        ; implicit-def: $vgpr2_vgpr3
.LBB14_7338:
	s_or_saveexec_b64 s[86:87], s[86:87]
	s_mov_b64 vcc, s[82:83]
	s_xor_b64 exec, exec, s[86:87]
	s_cbranch_execz .LBB14_7348
; %bb.7339:
	v_mov_b32_e32 v5, 14
	v_cmp_gt_i16_sdwa vcc, v11, v5 src0_sel:BYTE_0 src1_sel:DWORD
	s_mov_b64 s[90:91], s[88:89]
	s_mov_b64 s[92:93], s[82:83]
	s_and_saveexec_b64 s[76:77], vcc
	s_xor_b64 s[94:95], exec, s[76:77]
	s_cbranch_execz .LBB14_7343
; %bb.7340:
	v_mov_b32_e32 v5, 15
	v_cmp_eq_u16_sdwa s[76:77], v11, v5 src0_sel:BYTE_0 src1_sel:DWORD
	s_mov_b64 s[92:93], -1
	s_mov_b64 vcc, s[88:89]
	s_and_saveexec_b64 s[90:91], s[76:77]
	s_cbranch_execz .LBB14_7342
; %bb.7341:
	v_bfe_u32 v5, v4, 16, 1
	s_movk_i32 vcc_lo, 0x7fff
	v_add3_u32 v5, v4, v5, vcc_lo
	v_lshrrev_b32_e32 v5, 16, v5
	v_mov_b32_e32 v30, 0x7fc0
	v_cmp_o_f32_e32 vcc, v4, v4
	v_cndmask_b32_e32 v4, v30, v5, vcc
	flat_store_short v[2:3], v4
	s_xor_b64 s[92:93], exec, -1
	s_or_b64 vcc, s[88:89], exec
.LBB14_7342:
	s_or_b64 exec, exec, s[90:91]
	s_andn2_b64 s[76:77], s[82:83], exec
	s_and_b64 s[90:91], s[92:93], exec
	s_or_b64 s[92:93], s[76:77], s[90:91]
	s_andn2_b64 s[76:77], s[88:89], exec
	s_and_b64 vcc, vcc, exec
	s_or_b64 s[90:91], s[76:77], vcc
                                        ; implicit-def: $vgpr4
                                        ; implicit-def: $vgpr2_vgpr3
.LBB14_7343:
	s_andn2_saveexec_b64 s[94:95], s[94:95]
	s_cbranch_execz .LBB14_7347
; %bb.7344:
	v_mov_b32_e32 v5, 11
	v_cmp_eq_u16_sdwa s[74:75], v11, v5 src0_sel:BYTE_0 src1_sel:DWORD
	s_mov_b64 s[96:97], -1
	s_mov_b64 vcc, s[90:91]
	s_and_saveexec_b64 s[76:77], s[74:75]
	s_cbranch_execz .LBB14_7346
; %bb.7345:
	v_cmp_neq_f32_e32 vcc, 0, v4
	v_cndmask_b32_e64 v4, 0, 1, vcc
	flat_store_byte v[2:3], v4
	s_xor_b64 s[96:97], exec, -1
	s_or_b64 vcc, s[90:91], exec
.LBB14_7346:
	s_or_b64 exec, exec, s[76:77]
	s_andn2_b64 s[74:75], s[92:93], exec
	s_and_b64 s[76:77], s[96:97], exec
	s_or_b64 s[92:93], s[74:75], s[76:77]
	s_andn2_b64 s[74:75], s[90:91], exec
	s_and_b64 vcc, vcc, exec
	s_or_b64 s[90:91], s[74:75], vcc
.LBB14_7347:
	s_or_b64 exec, exec, s[94:95]
	s_andn2_b64 vcc, s[82:83], exec
	s_and_b64 s[74:75], s[92:93], exec
	s_or_b64 vcc, vcc, s[74:75]
	s_andn2_b64 s[74:75], s[88:89], exec
	s_and_b64 s[76:77], s[90:91], exec
	s_or_b64 s[88:89], s[74:75], s[76:77]
.LBB14_7348:
	s_or_b64 exec, exec, s[86:87]
	s_andn2_b64 s[76:77], s[82:83], exec
	s_and_b64 vcc, vcc, exec
	s_or_b64 s[82:83], s[76:77], vcc
	s_andn2_b64 s[4:5], s[4:5], exec
	s_and_b64 vcc, s[88:89], exec
	s_or_b64 s[4:5], s[4:5], vcc
.LBB14_7349:
	s_or_b64 exec, exec, s[84:85]
	v_readlane_b32 vcc_lo, v43, 10
	v_readlane_b32 vcc_hi, v43, 11
	s_andn2_b64 vcc, vcc, exec
	s_and_b64 s[76:77], s[82:83], exec
	s_or_b64 s[82:83], vcc, s[76:77]
	s_and_b64 s[4:5], s[4:5], exec
                                        ; implicit-def: $vgpr4
                                        ; implicit-def: $vgpr2_vgpr3
	s_andn2_saveexec_b64 s[78:79], s[78:79]
	s_cbranch_execz .LBB14_3929
.LBB14_7350:
	v_mov_b32_e32 v5, 4
	v_cmp_gt_i16_sdwa vcc, v11, v5 src0_sel:BYTE_0 src1_sel:DWORD
	s_and_saveexec_b64 s[74:75], vcc
	s_xor_b64 vcc, exec, s[74:75]
	s_cbranch_execz .LBB14_7372
; %bb.7351:
	v_mov_b32_e32 v5, 7
	v_cmp_gt_i16_sdwa s[74:75], v11, v5 src0_sel:BYTE_0 src1_sel:DWORD
	s_and_saveexec_b64 s[76:77], s[74:75]
	s_xor_b64 s[84:85], exec, s[76:77]
	s_cbranch_execz .LBB14_7361
; %bb.7352:
	v_mov_b32_e32 v5, 8
	v_cmp_gt_i16_sdwa s[74:75], v11, v5 src0_sel:BYTE_0 src1_sel:DWORD
	s_and_saveexec_b64 s[76:77], s[74:75]
	s_xor_b64 s[86:87], exec, s[76:77]
	;; [unrolled: 6-line block ×3, first 2 shown]
	s_cbranch_execz .LBB14_7355
; %bb.7354:
	v_mov_b32_e32 v32, 0
	v_cvt_f64_f32_e32 v[30:31], v4
	v_mov_b32_e32 v33, v32
	flat_store_dwordx4 v[2:3], v[30:33]
                                        ; implicit-def: $vgpr4
                                        ; implicit-def: $vgpr2_vgpr3
.LBB14_7355:
	s_andn2_saveexec_b64 s[76:77], s[88:89]
	s_cbranch_execz .LBB14_7357
; %bb.7356:
	v_mov_b32_e32 v5, 0
	flat_store_dwordx2 v[2:3], v[4:5]
.LBB14_7357:
	s_or_b64 exec, exec, s[76:77]
                                        ; implicit-def: $vgpr4
                                        ; implicit-def: $vgpr2_vgpr3
.LBB14_7358:
	s_andn2_saveexec_b64 s[76:77], s[86:87]
	s_cbranch_execz .LBB14_7360
; %bb.7359:
	v_cvt_f16_f32_e32 v4, v4
	flat_store_dword v[2:3], v4
.LBB14_7360:
	s_or_b64 exec, exec, s[76:77]
                                        ; implicit-def: $vgpr4
                                        ; implicit-def: $vgpr2_vgpr3
.LBB14_7361:
	s_andn2_saveexec_b64 s[84:85], s[84:85]
	s_cbranch_execz .LBB14_7371
; %bb.7362:
	v_mov_b32_e32 v5, 5
	v_cmp_gt_i16_sdwa s[74:75], v11, v5 src0_sel:BYTE_0 src1_sel:DWORD
	s_and_saveexec_b64 s[76:77], s[74:75]
	s_xor_b64 s[86:87], exec, s[76:77]
	s_cbranch_execz .LBB14_7368
; %bb.7363:
	v_mov_b32_e32 v5, 6
	v_cmp_gt_i16_sdwa s[74:75], v11, v5 src0_sel:BYTE_0 src1_sel:DWORD
	s_and_saveexec_b64 s[76:77], s[74:75]
	s_xor_b64 s[76:77], exec, s[76:77]
	s_cbranch_execz .LBB14_7365
; %bb.7364:
	v_cvt_f64_f32_e32 v[4:5], v4
	flat_store_dwordx2 v[2:3], v[4:5]
                                        ; implicit-def: $vgpr2_vgpr3
                                        ; implicit-def: $vgpr4
.LBB14_7365:
	s_andn2_saveexec_b64 s[76:77], s[76:77]
	s_cbranch_execz .LBB14_7367
; %bb.7366:
	flat_store_dword v[2:3], v4
.LBB14_7367:
	s_or_b64 exec, exec, s[76:77]
                                        ; implicit-def: $vgpr4
                                        ; implicit-def: $vgpr2_vgpr3
.LBB14_7368:
	s_andn2_saveexec_b64 s[76:77], s[86:87]
	s_cbranch_execz .LBB14_7370
; %bb.7369:
	v_cvt_f16_f32_e32 v4, v4
	flat_store_short v[2:3], v4
.LBB14_7370:
	s_or_b64 exec, exec, s[76:77]
.LBB14_7371:
	s_or_b64 exec, exec, s[84:85]
                                        ; implicit-def: $vgpr4
                                        ; implicit-def: $vgpr2_vgpr3
.LBB14_7372:
	s_andn2_saveexec_b64 s[84:85], vcc
	s_cbranch_execz .LBB14_7390
; %bb.7373:
	v_mov_b32_e32 v5, 1
	v_cmp_gt_i16_sdwa vcc, v11, v5 src0_sel:BYTE_0 src1_sel:DWORD
	s_and_saveexec_b64 s[74:75], vcc
	s_xor_b64 s[86:87], exec, s[74:75]
	s_cbranch_execz .LBB14_7383
; %bb.7374:
	v_mov_b32_e32 v5, 2
	v_cmp_gt_i16_sdwa vcc, v11, v5 src0_sel:BYTE_0 src1_sel:DWORD
	s_and_saveexec_b64 s[74:75], vcc
	s_xor_b64 s[88:89], exec, s[74:75]
	;; [unrolled: 6-line block ×3, first 2 shown]
	s_cbranch_execz .LBB14_7377
; %bb.7376:
	v_trunc_f32_e32 v4, v4
	s_mov_b32 s74, 0x2f800000
	v_mul_f32_e64 v5, |v4|, s74
	v_floor_f32_e32 v5, v5
	s_mov_b32 s74, 0xcf800000
	v_cvt_u32_f32_e32 v30, v5
	v_fma_f32 v5, v5, s74, |v4|
	v_cvt_u32_f32_e32 v5, v5
	v_ashrrev_i32_e32 v31, 31, v4
	v_xor_b32_e32 v30, v30, v31
	v_xor_b32_e32 v4, v5, v31
	v_sub_co_u32_e32 v4, vcc, v4, v31
	v_subb_co_u32_e32 v5, vcc, v30, v31, vcc
	flat_store_dwordx2 v[2:3], v[4:5]
                                        ; implicit-def: $vgpr4
                                        ; implicit-def: $vgpr2_vgpr3
.LBB14_7377:
	s_andn2_saveexec_b64 vcc, s[90:91]
	s_cbranch_execz .LBB14_7379
; %bb.7378:
	v_cvt_i32_f32_e32 v4, v4
	flat_store_dword v[2:3], v4
.LBB14_7379:
	s_or_b64 exec, exec, vcc
                                        ; implicit-def: $vgpr4
                                        ; implicit-def: $vgpr2_vgpr3
.LBB14_7380:
	s_andn2_saveexec_b64 vcc, s[88:89]
	s_cbranch_execz .LBB14_7382
; %bb.7381:
	v_cvt_i32_f32_e32 v4, v4
	flat_store_short v[2:3], v4
.LBB14_7382:
	s_or_b64 exec, exec, vcc
                                        ; implicit-def: $vgpr4
                                        ; implicit-def: $vgpr2_vgpr3
.LBB14_7383:
	s_andn2_saveexec_b64 vcc, s[86:87]
	s_cbranch_execz .LBB14_7389
; %bb.7384:
	v_mov_b32_e32 v5, 0
	v_cmp_gt_i16_sdwa s[74:75], v11, v5 src0_sel:BYTE_0 src1_sel:DWORD
	s_and_saveexec_b64 s[76:77], s[74:75]
	s_xor_b64 s[76:77], exec, s[76:77]
	s_cbranch_execz .LBB14_7386
; %bb.7385:
	v_cvt_i32_f32_e32 v4, v4
	flat_store_byte v[2:3], v4
                                        ; implicit-def: $vgpr4
                                        ; implicit-def: $vgpr2_vgpr3
.LBB14_7386:
	s_andn2_saveexec_b64 s[86:87], s[76:77]
	s_cbranch_execz .LBB14_7388
; %bb.7387:
	v_trunc_f32_e32 v4, v4
	s_mov_b32 s74, 0x2f800000
	v_mul_f32_e64 v5, |v4|, s74
	v_floor_f32_e32 v5, v5
	s_mov_b32 s74, 0xcf800000
	v_fma_f32 v5, v5, s74, |v4|
	v_cvt_u32_f32_e32 v5, v5
	v_ashrrev_i32_e32 v4, 31, v4
	v_xor_b32_e32 v5, v5, v4
	v_sub_u32_e32 v4, v5, v4
	flat_store_byte v[2:3], v4
.LBB14_7388:
	s_or_b64 exec, exec, s[86:87]
.LBB14_7389:
	s_or_b64 exec, exec, vcc
.LBB14_7390:
	s_or_b64 exec, exec, s[84:85]
	s_or_b64 s[4:5], s[4:5], exec
	s_or_b64 exec, exec, s[78:79]
	s_mov_b64 vcc, 0
	s_and_saveexec_b64 s[76:77], s[4:5]
	s_cbranch_execnz .LBB14_3930
	s_branch .LBB14_3931
.LBB14_7391:
	v_bfe_u32 v5, v4, 21, 1
	s_mov_b32 s72, 0x88fffff
	v_add3_u32 v5, v4, v5, s72
	s_mov_b64 s[70:71], exec
	v_lshrrev_b32_e32 v5, 21, v5
	s_or_saveexec_b64 s[72:73], vcc
                                        ; implicit-def: $sgpr74
	s_xor_b64 exec, exec, s[72:73]
	s_cbranch_execz .LBB14_6556
.LBB14_7392:
	s_mov_b32 s74, 0x42800000
	v_add_f32_e64 v5, |v4|, s74
	v_and_b32_e32 v5, 0xff, v5
	v_cmp_ne_u32_e32 vcc, 0, v5
	s_andn2_b64 s[70:71], s[70:71], exec
	s_and_b64 vcc, vcc, exec
	s_mov_b32 s74, 0
	s_or_b64 s[70:71], s[70:71], vcc
	s_or_b64 exec, exec, s[72:73]
	v_mov_b32_e32 v50, s74
	s_and_saveexec_b64 vcc, s[70:71]
	s_cbranch_execnz .LBB14_6557
	s_branch .LBB14_6558
.LBB14_7393:
	v_bfe_u32 v5, v4, 20, 1
	s_mov_b32 s74, 0x487ffff
	v_add3_u32 v5, v4, v5, s74
	s_mov_b64 s[72:73], exec
	v_lshrrev_b32_e32 v5, 20, v5
	s_or_saveexec_b64 s[74:75], vcc
                                        ; implicit-def: $sgpr76
	s_xor_b64 exec, exec, s[74:75]
	s_cbranch_execz .LBB14_6669
.LBB14_7394:
	s_mov_b32 s76, 0x46000000
	v_add_f32_e64 v5, |v4|, s76
	v_and_b32_e32 v5, 0xff, v5
	v_cmp_ne_u32_e32 vcc, 0, v5
	s_andn2_b64 s[72:73], s[72:73], exec
	s_and_b64 vcc, vcc, exec
	s_mov_b32 s76, 0
	s_or_b64 s[72:73], s[72:73], vcc
	s_or_b64 exec, exec, s[74:75]
	v_mov_b32_e32 v48, s76
	s_and_saveexec_b64 vcc, s[72:73]
	s_cbranch_execnz .LBB14_6670
	s_branch .LBB14_6671
.LBB14_7395:
	v_mov_b32_e32 v5, 25
	v_readlane_b32 s86, v43, 14
	v_cmp_gt_i16_sdwa vcc, v11, v5 src0_sel:BYTE_0 src1_sel:DWORD
	v_readlane_b32 s87, v43, 15
	s_and_saveexec_b64 s[74:75], vcc
	s_xor_b64 s[88:89], exec, s[74:75]
	s_cbranch_execz .LBB14_7431
; %bb.7396:
	v_mov_b32_e32 v5, 28
	v_readlane_b32 s90, v43, 14
	v_cmp_gt_i16_sdwa vcc, v11, v5 src0_sel:BYTE_0 src1_sel:DWORD
	v_readlane_b32 s91, v43, 15
	s_and_saveexec_b64 s[74:75], vcc
	s_xor_b64 s[86:87], exec, s[74:75]
	s_cbranch_execz .LBB14_7414
; %bb.7397:
	v_mov_b32_e32 v5, 43
	v_readlane_b32 vcc_lo, v43, 14
	v_cmp_gt_i16_sdwa s[74:75], v11, v5 src0_sel:BYTE_0 src1_sel:DWORD
	v_readlane_b32 vcc_hi, v43, 15
	s_and_saveexec_b64 s[76:77], s[74:75]
	s_xor_b64 s[90:91], exec, s[76:77]
	s_cbranch_execz .LBB14_7409
; %bb.7398:
	v_mov_b32_e32 v5, 45
	v_readlane_b32 s94, v43, 14
	v_cmp_gt_i16_sdwa s[4:5], v11, v5 src0_sel:BYTE_0 src1_sel:DWORD
	s_mov_b64 s[92:93], 0
	v_readlane_b32 s95, v43, 15
	s_and_saveexec_b64 vcc, s[4:5]
	s_xor_b64 s[4:5], exec, vcc
	s_cbranch_execz .LBB14_7402
; %bb.7399:
	v_mov_b32_e32 v5, 46
	v_cmp_eq_u16_sdwa s[74:75], v11, v5 src0_sel:BYTE_0 src1_sel:DWORD
	s_mov_b64 vcc, -1
	s_and_saveexec_b64 s[92:93], s[74:75]
	s_cbranch_execz .LBB14_7401
; %bb.7400:
	v_bfe_u32 v5, v4, 16, 1
	s_movk_i32 vcc_lo, 0x7fff
	v_add3_u32 v5, v4, v5, vcc_lo
	v_lshrrev_b32_e32 v5, 16, v5
	v_mov_b32_e32 v28, 0x7fc0
	v_cmp_o_f32_e32 vcc, v4, v4
	v_cndmask_b32_e32 v4, v28, v5, vcc
	s_mov_b64 s[80:81], exec
	flat_store_dword v[2:3], v4
	s_xor_b64 vcc, exec, -1
.LBB14_7401:
	s_or_b64 exec, exec, s[92:93]
	v_readlane_b32 s74, v43, 14
	v_readlane_b32 s75, v43, 15
	s_andn2_b64 s[74:75], s[74:75], exec
	s_and_b64 vcc, vcc, exec
	s_or_b64 s[94:95], s[74:75], vcc
	s_and_b64 s[92:93], s[80:81], exec
                                        ; implicit-def: $vgpr2_vgpr3
                                        ; implicit-def: $vgpr4
.LBB14_7402:
	s_andn2_saveexec_b64 s[96:97], s[4:5]
	s_cbranch_execz .LBB14_7408
; %bb.7403:
	v_mov_b32_e32 v5, 44
	v_cmp_eq_u16_sdwa s[74:75], v11, v5 src0_sel:BYTE_0 src1_sel:DWORD
	s_mov_b64 vcc, -1
	s_mov_b64 s[4:5], s[92:93]
	s_and_saveexec_b64 s[80:81], s[74:75]
	s_cbranch_execz .LBB14_7407
; %bb.7404:
	v_bfe_u32 v5, v4, 23, 8
	s_movk_i32 s4, 0xff
	v_cmp_ne_u32_e32 vcc, s4, v5
	v_mov_b32_e32 v28, 0xff
	s_and_saveexec_b64 s[74:75], vcc
; %bb.7405:
	s_mov_b32 s4, 0x3fffff
	v_lshrrev_b32_e32 v28, 23, v4
	v_and_b32_e32 v29, 0x400000, v4
	v_and_or_b32 v4, v4, s4, v5
	v_cmp_ne_u32_e32 vcc, 0, v29
	v_cmp_ne_u32_e64 s[4:5], 0, v4
	s_and_b64 s[4:5], vcc, s[4:5]
	v_cndmask_b32_e64 v4, 0, 1, s[4:5]
	v_add_u32_e32 v28, v28, v4
; %bb.7406:
	s_or_b64 exec, exec, s[74:75]
	s_xor_b64 vcc, exec, -1
	s_or_b64 s[4:5], s[92:93], exec
	flat_store_byte v[2:3], v28
.LBB14_7407:
	s_or_b64 exec, exec, s[80:81]
	s_andn2_b64 s[74:75], s[94:95], exec
	s_and_b64 vcc, vcc, exec
	s_or_b64 s[94:95], s[74:75], vcc
	s_andn2_b64 vcc, s[92:93], exec
	s_and_b64 s[4:5], s[4:5], exec
	s_or_b64 s[92:93], vcc, s[4:5]
.LBB14_7408:
	s_or_b64 exec, exec, s[96:97]
	v_readlane_b32 s4, v43, 14
	v_readlane_b32 s5, v43, 15
	s_andn2_b64 s[4:5], s[4:5], exec
	s_and_b64 vcc, s[94:95], exec
	s_or_b64 vcc, s[4:5], vcc
	s_and_b64 s[4:5], s[92:93], exec
                                        ; implicit-def: $vgpr4
                                        ; implicit-def: $vgpr2_vgpr3
.LBB14_7409:
	s_andn2_saveexec_b64 s[90:91], s[90:91]
	s_cbranch_execz .LBB14_7413
; %bb.7410:
	v_mov_b32_e32 v5, 29
	v_cmp_eq_u16_sdwa s[74:75], v11, v5 src0_sel:BYTE_0 src1_sel:DWORD
	s_mov_b64 s[94:95], -1
	s_mov_b64 s[92:93], s[4:5]
	s_and_saveexec_b64 s[80:81], s[74:75]
	s_cbranch_execz .LBB14_7412
; %bb.7411:
	v_trunc_f32_e32 v4, v4
	v_mul_f32_e32 v5, 0x2f800000, v4
	v_floor_f32_e32 v28, v5
	v_fmac_f32_e32 v4, 0xcf800000, v28
	v_cvt_u32_f32_e32 v5, v28
	v_cvt_u32_f32_e32 v4, v4
	s_xor_b64 s[94:95], exec, -1
	s_or_b64 s[92:93], s[4:5], exec
	flat_store_dwordx2 v[2:3], v[4:5]
.LBB14_7412:
	s_or_b64 exec, exec, s[80:81]
	s_andn2_b64 vcc, vcc, exec
	s_and_b64 s[74:75], s[94:95], exec
	s_or_b64 vcc, vcc, s[74:75]
	s_andn2_b64 s[4:5], s[4:5], exec
	s_and_b64 s[74:75], s[92:93], exec
	s_or_b64 s[4:5], s[4:5], s[74:75]
.LBB14_7413:
	s_or_b64 exec, exec, s[90:91]
	v_readlane_b32 s74, v43, 14
	v_readlane_b32 s75, v43, 15
	s_andn2_b64 s[74:75], s[74:75], exec
	s_and_b64 vcc, vcc, exec
	s_or_b64 s[90:91], s[74:75], vcc
	s_and_b64 s[4:5], s[4:5], exec
                                        ; implicit-def: $vgpr2_vgpr3
                                        ; implicit-def: $vgpr4
.LBB14_7414:
	s_andn2_saveexec_b64 s[86:87], s[86:87]
	s_cbranch_execz .LBB14_7430
; %bb.7415:
	v_mov_b32_e32 v5, 26
	v_cmp_gt_i16_sdwa vcc, v11, v5 src0_sel:BYTE_0 src1_sel:DWORD
	s_and_saveexec_b64 s[74:75], vcc
	s_xor_b64 vcc, exec, s[74:75]
	s_cbranch_execz .LBB14_7421
; %bb.7416:
	v_cvt_u32_f32_e32 v4, v4
	v_mov_b32_e32 v5, 27
	v_cmp_gt_i16_sdwa s[74:75], v11, v5 src0_sel:BYTE_0 src1_sel:DWORD
	s_and_saveexec_b64 s[76:77], s[74:75]
	s_xor_b64 s[76:77], exec, s[76:77]
	s_cbranch_execz .LBB14_7418
; %bb.7417:
	flat_store_dword v[2:3], v4
                                        ; implicit-def: $vgpr2_vgpr3
                                        ; implicit-def: $vgpr4
.LBB14_7418:
	s_andn2_saveexec_b64 s[76:77], s[76:77]
	s_cbranch_execz .LBB14_7420
; %bb.7419:
	flat_store_short v[2:3], v4
.LBB14_7420:
	s_or_b64 exec, exec, s[76:77]
                                        ; implicit-def: $vgpr2_vgpr3
                                        ; implicit-def: $vgpr4
.LBB14_7421:
	s_andn2_saveexec_b64 s[92:93], vcc
	s_cbranch_execz .LBB14_7429
; %bb.7422:
	v_and_b32_e32 v5, 0x7fffffff, v4
	s_mov_b32 vcc_lo, 0x43800000
	v_cmp_gt_u32_e32 vcc, vcc_lo, v5
	v_mov_b32_e32 v28, 0x80
	s_and_saveexec_b64 s[94:95], vcc
	s_cbranch_execz .LBB14_7428
; %bb.7423:
	s_mov_b32 vcc_lo, 0x3bffffff
	v_cmp_lt_u32_e32 vcc, vcc_lo, v5
	s_mov_b64 s[96:97], 0
                                        ; implicit-def: $vgpr5
	s_and_saveexec_b64 s[74:75], vcc
	s_xor_b64 vcc, exec, s[74:75]
	s_cbranch_execnz .LBB14_7783
; %bb.7424:
	s_or_saveexec_b64 s[80:81], vcc
                                        ; implicit-def: $sgpr76
	s_xor_b64 exec, exec, s[80:81]
	s_cbranch_execnz .LBB14_7784
.LBB14_7425:
	s_or_b64 exec, exec, s[80:81]
	v_mov_b32_e32 v28, s76
	s_and_saveexec_b64 vcc, s[96:97]
.LBB14_7426:
	v_lshrrev_b32_e32 v4, 24, v4
	s_movk_i32 s74, 0x80
	v_and_or_b32 v28, v4, s74, v5
.LBB14_7427:
	s_or_b64 exec, exec, vcc
.LBB14_7428:
	s_or_b64 exec, exec, s[94:95]
	flat_store_byte v[2:3], v28
.LBB14_7429:
	s_or_b64 exec, exec, s[92:93]
	s_or_b64 s[4:5], s[4:5], exec
.LBB14_7430:
	s_or_b64 exec, exec, s[86:87]
	v_readlane_b32 vcc_lo, v43, 14
	v_readlane_b32 vcc_hi, v43, 15
	s_andn2_b64 vcc, vcc, exec
	s_and_b64 s[74:75], s[90:91], exec
	s_or_b64 s[86:87], vcc, s[74:75]
	s_and_b64 s[4:5], s[4:5], exec
                                        ; implicit-def: $vgpr4
                                        ; implicit-def: $vgpr2_vgpr3
.LBB14_7431:
	s_andn2_saveexec_b64 s[88:89], s[88:89]
	s_cbranch_execz .LBB14_7475
; %bb.7432:
	v_mov_b32_e32 v5, 22
	v_cmp_gt_i16_sdwa vcc, v11, v5 src0_sel:BYTE_0 src1_sel:DWORD
	s_mov_b64 s[92:93], s[4:5]
	s_and_saveexec_b64 s[74:75], vcc
	s_xor_b64 s[90:91], exec, s[74:75]
	s_cbranch_execz .LBB14_7464
; %bb.7433:
	v_mov_b32_e32 v5, 23
	v_cmp_gt_i16_sdwa vcc, v11, v5 src0_sel:BYTE_0 src1_sel:DWORD
	s_and_saveexec_b64 s[74:75], vcc
	s_xor_b64 s[92:93], exec, s[74:75]
	s_cbranch_execz .LBB14_7453
; %bb.7434:
	v_mov_b32_e32 v5, 24
	v_cmp_gt_i16_sdwa vcc, v11, v5 src0_sel:BYTE_0 src1_sel:DWORD
	s_and_saveexec_b64 s[74:75], vcc
	s_xor_b64 s[94:95], exec, s[74:75]
	s_cbranch_execz .LBB14_7442
; %bb.7435:
	v_and_b32_e32 v5, 0x7fffffff, v4
	s_mov_b32 vcc_lo, 0x47800000
	v_cmp_gt_u32_e32 vcc, vcc_lo, v5
	v_mov_b32_e32 v28, 0x80
	s_and_saveexec_b64 s[96:97], vcc
	s_cbranch_execz .LBB14_7441
; %bb.7436:
	s_mov_b32 vcc_lo, 0x37ffffff
	v_cmp_lt_u32_e32 vcc, vcc_lo, v5
	s_mov_b64 s[78:79], 0
                                        ; implicit-def: $vgpr5
	s_and_saveexec_b64 s[74:75], vcc
	s_xor_b64 vcc, exec, s[74:75]
	s_cbranch_execnz .LBB14_7785
; %bb.7437:
	s_or_saveexec_b64 s[80:81], vcc
                                        ; implicit-def: $sgpr76
	s_xor_b64 exec, exec, s[80:81]
	s_cbranch_execnz .LBB14_7786
.LBB14_7438:
	s_or_b64 exec, exec, s[80:81]
	v_mov_b32_e32 v28, s76
	s_and_saveexec_b64 vcc, s[78:79]
.LBB14_7439:
	v_lshrrev_b32_e32 v4, 24, v4
	s_movk_i32 s74, 0x80
	v_and_or_b32 v28, v4, s74, v5
.LBB14_7440:
	s_or_b64 exec, exec, vcc
.LBB14_7441:
	s_or_b64 exec, exec, s[96:97]
	flat_store_byte v[2:3], v28
                                        ; implicit-def: $vgpr4
                                        ; implicit-def: $vgpr2_vgpr3
.LBB14_7442:
	s_andn2_saveexec_b64 s[94:95], s[94:95]
	s_cbranch_execz .LBB14_7452
; %bb.7443:
	v_and_b32_e32 v28, 0x7fffffff, v4
	s_mov_b32 vcc_lo, 0x43f00000
	v_cmp_gt_u32_e32 vcc, vcc_lo, v28
                                        ; implicit-def: $vgpr5
	s_and_saveexec_b64 s[74:75], vcc
	s_xor_b64 s[80:81], exec, s[74:75]
	s_cbranch_execz .LBB14_7449
; %bb.7444:
	s_mov_b32 vcc_lo, 0x3c7fffff
	v_cmp_lt_u32_e32 vcc, vcc_lo, v28
                                        ; implicit-def: $vgpr5
	s_and_saveexec_b64 s[74:75], vcc
	s_xor_b64 s[78:79], exec, s[74:75]
; %bb.7445:
	v_bfe_u32 v5, v4, 20, 1
	s_mov_b32 vcc_lo, 0x407ffff
	v_add3_u32 v5, v4, v5, vcc_lo
	v_lshrrev_b32_e32 v28, 20, v5
	v_and_b32_e32 v5, 0xff00000, v5
	s_mov_b32 vcc_lo, 0x7f00000
	v_mov_b32_e32 v29, 0x7e
	v_cmp_ne_u32_e32 vcc, vcc_lo, v5
	v_cndmask_b32_e32 v5, v29, v28, vcc
; %bb.7446:
	s_andn2_saveexec_b64 vcc, s[78:79]
; %bb.7447:
	s_mov_b32 s74, 0x46800000
	v_add_f32_e64 v5, |v4|, s74
; %bb.7448:
	s_or_b64 exec, exec, vcc
                                        ; implicit-def: $vgpr28
.LBB14_7449:
	s_andn2_saveexec_b64 s[80:81], s[80:81]
; %bb.7450:
	s_mov_b32 vcc_lo, 0x7f800000
	v_mov_b32_e32 v5, 0x7e
	v_mov_b32_e32 v29, 0x7f
	v_cmp_lt_u32_e32 vcc, vcc_lo, v28
	v_cndmask_b32_e32 v5, v5, v29, vcc
; %bb.7451:
	s_or_b64 exec, exec, s[80:81]
	v_lshrrev_b32_e32 v4, 24, v4
	s_movk_i32 vcc_lo, 0x80
	v_and_or_b32 v4, v4, vcc_lo, v5
	flat_store_byte v[2:3], v4
.LBB14_7452:
	s_or_b64 exec, exec, s[94:95]
                                        ; implicit-def: $vgpr4
                                        ; implicit-def: $vgpr2_vgpr3
.LBB14_7453:
	s_andn2_saveexec_b64 s[92:93], s[92:93]
	s_cbranch_execz .LBB14_7463
; %bb.7454:
	v_and_b32_e32 v28, 0x7fffffff, v4
	s_mov_b32 vcc_lo, 0x47800000
	v_cmp_gt_u32_e32 vcc, vcc_lo, v28
                                        ; implicit-def: $vgpr5
	s_and_saveexec_b64 s[74:75], vcc
	s_xor_b64 s[80:81], exec, s[74:75]
	s_cbranch_execz .LBB14_7460
; %bb.7455:
	s_mov_b32 vcc_lo, 0x387fffff
	v_cmp_lt_u32_e32 vcc, vcc_lo, v28
                                        ; implicit-def: $vgpr5
	s_and_saveexec_b64 s[74:75], vcc
	s_xor_b64 vcc, exec, s[74:75]
; %bb.7456:
	v_bfe_u32 v5, v4, 21, 1
	s_mov_b32 s74, 0x80fffff
	v_add3_u32 v5, v4, v5, s74
	v_lshrrev_b32_e32 v5, 21, v5
; %bb.7457:
	s_andn2_saveexec_b64 vcc, vcc
; %bb.7458:
	s_mov_b32 s74, 0x43000000
	v_add_f32_e64 v5, |v4|, s74
; %bb.7459:
	s_or_b64 exec, exec, vcc
                                        ; implicit-def: $vgpr28
.LBB14_7460:
	s_andn2_saveexec_b64 s[80:81], s[80:81]
; %bb.7461:
	s_mov_b32 vcc_lo, 0x7f800000
	v_mov_b32_e32 v5, 0x7c
	v_mov_b32_e32 v29, 0x7f
	v_cmp_lt_u32_e32 vcc, vcc_lo, v28
	v_cndmask_b32_e32 v5, v5, v29, vcc
; %bb.7462:
	s_or_b64 exec, exec, s[80:81]
	v_lshrrev_b32_e32 v4, 24, v4
	s_movk_i32 vcc_lo, 0x80
	v_and_or_b32 v4, v4, vcc_lo, v5
	flat_store_byte v[2:3], v4
.LBB14_7463:
	s_or_b64 exec, exec, s[92:93]
	s_or_b64 s[92:93], s[4:5], exec
                                        ; implicit-def: $vgpr4
                                        ; implicit-def: $vgpr2_vgpr3
.LBB14_7464:
	s_or_saveexec_b64 s[90:91], s[90:91]
	s_mov_b64 vcc, s[86:87]
	s_xor_b64 exec, exec, s[90:91]
	s_cbranch_execz .LBB14_7474
; %bb.7465:
	v_mov_b32_e32 v5, 14
	v_cmp_gt_i16_sdwa vcc, v11, v5 src0_sel:BYTE_0 src1_sel:DWORD
	s_mov_b64 s[94:95], s[92:93]
	s_mov_b64 s[96:97], s[86:87]
	s_and_saveexec_b64 s[74:75], vcc
	s_xor_b64 s[80:81], exec, s[74:75]
	s_cbranch_execz .LBB14_7469
; %bb.7466:
	v_mov_b32_e32 v5, 15
	v_cmp_eq_u16_sdwa s[74:75], v11, v5 src0_sel:BYTE_0 src1_sel:DWORD
	s_mov_b64 s[96:97], -1
	s_mov_b64 vcc, s[92:93]
	s_and_saveexec_b64 s[94:95], s[74:75]
	s_cbranch_execz .LBB14_7468
; %bb.7467:
	v_bfe_u32 v5, v4, 16, 1
	s_movk_i32 vcc_lo, 0x7fff
	v_add3_u32 v5, v4, v5, vcc_lo
	v_lshrrev_b32_e32 v5, 16, v5
	v_mov_b32_e32 v28, 0x7fc0
	v_cmp_o_f32_e32 vcc, v4, v4
	v_cndmask_b32_e32 v4, v28, v5, vcc
	flat_store_short v[2:3], v4
	s_xor_b64 s[96:97], exec, -1
	s_or_b64 vcc, s[92:93], exec
.LBB14_7468:
	s_or_b64 exec, exec, s[94:95]
	s_andn2_b64 s[74:75], s[86:87], exec
	s_and_b64 s[76:77], s[96:97], exec
	s_or_b64 s[96:97], s[74:75], s[76:77]
	s_andn2_b64 s[74:75], s[92:93], exec
	s_and_b64 vcc, vcc, exec
	s_or_b64 s[94:95], s[74:75], vcc
                                        ; implicit-def: $vgpr4
                                        ; implicit-def: $vgpr2_vgpr3
.LBB14_7469:
	s_andn2_saveexec_b64 s[80:81], s[80:81]
	s_cbranch_execz .LBB14_7473
; %bb.7470:
	v_mov_b32_e32 v5, 11
	v_cmp_eq_u16_sdwa s[74:75], v11, v5 src0_sel:BYTE_0 src1_sel:DWORD
	s_mov_b64 s[78:79], -1
	s_mov_b64 vcc, s[94:95]
	s_and_saveexec_b64 s[76:77], s[74:75]
	s_cbranch_execz .LBB14_7472
; %bb.7471:
	v_cmp_neq_f32_e32 vcc, 0, v4
	v_cndmask_b32_e64 v4, 0, 1, vcc
	flat_store_byte v[2:3], v4
	s_xor_b64 s[78:79], exec, -1
	s_or_b64 vcc, s[94:95], exec
.LBB14_7472:
	s_or_b64 exec, exec, s[76:77]
	s_andn2_b64 s[74:75], s[96:97], exec
	s_and_b64 s[76:77], s[78:79], exec
	s_or_b64 s[96:97], s[74:75], s[76:77]
	s_andn2_b64 s[74:75], s[94:95], exec
	s_and_b64 vcc, vcc, exec
	s_or_b64 s[94:95], s[74:75], vcc
.LBB14_7473:
	s_or_b64 exec, exec, s[80:81]
	s_andn2_b64 vcc, s[86:87], exec
	s_and_b64 s[74:75], s[96:97], exec
	s_or_b64 vcc, vcc, s[74:75]
	s_andn2_b64 s[74:75], s[92:93], exec
	s_and_b64 s[76:77], s[94:95], exec
	s_or_b64 s[92:93], s[74:75], s[76:77]
.LBB14_7474:
	s_or_b64 exec, exec, s[90:91]
	s_andn2_b64 s[74:75], s[86:87], exec
	s_and_b64 vcc, vcc, exec
	s_or_b64 s[86:87], s[74:75], vcc
	s_andn2_b64 s[4:5], s[4:5], exec
	s_and_b64 vcc, s[92:93], exec
	s_or_b64 s[4:5], s[4:5], vcc
.LBB14_7475:
	s_or_b64 exec, exec, s[88:89]
	v_readlane_b32 vcc_lo, v43, 14
	v_readlane_b32 vcc_hi, v43, 15
	s_andn2_b64 vcc, vcc, exec
	s_and_b64 s[74:75], s[86:87], exec
	s_or_b64 s[86:87], vcc, s[74:75]
	s_and_b64 s[4:5], s[4:5], exec
                                        ; implicit-def: $vgpr4
                                        ; implicit-def: $vgpr2_vgpr3
	s_andn2_saveexec_b64 s[82:83], s[82:83]
	s_cbranch_execz .LBB14_3936
.LBB14_7476:
	v_mov_b32_e32 v5, 4
	v_cmp_gt_i16_sdwa vcc, v11, v5 src0_sel:BYTE_0 src1_sel:DWORD
	s_and_saveexec_b64 s[74:75], vcc
	s_xor_b64 vcc, exec, s[74:75]
	s_cbranch_execz .LBB14_7498
; %bb.7477:
	v_mov_b32_e32 v5, 7
	v_cmp_gt_i16_sdwa s[74:75], v11, v5 src0_sel:BYTE_0 src1_sel:DWORD
	s_and_saveexec_b64 s[76:77], s[74:75]
	s_xor_b64 s[88:89], exec, s[76:77]
	s_cbranch_execz .LBB14_7487
; %bb.7478:
	v_mov_b32_e32 v5, 8
	v_cmp_gt_i16_sdwa s[74:75], v11, v5 src0_sel:BYTE_0 src1_sel:DWORD
	s_and_saveexec_b64 s[76:77], s[74:75]
	s_xor_b64 s[90:91], exec, s[76:77]
	;; [unrolled: 6-line block ×3, first 2 shown]
	s_cbranch_execz .LBB14_7481
; %bb.7480:
	v_mov_b32_e32 v30, 0
	v_cvt_f64_f32_e32 v[28:29], v4
	v_mov_b32_e32 v31, v30
	flat_store_dwordx4 v[2:3], v[28:31]
                                        ; implicit-def: $vgpr4
                                        ; implicit-def: $vgpr2_vgpr3
.LBB14_7481:
	s_andn2_saveexec_b64 s[76:77], s[78:79]
	s_cbranch_execz .LBB14_7483
; %bb.7482:
	v_mov_b32_e32 v5, 0
	flat_store_dwordx2 v[2:3], v[4:5]
.LBB14_7483:
	s_or_b64 exec, exec, s[76:77]
                                        ; implicit-def: $vgpr4
                                        ; implicit-def: $vgpr2_vgpr3
.LBB14_7484:
	s_andn2_saveexec_b64 s[76:77], s[90:91]
	s_cbranch_execz .LBB14_7486
; %bb.7485:
	v_cvt_f16_f32_e32 v4, v4
	flat_store_dword v[2:3], v4
.LBB14_7486:
	s_or_b64 exec, exec, s[76:77]
                                        ; implicit-def: $vgpr4
                                        ; implicit-def: $vgpr2_vgpr3
.LBB14_7487:
	s_andn2_saveexec_b64 s[88:89], s[88:89]
	s_cbranch_execz .LBB14_7497
; %bb.7488:
	v_mov_b32_e32 v5, 5
	v_cmp_gt_i16_sdwa s[74:75], v11, v5 src0_sel:BYTE_0 src1_sel:DWORD
	s_and_saveexec_b64 s[76:77], s[74:75]
	s_xor_b64 s[80:81], exec, s[76:77]
	s_cbranch_execz .LBB14_7494
; %bb.7489:
	v_mov_b32_e32 v5, 6
	v_cmp_gt_i16_sdwa s[74:75], v11, v5 src0_sel:BYTE_0 src1_sel:DWORD
	s_and_saveexec_b64 s[76:77], s[74:75]
	s_xor_b64 s[76:77], exec, s[76:77]
	s_cbranch_execz .LBB14_7491
; %bb.7490:
	v_cvt_f64_f32_e32 v[4:5], v4
	flat_store_dwordx2 v[2:3], v[4:5]
                                        ; implicit-def: $vgpr2_vgpr3
                                        ; implicit-def: $vgpr4
.LBB14_7491:
	s_andn2_saveexec_b64 s[76:77], s[76:77]
	s_cbranch_execz .LBB14_7493
; %bb.7492:
	flat_store_dword v[2:3], v4
.LBB14_7493:
	s_or_b64 exec, exec, s[76:77]
                                        ; implicit-def: $vgpr4
                                        ; implicit-def: $vgpr2_vgpr3
.LBB14_7494:
	s_andn2_saveexec_b64 s[76:77], s[80:81]
	s_cbranch_execz .LBB14_7496
; %bb.7495:
	v_cvt_f16_f32_e32 v4, v4
	flat_store_short v[2:3], v4
.LBB14_7496:
	s_or_b64 exec, exec, s[76:77]
.LBB14_7497:
	s_or_b64 exec, exec, s[88:89]
                                        ; implicit-def: $vgpr4
                                        ; implicit-def: $vgpr2_vgpr3
.LBB14_7498:
	s_andn2_saveexec_b64 s[88:89], vcc
	s_cbranch_execz .LBB14_7516
; %bb.7499:
	v_mov_b32_e32 v5, 1
	v_cmp_gt_i16_sdwa vcc, v11, v5 src0_sel:BYTE_0 src1_sel:DWORD
	s_and_saveexec_b64 s[74:75], vcc
	s_xor_b64 s[90:91], exec, s[74:75]
	s_cbranch_execz .LBB14_7509
; %bb.7500:
	v_mov_b32_e32 v5, 2
	v_cmp_gt_i16_sdwa vcc, v11, v5 src0_sel:BYTE_0 src1_sel:DWORD
	s_and_saveexec_b64 s[74:75], vcc
	s_xor_b64 s[92:93], exec, s[74:75]
	;; [unrolled: 6-line block ×3, first 2 shown]
	s_cbranch_execz .LBB14_7503
; %bb.7502:
	v_trunc_f32_e32 v4, v4
	s_mov_b32 s74, 0x2f800000
	v_mul_f32_e64 v5, |v4|, s74
	v_floor_f32_e32 v5, v5
	s_mov_b32 s74, 0xcf800000
	v_cvt_u32_f32_e32 v28, v5
	v_fma_f32 v5, v5, s74, |v4|
	v_cvt_u32_f32_e32 v5, v5
	v_ashrrev_i32_e32 v29, 31, v4
	v_xor_b32_e32 v28, v28, v29
	v_xor_b32_e32 v4, v5, v29
	v_sub_co_u32_e32 v4, vcc, v4, v29
	v_subb_co_u32_e32 v5, vcc, v28, v29, vcc
	flat_store_dwordx2 v[2:3], v[4:5]
                                        ; implicit-def: $vgpr4
                                        ; implicit-def: $vgpr2_vgpr3
.LBB14_7503:
	s_andn2_saveexec_b64 vcc, s[80:81]
	s_cbranch_execz .LBB14_7505
; %bb.7504:
	v_cvt_i32_f32_e32 v4, v4
	flat_store_dword v[2:3], v4
.LBB14_7505:
	s_or_b64 exec, exec, vcc
                                        ; implicit-def: $vgpr4
                                        ; implicit-def: $vgpr2_vgpr3
.LBB14_7506:
	s_andn2_saveexec_b64 vcc, s[92:93]
	s_cbranch_execz .LBB14_7508
; %bb.7507:
	v_cvt_i32_f32_e32 v4, v4
	flat_store_short v[2:3], v4
.LBB14_7508:
	s_or_b64 exec, exec, vcc
                                        ; implicit-def: $vgpr4
                                        ; implicit-def: $vgpr2_vgpr3
.LBB14_7509:
	s_andn2_saveexec_b64 vcc, s[90:91]
	s_cbranch_execz .LBB14_7515
; %bb.7510:
	v_mov_b32_e32 v5, 0
	v_cmp_gt_i16_sdwa s[74:75], v11, v5 src0_sel:BYTE_0 src1_sel:DWORD
	s_and_saveexec_b64 s[76:77], s[74:75]
	s_xor_b64 s[76:77], exec, s[76:77]
	s_cbranch_execz .LBB14_7512
; %bb.7511:
	v_cvt_i32_f32_e32 v4, v4
	flat_store_byte v[2:3], v4
                                        ; implicit-def: $vgpr4
                                        ; implicit-def: $vgpr2_vgpr3
.LBB14_7512:
	s_andn2_saveexec_b64 s[80:81], s[76:77]
	s_cbranch_execz .LBB14_7514
; %bb.7513:
	v_trunc_f32_e32 v4, v4
	s_mov_b32 s74, 0x2f800000
	v_mul_f32_e64 v5, |v4|, s74
	v_floor_f32_e32 v5, v5
	s_mov_b32 s74, 0xcf800000
	v_fma_f32 v5, v5, s74, |v4|
	v_cvt_u32_f32_e32 v5, v5
	v_ashrrev_i32_e32 v4, 31, v4
	v_xor_b32_e32 v5, v5, v4
	v_sub_u32_e32 v4, v5, v4
	flat_store_byte v[2:3], v4
.LBB14_7514:
	s_or_b64 exec, exec, s[80:81]
.LBB14_7515:
	s_or_b64 exec, exec, vcc
.LBB14_7516:
	s_or_b64 exec, exec, s[88:89]
	s_or_b64 s[4:5], s[4:5], exec
	s_or_b64 exec, exec, s[82:83]
	s_mov_b64 vcc, 0
	s_and_saveexec_b64 s[76:77], s[4:5]
	s_cbranch_execnz .LBB14_3937
	s_branch .LBB14_3938
.LBB14_7517:
	v_bfe_u32 v5, v4, 21, 1
	s_mov_b32 s76, 0x88fffff
	v_add3_u32 v5, v4, v5, s76
	s_mov_b64 s[74:75], exec
	v_lshrrev_b32_e32 v5, 21, v5
	s_or_saveexec_b64 s[76:77], vcc
                                        ; implicit-def: $sgpr78
	s_xor_b64 exec, exec, s[76:77]
	s_cbranch_execz .LBB14_6682
.LBB14_7518:
	s_mov_b32 s78, 0x42800000
	v_add_f32_e64 v5, |v4|, s78
	v_and_b32_e32 v5, 0xff, v5
	v_cmp_ne_u32_e32 vcc, 0, v5
	s_andn2_b64 s[74:75], s[74:75], exec
	s_and_b64 vcc, vcc, exec
	s_mov_b32 s78, 0
	s_or_b64 s[74:75], s[74:75], vcc
	s_or_b64 exec, exec, s[76:77]
	v_mov_b32_e32 v48, s78
	s_and_saveexec_b64 vcc, s[74:75]
	s_cbranch_execnz .LBB14_6683
	s_branch .LBB14_6684
.LBB14_7519:
	v_bfe_u32 v5, v4, 20, 1
	s_mov_b32 s78, 0x487ffff
	v_add3_u32 v5, v4, v5, s78
	s_mov_b64 s[76:77], exec
	v_lshrrev_b32_e32 v5, 20, v5
	s_or_saveexec_b64 s[78:79], vcc
                                        ; implicit-def: $sgpr80
	s_xor_b64 exec, exec, s[78:79]
	s_cbranch_execz .LBB14_6795
.LBB14_7520:
	s_mov_b32 s80, 0x46000000
	v_add_f32_e64 v5, |v4|, s80
	v_and_b32_e32 v5, 0xff, v5
	v_cmp_ne_u32_e32 vcc, 0, v5
	s_andn2_b64 s[76:77], s[76:77], exec
	s_and_b64 vcc, vcc, exec
	s_mov_b32 s80, 0
	s_or_b64 s[76:77], s[76:77], vcc
	s_or_b64 exec, exec, s[78:79]
	v_mov_b32_e32 v38, s80
	s_and_saveexec_b64 vcc, s[76:77]
	s_cbranch_execnz .LBB14_6796
	s_branch .LBB14_6797
.LBB14_7521:
	v_mov_b32_e32 v5, 25
	v_readlane_b32 s82, v43, 18
	v_cmp_gt_i16_sdwa vcc, v11, v5 src0_sel:BYTE_0 src1_sel:DWORD
	v_readlane_b32 s83, v43, 19
	s_and_saveexec_b64 s[74:75], vcc
	s_xor_b64 s[92:93], exec, s[74:75]
	s_cbranch_execz .LBB14_7557
; %bb.7522:
	v_mov_b32_e32 v5, 28
	v_readlane_b32 s94, v43, 18
	v_cmp_gt_i16_sdwa vcc, v11, v5 src0_sel:BYTE_0 src1_sel:DWORD
	v_readlane_b32 s95, v43, 19
	s_and_saveexec_b64 s[74:75], vcc
	s_xor_b64 s[90:91], exec, s[74:75]
	s_cbranch_execz .LBB14_7540
; %bb.7523:
	v_mov_b32_e32 v5, 43
	v_readlane_b32 vcc_lo, v43, 18
	v_cmp_gt_i16_sdwa s[74:75], v11, v5 src0_sel:BYTE_0 src1_sel:DWORD
	v_readlane_b32 vcc_hi, v43, 19
	s_and_saveexec_b64 s[76:77], s[74:75]
	s_xor_b64 s[76:77], exec, s[76:77]
	s_cbranch_execz .LBB14_7535
; %bb.7524:
	v_mov_b32_e32 v5, 45
	v_readlane_b32 s84, v43, 18
	v_cmp_gt_i16_sdwa s[4:5], v11, v5 src0_sel:BYTE_0 src1_sel:DWORD
	s_mov_b64 s[96:97], 0
	v_readlane_b32 s85, v43, 19
	s_and_saveexec_b64 vcc, s[4:5]
	s_xor_b64 s[4:5], exec, vcc
	s_cbranch_execz .LBB14_7528
; %bb.7525:
	v_mov_b32_e32 v5, 46
	v_cmp_eq_u16_sdwa s[74:75], v11, v5 src0_sel:BYTE_0 src1_sel:DWORD
	s_mov_b64 vcc, -1
	s_and_saveexec_b64 s[82:83], s[74:75]
	s_cbranch_execz .LBB14_7527
; %bb.7526:
	v_bfe_u32 v5, v4, 16, 1
	s_movk_i32 vcc_lo, 0x7fff
	v_add3_u32 v5, v4, v5, vcc_lo
	v_lshrrev_b32_e32 v5, 16, v5
	v_mov_b32_e32 v26, 0x7fc0
	v_cmp_o_f32_e32 vcc, v4, v4
	v_cndmask_b32_e32 v4, v26, v5, vcc
	s_mov_b64 s[80:81], exec
	flat_store_dword v[2:3], v4
	s_xor_b64 vcc, exec, -1
.LBB14_7527:
	s_or_b64 exec, exec, s[82:83]
	v_readlane_b32 s74, v43, 18
	v_readlane_b32 s75, v43, 19
	s_andn2_b64 s[74:75], s[74:75], exec
	s_and_b64 vcc, vcc, exec
	s_or_b64 s[84:85], s[74:75], vcc
	s_and_b64 s[96:97], s[80:81], exec
                                        ; implicit-def: $vgpr2_vgpr3
                                        ; implicit-def: $vgpr4
.LBB14_7528:
	s_andn2_saveexec_b64 s[94:95], s[4:5]
	s_cbranch_execz .LBB14_7534
; %bb.7529:
	v_mov_b32_e32 v5, 44
	v_cmp_eq_u16_sdwa s[74:75], v11, v5 src0_sel:BYTE_0 src1_sel:DWORD
	s_mov_b64 vcc, -1
	s_mov_b64 s[4:5], s[96:97]
	s_and_saveexec_b64 s[80:81], s[74:75]
	s_cbranch_execz .LBB14_7533
; %bb.7530:
	v_bfe_u32 v5, v4, 23, 8
	s_movk_i32 s4, 0xff
	v_cmp_ne_u32_e32 vcc, s4, v5
	v_mov_b32_e32 v26, 0xff
	s_and_saveexec_b64 s[82:83], vcc
; %bb.7531:
	s_mov_b32 s4, 0x3fffff
	v_lshrrev_b32_e32 v26, 23, v4
	v_and_b32_e32 v27, 0x400000, v4
	v_and_or_b32 v4, v4, s4, v5
	v_cmp_ne_u32_e32 vcc, 0, v27
	v_cmp_ne_u32_e64 s[4:5], 0, v4
	s_and_b64 s[4:5], vcc, s[4:5]
	v_cndmask_b32_e64 v4, 0, 1, s[4:5]
	v_add_u32_e32 v26, v26, v4
; %bb.7532:
	s_or_b64 exec, exec, s[82:83]
	s_xor_b64 vcc, exec, -1
	s_or_b64 s[4:5], s[96:97], exec
	flat_store_byte v[2:3], v26
.LBB14_7533:
	s_or_b64 exec, exec, s[80:81]
	s_andn2_b64 s[74:75], s[84:85], exec
	s_and_b64 vcc, vcc, exec
	s_or_b64 s[84:85], s[74:75], vcc
	s_andn2_b64 vcc, s[96:97], exec
	s_and_b64 s[4:5], s[4:5], exec
	s_or_b64 s[96:97], vcc, s[4:5]
.LBB14_7534:
	s_or_b64 exec, exec, s[94:95]
	v_readlane_b32 s4, v43, 18
	v_readlane_b32 s5, v43, 19
	s_andn2_b64 s[4:5], s[4:5], exec
	s_and_b64 vcc, s[84:85], exec
	s_or_b64 vcc, s[4:5], vcc
	s_and_b64 s[4:5], s[96:97], exec
                                        ; implicit-def: $vgpr4
                                        ; implicit-def: $vgpr2_vgpr3
.LBB14_7535:
	s_andn2_saveexec_b64 s[82:83], s[76:77]
	s_cbranch_execz .LBB14_7539
; %bb.7536:
	v_mov_b32_e32 v5, 29
	v_cmp_eq_u16_sdwa s[74:75], v11, v5 src0_sel:BYTE_0 src1_sel:DWORD
	s_mov_b64 s[94:95], -1
	s_mov_b64 s[84:85], s[4:5]
	s_and_saveexec_b64 s[80:81], s[74:75]
	s_cbranch_execz .LBB14_7538
; %bb.7537:
	v_trunc_f32_e32 v4, v4
	v_mul_f32_e32 v5, 0x2f800000, v4
	v_floor_f32_e32 v26, v5
	v_fmac_f32_e32 v4, 0xcf800000, v26
	v_cvt_u32_f32_e32 v5, v26
	v_cvt_u32_f32_e32 v4, v4
	s_xor_b64 s[94:95], exec, -1
	s_or_b64 s[84:85], s[4:5], exec
	flat_store_dwordx2 v[2:3], v[4:5]
.LBB14_7538:
	s_or_b64 exec, exec, s[80:81]
	s_andn2_b64 vcc, vcc, exec
	s_and_b64 s[74:75], s[94:95], exec
	s_or_b64 vcc, vcc, s[74:75]
	s_andn2_b64 s[4:5], s[4:5], exec
	s_and_b64 s[74:75], s[84:85], exec
	s_or_b64 s[4:5], s[4:5], s[74:75]
.LBB14_7539:
	s_or_b64 exec, exec, s[82:83]
	v_readlane_b32 s74, v43, 18
	v_readlane_b32 s75, v43, 19
	s_andn2_b64 s[74:75], s[74:75], exec
	s_and_b64 vcc, vcc, exec
	s_or_b64 s[94:95], s[74:75], vcc
	s_and_b64 s[4:5], s[4:5], exec
                                        ; implicit-def: $vgpr2_vgpr3
                                        ; implicit-def: $vgpr4
.LBB14_7540:
	s_andn2_saveexec_b64 s[90:91], s[90:91]
	s_cbranch_execz .LBB14_7556
; %bb.7541:
	v_mov_b32_e32 v5, 26
	v_cmp_gt_i16_sdwa vcc, v11, v5 src0_sel:BYTE_0 src1_sel:DWORD
	s_and_saveexec_b64 s[74:75], vcc
	s_xor_b64 vcc, exec, s[74:75]
	s_cbranch_execz .LBB14_7547
; %bb.7542:
	v_cvt_u32_f32_e32 v4, v4
	v_mov_b32_e32 v5, 27
	v_cmp_gt_i16_sdwa s[74:75], v11, v5 src0_sel:BYTE_0 src1_sel:DWORD
	s_and_saveexec_b64 s[76:77], s[74:75]
	s_xor_b64 s[76:77], exec, s[76:77]
	s_cbranch_execz .LBB14_7544
; %bb.7543:
	flat_store_dword v[2:3], v4
                                        ; implicit-def: $vgpr2_vgpr3
                                        ; implicit-def: $vgpr4
.LBB14_7544:
	s_andn2_saveexec_b64 s[76:77], s[76:77]
	s_cbranch_execz .LBB14_7546
; %bb.7545:
	flat_store_short v[2:3], v4
.LBB14_7546:
	s_or_b64 exec, exec, s[76:77]
                                        ; implicit-def: $vgpr2_vgpr3
                                        ; implicit-def: $vgpr4
.LBB14_7547:
	s_andn2_saveexec_b64 s[96:97], vcc
	s_cbranch_execz .LBB14_7555
; %bb.7548:
	v_and_b32_e32 v5, 0x7fffffff, v4
	s_mov_b32 vcc_lo, 0x43800000
	v_cmp_gt_u32_e32 vcc, vcc_lo, v5
	v_mov_b32_e32 v26, 0x80
	s_and_saveexec_b64 s[84:85], vcc
	s_cbranch_execz .LBB14_7554
; %bb.7549:
	s_mov_b32 vcc_lo, 0x3bffffff
	v_cmp_lt_u32_e32 vcc, vcc_lo, v5
	s_mov_b64 s[82:83], 0
                                        ; implicit-def: $vgpr5
	s_and_saveexec_b64 s[74:75], vcc
	s_xor_b64 vcc, exec, s[74:75]
	s_cbranch_execnz .LBB14_7787
; %bb.7550:
	s_or_saveexec_b64 s[80:81], vcc
                                        ; implicit-def: $sgpr76
	s_xor_b64 exec, exec, s[80:81]
	s_cbranch_execnz .LBB14_7788
.LBB14_7551:
	s_or_b64 exec, exec, s[80:81]
	v_mov_b32_e32 v26, s76
	s_and_saveexec_b64 vcc, s[82:83]
.LBB14_7552:
	v_lshrrev_b32_e32 v4, 24, v4
	s_movk_i32 s74, 0x80
	v_and_or_b32 v26, v4, s74, v5
.LBB14_7553:
	s_or_b64 exec, exec, vcc
.LBB14_7554:
	s_or_b64 exec, exec, s[84:85]
	flat_store_byte v[2:3], v26
.LBB14_7555:
	s_or_b64 exec, exec, s[96:97]
	s_or_b64 s[4:5], s[4:5], exec
.LBB14_7556:
	s_or_b64 exec, exec, s[90:91]
	v_readlane_b32 vcc_lo, v43, 18
	v_readlane_b32 vcc_hi, v43, 19
	s_andn2_b64 vcc, vcc, exec
	s_and_b64 s[74:75], s[94:95], exec
	s_or_b64 s[82:83], vcc, s[74:75]
	s_and_b64 s[4:5], s[4:5], exec
                                        ; implicit-def: $vgpr4
                                        ; implicit-def: $vgpr2_vgpr3
.LBB14_7557:
	s_andn2_saveexec_b64 s[92:93], s[92:93]
	s_cbranch_execz .LBB14_7601
; %bb.7558:
	v_mov_b32_e32 v5, 22
	v_cmp_gt_i16_sdwa vcc, v11, v5 src0_sel:BYTE_0 src1_sel:DWORD
	s_mov_b64 s[96:97], s[4:5]
	s_and_saveexec_b64 s[74:75], vcc
	s_xor_b64 s[94:95], exec, s[74:75]
	s_cbranch_execz .LBB14_7590
; %bb.7559:
	v_mov_b32_e32 v5, 23
	v_cmp_gt_i16_sdwa vcc, v11, v5 src0_sel:BYTE_0 src1_sel:DWORD
	s_and_saveexec_b64 s[74:75], vcc
	s_xor_b64 s[96:97], exec, s[74:75]
	s_cbranch_execz .LBB14_7579
; %bb.7560:
	v_mov_b32_e32 v5, 24
	v_cmp_gt_i16_sdwa vcc, v11, v5 src0_sel:BYTE_0 src1_sel:DWORD
	s_and_saveexec_b64 s[74:75], vcc
	s_xor_b64 s[84:85], exec, s[74:75]
	s_cbranch_execz .LBB14_7568
; %bb.7561:
	v_and_b32_e32 v5, 0x7fffffff, v4
	s_mov_b32 vcc_lo, 0x47800000
	v_cmp_gt_u32_e32 vcc, vcc_lo, v5
	v_mov_b32_e32 v26, 0x80
	s_and_saveexec_b64 s[78:79], vcc
	s_cbranch_execz .LBB14_7567
; %bb.7562:
	s_mov_b32 vcc_lo, 0x37ffffff
	v_cmp_lt_u32_e32 vcc, vcc_lo, v5
	s_mov_b64 s[90:91], 0
                                        ; implicit-def: $vgpr5
	s_and_saveexec_b64 s[74:75], vcc
	s_xor_b64 vcc, exec, s[74:75]
	s_cbranch_execnz .LBB14_7789
; %bb.7563:
	s_or_saveexec_b64 s[80:81], vcc
                                        ; implicit-def: $sgpr76
	s_xor_b64 exec, exec, s[80:81]
	s_cbranch_execnz .LBB14_7790
.LBB14_7564:
	s_or_b64 exec, exec, s[80:81]
	v_mov_b32_e32 v26, s76
	s_and_saveexec_b64 vcc, s[90:91]
.LBB14_7565:
	v_lshrrev_b32_e32 v4, 24, v4
	s_movk_i32 s74, 0x80
	v_and_or_b32 v26, v4, s74, v5
.LBB14_7566:
	s_or_b64 exec, exec, vcc
.LBB14_7567:
	s_or_b64 exec, exec, s[78:79]
	flat_store_byte v[2:3], v26
                                        ; implicit-def: $vgpr4
                                        ; implicit-def: $vgpr2_vgpr3
.LBB14_7568:
	s_andn2_saveexec_b64 s[84:85], s[84:85]
	s_cbranch_execz .LBB14_7578
; %bb.7569:
	v_and_b32_e32 v26, 0x7fffffff, v4
	s_mov_b32 vcc_lo, 0x43f00000
	v_cmp_gt_u32_e32 vcc, vcc_lo, v26
                                        ; implicit-def: $vgpr5
	s_and_saveexec_b64 s[74:75], vcc
	s_xor_b64 s[80:81], exec, s[74:75]
	s_cbranch_execz .LBB14_7575
; %bb.7570:
	s_mov_b32 vcc_lo, 0x3c7fffff
	v_cmp_lt_u32_e32 vcc, vcc_lo, v26
                                        ; implicit-def: $vgpr5
	s_and_saveexec_b64 s[74:75], vcc
	s_xor_b64 s[78:79], exec, s[74:75]
; %bb.7571:
	v_bfe_u32 v5, v4, 20, 1
	s_mov_b32 vcc_lo, 0x407ffff
	v_add3_u32 v5, v4, v5, vcc_lo
	v_lshrrev_b32_e32 v26, 20, v5
	v_and_b32_e32 v5, 0xff00000, v5
	s_mov_b32 vcc_lo, 0x7f00000
	v_mov_b32_e32 v27, 0x7e
	v_cmp_ne_u32_e32 vcc, vcc_lo, v5
	v_cndmask_b32_e32 v5, v27, v26, vcc
; %bb.7572:
	s_andn2_saveexec_b64 vcc, s[78:79]
; %bb.7573:
	s_mov_b32 s74, 0x46800000
	v_add_f32_e64 v5, |v4|, s74
; %bb.7574:
	s_or_b64 exec, exec, vcc
                                        ; implicit-def: $vgpr26
.LBB14_7575:
	s_andn2_saveexec_b64 s[80:81], s[80:81]
; %bb.7576:
	s_mov_b32 vcc_lo, 0x7f800000
	v_mov_b32_e32 v5, 0x7e
	v_mov_b32_e32 v27, 0x7f
	v_cmp_lt_u32_e32 vcc, vcc_lo, v26
	v_cndmask_b32_e32 v5, v5, v27, vcc
; %bb.7577:
	s_or_b64 exec, exec, s[80:81]
	v_lshrrev_b32_e32 v4, 24, v4
	s_movk_i32 vcc_lo, 0x80
	v_and_or_b32 v4, v4, vcc_lo, v5
	flat_store_byte v[2:3], v4
.LBB14_7578:
	s_or_b64 exec, exec, s[84:85]
                                        ; implicit-def: $vgpr4
                                        ; implicit-def: $vgpr2_vgpr3
.LBB14_7579:
	s_andn2_saveexec_b64 s[84:85], s[96:97]
	s_cbranch_execz .LBB14_7589
; %bb.7580:
	v_and_b32_e32 v26, 0x7fffffff, v4
	s_mov_b32 vcc_lo, 0x47800000
	v_cmp_gt_u32_e32 vcc, vcc_lo, v26
                                        ; implicit-def: $vgpr5
	s_and_saveexec_b64 s[74:75], vcc
	s_xor_b64 s[80:81], exec, s[74:75]
	s_cbranch_execz .LBB14_7586
; %bb.7581:
	s_mov_b32 vcc_lo, 0x387fffff
	v_cmp_lt_u32_e32 vcc, vcc_lo, v26
                                        ; implicit-def: $vgpr5
	s_and_saveexec_b64 s[74:75], vcc
	s_xor_b64 vcc, exec, s[74:75]
; %bb.7582:
	v_bfe_u32 v5, v4, 21, 1
	s_mov_b32 s74, 0x80fffff
	v_add3_u32 v5, v4, v5, s74
	v_lshrrev_b32_e32 v5, 21, v5
; %bb.7583:
	s_andn2_saveexec_b64 vcc, vcc
; %bb.7584:
	s_mov_b32 s74, 0x43000000
	v_add_f32_e64 v5, |v4|, s74
; %bb.7585:
	s_or_b64 exec, exec, vcc
                                        ; implicit-def: $vgpr26
.LBB14_7586:
	s_andn2_saveexec_b64 s[80:81], s[80:81]
; %bb.7587:
	s_mov_b32 vcc_lo, 0x7f800000
	v_mov_b32_e32 v5, 0x7c
	v_mov_b32_e32 v27, 0x7f
	v_cmp_lt_u32_e32 vcc, vcc_lo, v26
	v_cndmask_b32_e32 v5, v5, v27, vcc
; %bb.7588:
	s_or_b64 exec, exec, s[80:81]
	v_lshrrev_b32_e32 v4, 24, v4
	s_movk_i32 vcc_lo, 0x80
	v_and_or_b32 v4, v4, vcc_lo, v5
	flat_store_byte v[2:3], v4
.LBB14_7589:
	s_or_b64 exec, exec, s[84:85]
	s_or_b64 s[96:97], s[4:5], exec
                                        ; implicit-def: $vgpr4
                                        ; implicit-def: $vgpr2_vgpr3
.LBB14_7590:
	s_or_saveexec_b64 s[94:95], s[94:95]
	s_mov_b64 vcc, s[82:83]
	s_xor_b64 exec, exec, s[94:95]
	s_cbranch_execz .LBB14_7600
; %bb.7591:
	v_mov_b32_e32 v5, 14
	v_cmp_gt_i16_sdwa vcc, v11, v5 src0_sel:BYTE_0 src1_sel:DWORD
	s_mov_b64 s[84:85], s[96:97]
	s_mov_b64 s[90:91], s[82:83]
	s_and_saveexec_b64 s[74:75], vcc
	s_xor_b64 s[80:81], exec, s[74:75]
	s_cbranch_execz .LBB14_7595
; %bb.7592:
	v_mov_b32_e32 v5, 15
	v_cmp_eq_u16_sdwa s[74:75], v11, v5 src0_sel:BYTE_0 src1_sel:DWORD
	s_mov_b64 s[78:79], -1
	s_mov_b64 vcc, s[96:97]
	s_and_saveexec_b64 s[84:85], s[74:75]
	s_cbranch_execz .LBB14_7594
; %bb.7593:
	v_bfe_u32 v5, v4, 16, 1
	s_movk_i32 vcc_lo, 0x7fff
	v_add3_u32 v5, v4, v5, vcc_lo
	v_lshrrev_b32_e32 v5, 16, v5
	v_mov_b32_e32 v26, 0x7fc0
	v_cmp_o_f32_e32 vcc, v4, v4
	v_cndmask_b32_e32 v4, v26, v5, vcc
	flat_store_short v[2:3], v4
	s_xor_b64 s[78:79], exec, -1
	s_or_b64 vcc, s[96:97], exec
.LBB14_7594:
	s_or_b64 exec, exec, s[84:85]
	s_andn2_b64 s[74:75], s[82:83], exec
	s_and_b64 s[76:77], s[78:79], exec
	s_or_b64 s[90:91], s[74:75], s[76:77]
	s_andn2_b64 s[74:75], s[96:97], exec
	s_and_b64 vcc, vcc, exec
	s_or_b64 s[84:85], s[74:75], vcc
                                        ; implicit-def: $vgpr4
                                        ; implicit-def: $vgpr2_vgpr3
.LBB14_7595:
	s_andn2_saveexec_b64 s[80:81], s[80:81]
	s_cbranch_execz .LBB14_7599
; %bb.7596:
	v_mov_b32_e32 v5, 11
	v_cmp_eq_u16_sdwa s[74:75], v11, v5 src0_sel:BYTE_0 src1_sel:DWORD
	s_mov_b64 s[78:79], -1
	s_mov_b64 vcc, s[84:85]
	s_and_saveexec_b64 s[76:77], s[74:75]
	s_cbranch_execz .LBB14_7598
; %bb.7597:
	v_cmp_neq_f32_e32 vcc, 0, v4
	v_cndmask_b32_e64 v4, 0, 1, vcc
	flat_store_byte v[2:3], v4
	s_xor_b64 s[78:79], exec, -1
	s_or_b64 vcc, s[84:85], exec
.LBB14_7598:
	s_or_b64 exec, exec, s[76:77]
	s_andn2_b64 s[74:75], s[90:91], exec
	s_and_b64 s[76:77], s[78:79], exec
	s_or_b64 s[90:91], s[74:75], s[76:77]
	s_andn2_b64 s[74:75], s[84:85], exec
	s_and_b64 vcc, vcc, exec
	s_or_b64 s[84:85], s[74:75], vcc
.LBB14_7599:
	s_or_b64 exec, exec, s[80:81]
	s_andn2_b64 vcc, s[82:83], exec
	s_and_b64 s[74:75], s[90:91], exec
	s_or_b64 vcc, vcc, s[74:75]
	s_andn2_b64 s[74:75], s[96:97], exec
	s_and_b64 s[76:77], s[84:85], exec
	s_or_b64 s[96:97], s[74:75], s[76:77]
.LBB14_7600:
	s_or_b64 exec, exec, s[94:95]
	s_andn2_b64 s[74:75], s[82:83], exec
	s_and_b64 vcc, vcc, exec
	s_or_b64 s[82:83], s[74:75], vcc
	s_andn2_b64 s[4:5], s[4:5], exec
	s_and_b64 vcc, s[96:97], exec
	s_or_b64 s[4:5], s[4:5], vcc
.LBB14_7601:
	s_or_b64 exec, exec, s[92:93]
	v_readlane_b32 vcc_lo, v43, 18
	v_readlane_b32 vcc_hi, v43, 19
	s_andn2_b64 vcc, vcc, exec
	s_and_b64 s[74:75], s[82:83], exec
	s_or_b64 s[90:91], vcc, s[74:75]
	s_and_b64 s[4:5], s[4:5], exec
                                        ; implicit-def: $vgpr4
                                        ; implicit-def: $vgpr2_vgpr3
	s_andn2_saveexec_b64 s[86:87], s[86:87]
	s_cbranch_execz .LBB14_3943
.LBB14_7602:
	v_mov_b32_e32 v5, 4
	v_cmp_gt_i16_sdwa vcc, v11, v5 src0_sel:BYTE_0 src1_sel:DWORD
	s_and_saveexec_b64 s[74:75], vcc
	s_xor_b64 vcc, exec, s[74:75]
	s_cbranch_execz .LBB14_7624
; %bb.7603:
	v_mov_b32_e32 v5, 7
	v_cmp_gt_i16_sdwa s[74:75], v11, v5 src0_sel:BYTE_0 src1_sel:DWORD
	s_and_saveexec_b64 s[76:77], s[74:75]
	s_xor_b64 s[84:85], exec, s[76:77]
	s_cbranch_execz .LBB14_7613
; %bb.7604:
	v_mov_b32_e32 v5, 8
	v_cmp_gt_i16_sdwa s[74:75], v11, v5 src0_sel:BYTE_0 src1_sel:DWORD
	s_and_saveexec_b64 s[76:77], s[74:75]
	s_xor_b64 s[82:83], exec, s[76:77]
	;; [unrolled: 6-line block ×3, first 2 shown]
	s_cbranch_execz .LBB14_7607
; %bb.7606:
	v_mov_b32_e32 v28, 0
	v_cvt_f64_f32_e32 v[26:27], v4
	v_mov_b32_e32 v29, v28
	flat_store_dwordx4 v[2:3], v[26:29]
                                        ; implicit-def: $vgpr4
                                        ; implicit-def: $vgpr2_vgpr3
.LBB14_7607:
	s_andn2_saveexec_b64 s[76:77], s[78:79]
	s_cbranch_execz .LBB14_7609
; %bb.7608:
	v_mov_b32_e32 v5, 0
	flat_store_dwordx2 v[2:3], v[4:5]
.LBB14_7609:
	s_or_b64 exec, exec, s[76:77]
                                        ; implicit-def: $vgpr4
                                        ; implicit-def: $vgpr2_vgpr3
.LBB14_7610:
	s_andn2_saveexec_b64 s[76:77], s[82:83]
	s_cbranch_execz .LBB14_7612
; %bb.7611:
	v_cvt_f16_f32_e32 v4, v4
	flat_store_dword v[2:3], v4
.LBB14_7612:
	s_or_b64 exec, exec, s[76:77]
                                        ; implicit-def: $vgpr4
                                        ; implicit-def: $vgpr2_vgpr3
.LBB14_7613:
	s_andn2_saveexec_b64 s[82:83], s[84:85]
	s_cbranch_execz .LBB14_7623
; %bb.7614:
	v_mov_b32_e32 v5, 5
	v_cmp_gt_i16_sdwa s[74:75], v11, v5 src0_sel:BYTE_0 src1_sel:DWORD
	s_and_saveexec_b64 s[76:77], s[74:75]
	s_xor_b64 s[80:81], exec, s[76:77]
	s_cbranch_execz .LBB14_7620
; %bb.7615:
	v_mov_b32_e32 v5, 6
	v_cmp_gt_i16_sdwa s[74:75], v11, v5 src0_sel:BYTE_0 src1_sel:DWORD
	s_and_saveexec_b64 s[76:77], s[74:75]
	s_xor_b64 s[76:77], exec, s[76:77]
	s_cbranch_execz .LBB14_7617
; %bb.7616:
	v_cvt_f64_f32_e32 v[4:5], v4
	flat_store_dwordx2 v[2:3], v[4:5]
                                        ; implicit-def: $vgpr2_vgpr3
                                        ; implicit-def: $vgpr4
.LBB14_7617:
	s_andn2_saveexec_b64 s[76:77], s[76:77]
	s_cbranch_execz .LBB14_7619
; %bb.7618:
	flat_store_dword v[2:3], v4
.LBB14_7619:
	s_or_b64 exec, exec, s[76:77]
                                        ; implicit-def: $vgpr4
                                        ; implicit-def: $vgpr2_vgpr3
.LBB14_7620:
	s_andn2_saveexec_b64 s[76:77], s[80:81]
	s_cbranch_execz .LBB14_7622
; %bb.7621:
	v_cvt_f16_f32_e32 v4, v4
	flat_store_short v[2:3], v4
.LBB14_7622:
	s_or_b64 exec, exec, s[76:77]
.LBB14_7623:
	s_or_b64 exec, exec, s[82:83]
                                        ; implicit-def: $vgpr4
                                        ; implicit-def: $vgpr2_vgpr3
.LBB14_7624:
	s_andn2_saveexec_b64 s[92:93], vcc
	s_cbranch_execz .LBB14_7642
; %bb.7625:
	v_mov_b32_e32 v5, 1
	v_cmp_gt_i16_sdwa vcc, v11, v5 src0_sel:BYTE_0 src1_sel:DWORD
	s_and_saveexec_b64 s[74:75], vcc
	s_xor_b64 s[84:85], exec, s[74:75]
	s_cbranch_execz .LBB14_7635
; %bb.7626:
	v_mov_b32_e32 v5, 2
	v_cmp_gt_i16_sdwa vcc, v11, v5 src0_sel:BYTE_0 src1_sel:DWORD
	s_and_saveexec_b64 s[74:75], vcc
	s_xor_b64 s[82:83], exec, s[74:75]
	;; [unrolled: 6-line block ×3, first 2 shown]
	s_cbranch_execz .LBB14_7629
; %bb.7628:
	v_trunc_f32_e32 v4, v4
	s_mov_b32 s74, 0x2f800000
	v_mul_f32_e64 v5, |v4|, s74
	v_floor_f32_e32 v5, v5
	s_mov_b32 s74, 0xcf800000
	v_cvt_u32_f32_e32 v26, v5
	v_fma_f32 v5, v5, s74, |v4|
	v_cvt_u32_f32_e32 v5, v5
	v_ashrrev_i32_e32 v27, 31, v4
	v_xor_b32_e32 v26, v26, v27
	v_xor_b32_e32 v4, v5, v27
	v_sub_co_u32_e32 v4, vcc, v4, v27
	v_subb_co_u32_e32 v5, vcc, v26, v27, vcc
	flat_store_dwordx2 v[2:3], v[4:5]
                                        ; implicit-def: $vgpr4
                                        ; implicit-def: $vgpr2_vgpr3
.LBB14_7629:
	s_andn2_saveexec_b64 vcc, s[80:81]
	s_cbranch_execz .LBB14_7631
; %bb.7630:
	v_cvt_i32_f32_e32 v4, v4
	flat_store_dword v[2:3], v4
.LBB14_7631:
	s_or_b64 exec, exec, vcc
                                        ; implicit-def: $vgpr4
                                        ; implicit-def: $vgpr2_vgpr3
.LBB14_7632:
	s_andn2_saveexec_b64 vcc, s[82:83]
	s_cbranch_execz .LBB14_7634
; %bb.7633:
	v_cvt_i32_f32_e32 v4, v4
	flat_store_short v[2:3], v4
.LBB14_7634:
	s_or_b64 exec, exec, vcc
                                        ; implicit-def: $vgpr4
                                        ; implicit-def: $vgpr2_vgpr3
.LBB14_7635:
	s_andn2_saveexec_b64 vcc, s[84:85]
	s_cbranch_execz .LBB14_7641
; %bb.7636:
	v_mov_b32_e32 v5, 0
	v_cmp_gt_i16_sdwa s[74:75], v11, v5 src0_sel:BYTE_0 src1_sel:DWORD
	s_and_saveexec_b64 s[76:77], s[74:75]
	s_xor_b64 s[76:77], exec, s[76:77]
	s_cbranch_execz .LBB14_7638
; %bb.7637:
	v_cvt_i32_f32_e32 v4, v4
	flat_store_byte v[2:3], v4
                                        ; implicit-def: $vgpr4
                                        ; implicit-def: $vgpr2_vgpr3
.LBB14_7638:
	s_andn2_saveexec_b64 s[80:81], s[76:77]
	s_cbranch_execz .LBB14_7640
; %bb.7639:
	v_trunc_f32_e32 v4, v4
	s_mov_b32 s74, 0x2f800000
	v_mul_f32_e64 v5, |v4|, s74
	v_floor_f32_e32 v5, v5
	s_mov_b32 s74, 0xcf800000
	v_fma_f32 v5, v5, s74, |v4|
	v_cvt_u32_f32_e32 v5, v5
	v_ashrrev_i32_e32 v4, 31, v4
	v_xor_b32_e32 v5, v5, v4
	v_sub_u32_e32 v4, v5, v4
	flat_store_byte v[2:3], v4
.LBB14_7640:
	s_or_b64 exec, exec, s[80:81]
.LBB14_7641:
	s_or_b64 exec, exec, vcc
.LBB14_7642:
	s_or_b64 exec, exec, s[92:93]
	s_or_b64 s[4:5], s[4:5], exec
	s_or_b64 exec, exec, s[86:87]
	s_mov_b64 vcc, 0
	s_and_saveexec_b64 s[76:77], s[4:5]
	s_cbranch_execnz .LBB14_3944
	s_branch .LBB14_3945
.LBB14_7643:
	v_bfe_u32 v5, v4, 21, 1
	s_mov_b32 s80, 0x88fffff
	v_add3_u32 v5, v4, v5, s80
	s_mov_b64 s[78:79], exec
	v_lshrrev_b32_e32 v5, 21, v5
	s_or_saveexec_b64 s[80:81], vcc
                                        ; implicit-def: $sgpr82
	s_xor_b64 exec, exec, s[80:81]
	s_cbranch_execz .LBB14_6808
.LBB14_7644:
	s_mov_b32 s82, 0x42800000
	v_add_f32_e64 v5, |v4|, s82
	v_and_b32_e32 v5, 0xff, v5
	v_cmp_ne_u32_e32 vcc, 0, v5
	s_andn2_b64 s[78:79], s[78:79], exec
	s_and_b64 vcc, vcc, exec
	s_mov_b32 s82, 0
	s_or_b64 s[78:79], s[78:79], vcc
	s_or_b64 exec, exec, s[80:81]
	v_mov_b32_e32 v38, s82
	s_and_saveexec_b64 vcc, s[78:79]
	s_cbranch_execnz .LBB14_6809
	s_branch .LBB14_6810
.LBB14_7645:
	v_bfe_u32 v5, v4, 20, 1
	s_mov_b32 s82, 0x487ffff
	v_add3_u32 v5, v4, v5, s82
	s_mov_b64 s[80:81], exec
	v_lshrrev_b32_e32 v5, 20, v5
	s_or_saveexec_b64 s[82:83], vcc
                                        ; implicit-def: $sgpr84
	s_xor_b64 exec, exec, s[82:83]
	s_cbranch_execz .LBB14_6921
.LBB14_7646:
	s_mov_b32 s84, 0x46000000
	v_add_f32_e64 v5, |v4|, s84
	v_and_b32_e32 v5, 0xff, v5
	v_cmp_ne_u32_e32 vcc, 0, v5
	s_andn2_b64 s[80:81], s[80:81], exec
	s_and_b64 vcc, vcc, exec
	s_mov_b32 s84, 0
	s_or_b64 s[80:81], s[80:81], vcc
	s_or_b64 exec, exec, s[82:83]
	v_mov_b32_e32 v36, s84
	s_and_saveexec_b64 vcc, s[80:81]
	s_cbranch_execnz .LBB14_6922
	s_branch .LBB14_6923
.LBB14_7647:
	v_mov_b32_e32 v5, 25
	v_readlane_b32 s94, v43, 22
	v_cmp_gt_i16_sdwa s[4:5], v11, v5 src0_sel:BYTE_0 src1_sel:DWORD
	s_mov_b64 s[88:89], 0
	v_readlane_b32 s95, v43, 23
	s_and_saveexec_b64 vcc, s[4:5]
	s_xor_b64 s[96:97], exec, vcc
	s_cbranch_execz .LBB14_7683
; %bb.7648:
	v_mov_b32_e32 v5, 28
	v_readlane_b32 s94, v43, 22
	v_cmp_gt_i16_sdwa vcc, v11, v5 src0_sel:BYTE_0 src1_sel:DWORD
	s_mov_b64 s[4:5], 0
	v_readlane_b32 s95, v43, 23
	s_and_saveexec_b64 s[74:75], vcc
	s_xor_b64 s[88:89], exec, s[74:75]
	s_cbranch_execz .LBB14_7666
; %bb.7649:
	v_mov_b32_e32 v5, 43
	v_readlane_b32 vcc_lo, v43, 22
	v_cmp_gt_i16_sdwa s[74:75], v11, v5 src0_sel:BYTE_0 src1_sel:DWORD
	v_readlane_b32 vcc_hi, v43, 23
	s_and_saveexec_b64 s[76:77], s[74:75]
	s_xor_b64 s[76:77], exec, s[76:77]
	s_cbranch_execz .LBB14_7661
; %bb.7650:
	v_mov_b32_e32 v5, 45
	v_readlane_b32 s84, v43, 22
	v_cmp_gt_i16_sdwa s[4:5], v11, v5 src0_sel:BYTE_0 src1_sel:DWORD
	s_mov_b64 s[86:87], 0
	v_readlane_b32 s85, v43, 23
	s_and_saveexec_b64 vcc, s[4:5]
	s_xor_b64 s[4:5], exec, vcc
	s_cbranch_execz .LBB14_7654
; %bb.7651:
	v_mov_b32_e32 v5, 46
	v_cmp_eq_u16_sdwa s[74:75], v11, v5 src0_sel:BYTE_0 src1_sel:DWORD
	s_mov_b64 vcc, -1
	s_and_saveexec_b64 s[82:83], s[74:75]
	s_cbranch_execz .LBB14_7653
; %bb.7652:
	v_bfe_u32 v5, v4, 16, 1
	s_movk_i32 vcc_lo, 0x7fff
	v_add3_u32 v5, v4, v5, vcc_lo
	v_lshrrev_b32_e32 v5, 16, v5
	v_mov_b32_e32 v24, 0x7fc0
	v_cmp_o_f32_e32 vcc, v4, v4
	v_cndmask_b32_e32 v4, v24, v5, vcc
	s_mov_b64 s[80:81], exec
	flat_store_dword v[2:3], v4
	s_xor_b64 vcc, exec, -1
.LBB14_7653:
	s_or_b64 exec, exec, s[82:83]
	v_readlane_b32 s74, v43, 22
	v_readlane_b32 s75, v43, 23
	s_andn2_b64 s[74:75], s[74:75], exec
	s_and_b64 vcc, vcc, exec
	s_or_b64 s[84:85], s[74:75], vcc
	s_and_b64 s[86:87], s[80:81], exec
                                        ; implicit-def: $vgpr2_vgpr3
                                        ; implicit-def: $vgpr4
.LBB14_7654:
	s_andn2_saveexec_b64 s[94:95], s[4:5]
	s_cbranch_execz .LBB14_7660
; %bb.7655:
	v_mov_b32_e32 v5, 44
	v_cmp_eq_u16_sdwa s[74:75], v11, v5 src0_sel:BYTE_0 src1_sel:DWORD
	s_mov_b64 vcc, -1
	s_mov_b64 s[4:5], s[86:87]
	s_and_saveexec_b64 s[80:81], s[74:75]
	s_cbranch_execz .LBB14_7659
; %bb.7656:
	v_bfe_u32 v5, v4, 23, 8
	s_movk_i32 s4, 0xff
	v_cmp_ne_u32_e32 vcc, s4, v5
	v_mov_b32_e32 v24, 0xff
	s_and_saveexec_b64 s[82:83], vcc
; %bb.7657:
	s_mov_b32 s4, 0x3fffff
	v_lshrrev_b32_e32 v24, 23, v4
	v_and_b32_e32 v25, 0x400000, v4
	v_and_or_b32 v4, v4, s4, v5
	v_cmp_ne_u32_e32 vcc, 0, v25
	v_cmp_ne_u32_e64 s[4:5], 0, v4
	s_and_b64 s[4:5], vcc, s[4:5]
	v_cndmask_b32_e64 v4, 0, 1, s[4:5]
	v_add_u32_e32 v24, v24, v4
; %bb.7658:
	s_or_b64 exec, exec, s[82:83]
	s_xor_b64 vcc, exec, -1
	s_or_b64 s[4:5], s[86:87], exec
	flat_store_byte v[2:3], v24
.LBB14_7659:
	s_or_b64 exec, exec, s[80:81]
	s_andn2_b64 s[74:75], s[84:85], exec
	s_and_b64 vcc, vcc, exec
	s_or_b64 s[84:85], s[74:75], vcc
	s_andn2_b64 vcc, s[86:87], exec
	s_and_b64 s[4:5], s[4:5], exec
	s_or_b64 s[86:87], vcc, s[4:5]
.LBB14_7660:
	s_or_b64 exec, exec, s[94:95]
	v_readlane_b32 s4, v43, 22
	v_readlane_b32 s5, v43, 23
	s_andn2_b64 s[4:5], s[4:5], exec
	s_and_b64 vcc, s[84:85], exec
	s_or_b64 vcc, s[4:5], vcc
	s_and_b64 s[4:5], s[86:87], exec
                                        ; implicit-def: $vgpr4
                                        ; implicit-def: $vgpr2_vgpr3
.LBB14_7661:
	s_andn2_saveexec_b64 s[82:83], s[76:77]
	s_cbranch_execz .LBB14_7665
; %bb.7662:
	v_mov_b32_e32 v5, 29
	v_cmp_eq_u16_sdwa s[74:75], v11, v5 src0_sel:BYTE_0 src1_sel:DWORD
	s_mov_b64 s[86:87], -1
	s_mov_b64 s[84:85], s[4:5]
	s_and_saveexec_b64 s[80:81], s[74:75]
	s_cbranch_execz .LBB14_7664
; %bb.7663:
	v_trunc_f32_e32 v4, v4
	v_mul_f32_e32 v5, 0x2f800000, v4
	v_floor_f32_e32 v24, v5
	v_fmac_f32_e32 v4, 0xcf800000, v24
	v_cvt_u32_f32_e32 v5, v24
	v_cvt_u32_f32_e32 v4, v4
	s_xor_b64 s[86:87], exec, -1
	s_or_b64 s[84:85], s[4:5], exec
	flat_store_dwordx2 v[2:3], v[4:5]
.LBB14_7664:
	s_or_b64 exec, exec, s[80:81]
	s_andn2_b64 vcc, vcc, exec
	s_and_b64 s[74:75], s[86:87], exec
	s_or_b64 vcc, vcc, s[74:75]
	s_andn2_b64 s[4:5], s[4:5], exec
	s_and_b64 s[74:75], s[84:85], exec
	s_or_b64 s[4:5], s[4:5], s[74:75]
.LBB14_7665:
	s_or_b64 exec, exec, s[82:83]
	v_readlane_b32 s74, v43, 22
	v_readlane_b32 s75, v43, 23
	s_andn2_b64 s[74:75], s[74:75], exec
	s_and_b64 vcc, vcc, exec
	s_or_b64 s[94:95], s[74:75], vcc
	s_and_b64 s[4:5], s[4:5], exec
                                        ; implicit-def: $vgpr2_vgpr3
                                        ; implicit-def: $vgpr4
.LBB14_7666:
	s_andn2_saveexec_b64 s[88:89], s[88:89]
	s_cbranch_execz .LBB14_7682
; %bb.7667:
	v_mov_b32_e32 v5, 26
	v_cmp_gt_i16_sdwa vcc, v11, v5 src0_sel:BYTE_0 src1_sel:DWORD
	s_and_saveexec_b64 s[74:75], vcc
	s_xor_b64 vcc, exec, s[74:75]
	s_cbranch_execz .LBB14_7673
; %bb.7668:
	v_cvt_u32_f32_e32 v4, v4
	v_mov_b32_e32 v5, 27
	v_cmp_gt_i16_sdwa s[74:75], v11, v5 src0_sel:BYTE_0 src1_sel:DWORD
	s_and_saveexec_b64 s[76:77], s[74:75]
	s_xor_b64 s[76:77], exec, s[76:77]
	s_cbranch_execz .LBB14_7670
; %bb.7669:
	flat_store_dword v[2:3], v4
                                        ; implicit-def: $vgpr2_vgpr3
                                        ; implicit-def: $vgpr4
.LBB14_7670:
	s_andn2_saveexec_b64 s[76:77], s[76:77]
	s_cbranch_execz .LBB14_7672
; %bb.7671:
	flat_store_short v[2:3], v4
.LBB14_7672:
	s_or_b64 exec, exec, s[76:77]
                                        ; implicit-def: $vgpr2_vgpr3
                                        ; implicit-def: $vgpr4
.LBB14_7673:
	s_andn2_saveexec_b64 s[86:87], vcc
	s_cbranch_execz .LBB14_7681
; %bb.7674:
	v_and_b32_e32 v5, 0x7fffffff, v4
	s_mov_b32 vcc_lo, 0x43800000
	v_cmp_gt_u32_e32 vcc, vcc_lo, v5
	v_mov_b32_e32 v24, 0x80
	s_and_saveexec_b64 s[84:85], vcc
	s_cbranch_execz .LBB14_7680
; %bb.7675:
	s_mov_b32 vcc_lo, 0x3bffffff
	v_cmp_lt_u32_e32 vcc, vcc_lo, v5
	s_mov_b64 s[82:83], 0
                                        ; implicit-def: $vgpr5
	s_and_saveexec_b64 s[74:75], vcc
	s_xor_b64 vcc, exec, s[74:75]
	s_cbranch_execnz .LBB14_7791
; %bb.7676:
	s_or_saveexec_b64 s[80:81], vcc
                                        ; implicit-def: $sgpr76
	s_xor_b64 exec, exec, s[80:81]
	s_cbranch_execnz .LBB14_7792
.LBB14_7677:
	s_or_b64 exec, exec, s[80:81]
	v_mov_b32_e32 v24, s76
	s_and_saveexec_b64 vcc, s[82:83]
.LBB14_7678:
	v_lshrrev_b32_e32 v4, 24, v4
	s_movk_i32 s74, 0x80
	v_and_or_b32 v24, v4, s74, v5
.LBB14_7679:
	s_or_b64 exec, exec, vcc
.LBB14_7680:
	s_or_b64 exec, exec, s[84:85]
	flat_store_byte v[2:3], v24
.LBB14_7681:
	s_or_b64 exec, exec, s[86:87]
	s_or_b64 s[4:5], s[4:5], exec
.LBB14_7682:
	s_or_b64 exec, exec, s[88:89]
	v_readlane_b32 vcc_lo, v43, 22
	v_readlane_b32 vcc_hi, v43, 23
	s_andn2_b64 vcc, vcc, exec
	s_and_b64 s[74:75], s[94:95], exec
	s_or_b64 s[94:95], vcc, s[74:75]
	s_and_b64 s[88:89], s[4:5], exec
                                        ; implicit-def: $vgpr4
                                        ; implicit-def: $vgpr2_vgpr3
.LBB14_7683:
	s_andn2_saveexec_b64 s[96:97], s[96:97]
	s_cbranch_execz .LBB14_7727
; %bb.7684:
	v_mov_b32_e32 v5, 22
	v_cmp_gt_i16_sdwa vcc, v11, v5 src0_sel:BYTE_0 src1_sel:DWORD
	s_mov_b64 s[4:5], s[88:89]
	s_and_saveexec_b64 s[74:75], vcc
	s_xor_b64 s[86:87], exec, s[74:75]
	s_cbranch_execz .LBB14_7716
; %bb.7685:
	v_mov_b32_e32 v5, 23
	v_cmp_gt_i16_sdwa s[4:5], v11, v5 src0_sel:BYTE_0 src1_sel:DWORD
	s_and_saveexec_b64 vcc, s[4:5]
	s_xor_b64 vcc, exec, vcc
	v_writelane_b32 v43, vcc_lo, 28
	v_writelane_b32 v43, vcc_hi, 29
	s_cbranch_execz .LBB14_7705
; %bb.7686:
	v_mov_b32_e32 v5, 24
	v_cmp_gt_i16_sdwa s[4:5], v11, v5 src0_sel:BYTE_0 src1_sel:DWORD
	s_and_saveexec_b64 vcc, s[4:5]
	s_xor_b64 s[4:5], exec, vcc
	s_cbranch_execz .LBB14_7694
; %bb.7687:
	v_and_b32_e32 v5, 0x7fffffff, v4
	s_mov_b32 vcc_lo, 0x47800000
	v_cmp_gt_u32_e32 vcc, vcc_lo, v5
	v_mov_b32_e32 v24, 0x80
	s_and_saveexec_b64 s[84:85], vcc
	s_cbranch_execz .LBB14_7693
; %bb.7688:
	s_mov_b32 vcc_lo, 0x37ffffff
	v_cmp_lt_u32_e32 vcc, vcc_lo, v5
	s_mov_b64 s[82:83], 0
                                        ; implicit-def: $vgpr5
	s_and_saveexec_b64 s[74:75], vcc
	s_xor_b64 vcc, exec, s[74:75]
	s_cbranch_execnz .LBB14_7917
; %bb.7689:
	s_or_saveexec_b64 s[80:81], vcc
                                        ; implicit-def: $sgpr76
	s_xor_b64 exec, exec, s[80:81]
	s_cbranch_execnz .LBB14_7918
.LBB14_7690:
	s_or_b64 exec, exec, s[80:81]
	v_mov_b32_e32 v24, s76
	s_and_saveexec_b64 vcc, s[82:83]
.LBB14_7691:
	v_lshrrev_b32_e32 v4, 24, v4
	s_movk_i32 s74, 0x80
	v_and_or_b32 v24, v4, s74, v5
.LBB14_7692:
	s_or_b64 exec, exec, vcc
.LBB14_7693:
	s_or_b64 exec, exec, s[84:85]
	flat_store_byte v[2:3], v24
                                        ; implicit-def: $vgpr4
                                        ; implicit-def: $vgpr2_vgpr3
.LBB14_7694:
	s_andn2_saveexec_b64 s[4:5], s[4:5]
	s_cbranch_execz .LBB14_7704
; %bb.7695:
	v_and_b32_e32 v24, 0x7fffffff, v4
	s_mov_b32 vcc_lo, 0x43f00000
	v_cmp_gt_u32_e32 vcc, vcc_lo, v24
                                        ; implicit-def: $vgpr5
	s_and_saveexec_b64 s[74:75], vcc
	s_xor_b64 s[80:81], exec, s[74:75]
	s_cbranch_execz .LBB14_7701
; %bb.7696:
	s_mov_b32 vcc_lo, 0x3c7fffff
	v_cmp_lt_u32_e32 vcc, vcc_lo, v24
                                        ; implicit-def: $vgpr5
	s_and_saveexec_b64 s[74:75], vcc
	s_xor_b64 s[78:79], exec, s[74:75]
; %bb.7697:
	v_bfe_u32 v5, v4, 20, 1
	s_mov_b32 vcc_lo, 0x407ffff
	v_add3_u32 v5, v4, v5, vcc_lo
	v_lshrrev_b32_e32 v24, 20, v5
	v_and_b32_e32 v5, 0xff00000, v5
	s_mov_b32 vcc_lo, 0x7f00000
	v_mov_b32_e32 v25, 0x7e
	v_cmp_ne_u32_e32 vcc, vcc_lo, v5
	v_cndmask_b32_e32 v5, v25, v24, vcc
; %bb.7698:
	s_andn2_saveexec_b64 vcc, s[78:79]
; %bb.7699:
	s_mov_b32 s74, 0x46800000
	v_add_f32_e64 v5, |v4|, s74
; %bb.7700:
	s_or_b64 exec, exec, vcc
                                        ; implicit-def: $vgpr24
.LBB14_7701:
	s_andn2_saveexec_b64 s[80:81], s[80:81]
; %bb.7702:
	s_mov_b32 vcc_lo, 0x7f800000
	v_mov_b32_e32 v5, 0x7e
	v_mov_b32_e32 v25, 0x7f
	v_cmp_lt_u32_e32 vcc, vcc_lo, v24
	v_cndmask_b32_e32 v5, v5, v25, vcc
; %bb.7703:
	s_or_b64 exec, exec, s[80:81]
	v_lshrrev_b32_e32 v4, 24, v4
	s_movk_i32 vcc_lo, 0x80
	v_and_or_b32 v4, v4, vcc_lo, v5
	flat_store_byte v[2:3], v4
.LBB14_7704:
	s_or_b64 exec, exec, s[4:5]
                                        ; implicit-def: $vgpr4
                                        ; implicit-def: $vgpr2_vgpr3
.LBB14_7705:
	v_readlane_b32 s4, v43, 28
	v_readlane_b32 s5, v43, 29
	s_andn2_saveexec_b64 s[4:5], s[4:5]
	s_cbranch_execz .LBB14_7715
; %bb.7706:
	v_and_b32_e32 v24, 0x7fffffff, v4
	s_mov_b32 vcc_lo, 0x47800000
	v_cmp_gt_u32_e32 vcc, vcc_lo, v24
                                        ; implicit-def: $vgpr5
	s_and_saveexec_b64 s[74:75], vcc
	s_xor_b64 s[80:81], exec, s[74:75]
	s_cbranch_execz .LBB14_7712
; %bb.7707:
	s_mov_b32 vcc_lo, 0x387fffff
	v_cmp_lt_u32_e32 vcc, vcc_lo, v24
                                        ; implicit-def: $vgpr5
	s_and_saveexec_b64 s[74:75], vcc
	s_xor_b64 vcc, exec, s[74:75]
; %bb.7708:
	v_bfe_u32 v5, v4, 21, 1
	s_mov_b32 s74, 0x80fffff
	v_add3_u32 v5, v4, v5, s74
	v_lshrrev_b32_e32 v5, 21, v5
; %bb.7709:
	s_andn2_saveexec_b64 vcc, vcc
; %bb.7710:
	s_mov_b32 s74, 0x43000000
	v_add_f32_e64 v5, |v4|, s74
; %bb.7711:
	s_or_b64 exec, exec, vcc
                                        ; implicit-def: $vgpr24
.LBB14_7712:
	s_andn2_saveexec_b64 s[80:81], s[80:81]
; %bb.7713:
	s_mov_b32 vcc_lo, 0x7f800000
	v_mov_b32_e32 v5, 0x7c
	v_mov_b32_e32 v25, 0x7f
	v_cmp_lt_u32_e32 vcc, vcc_lo, v24
	v_cndmask_b32_e32 v5, v5, v25, vcc
; %bb.7714:
	s_or_b64 exec, exec, s[80:81]
	v_lshrrev_b32_e32 v4, 24, v4
	s_movk_i32 vcc_lo, 0x80
	v_and_or_b32 v4, v4, vcc_lo, v5
	flat_store_byte v[2:3], v4
.LBB14_7715:
	s_or_b64 exec, exec, s[4:5]
	s_or_b64 s[4:5], s[88:89], exec
                                        ; implicit-def: $vgpr4
                                        ; implicit-def: $vgpr2_vgpr3
.LBB14_7716:
	s_or_saveexec_b64 s[86:87], s[86:87]
	s_mov_b64 vcc, s[94:95]
	s_xor_b64 exec, exec, s[86:87]
	s_cbranch_execz .LBB14_7726
; %bb.7717:
	v_mov_b32_e32 v5, 14
	v_cmp_gt_i16_sdwa vcc, v11, v5 src0_sel:BYTE_0 src1_sel:DWORD
	s_mov_b64 s[84:85], s[4:5]
	s_mov_b64 s[82:83], s[94:95]
	s_and_saveexec_b64 s[74:75], vcc
	s_xor_b64 s[80:81], exec, s[74:75]
	s_cbranch_execz .LBB14_7721
; %bb.7718:
	v_mov_b32_e32 v5, 15
	v_cmp_eq_u16_sdwa s[74:75], v11, v5 src0_sel:BYTE_0 src1_sel:DWORD
	s_mov_b64 s[78:79], -1
	s_mov_b64 vcc, s[4:5]
	s_and_saveexec_b64 s[82:83], s[74:75]
	s_cbranch_execz .LBB14_7720
; %bb.7719:
	v_bfe_u32 v5, v4, 16, 1
	s_movk_i32 vcc_lo, 0x7fff
	v_add3_u32 v5, v4, v5, vcc_lo
	v_lshrrev_b32_e32 v5, 16, v5
	v_mov_b32_e32 v24, 0x7fc0
	v_cmp_o_f32_e32 vcc, v4, v4
	v_cndmask_b32_e32 v4, v24, v5, vcc
	flat_store_short v[2:3], v4
	s_xor_b64 s[78:79], exec, -1
	s_or_b64 vcc, s[4:5], exec
.LBB14_7720:
	s_or_b64 exec, exec, s[82:83]
	s_andn2_b64 s[74:75], s[94:95], exec
	s_and_b64 s[76:77], s[78:79], exec
	s_or_b64 s[82:83], s[74:75], s[76:77]
	s_andn2_b64 s[74:75], s[4:5], exec
	s_and_b64 vcc, vcc, exec
	s_or_b64 s[84:85], s[74:75], vcc
                                        ; implicit-def: $vgpr4
                                        ; implicit-def: $vgpr2_vgpr3
.LBB14_7721:
	s_andn2_saveexec_b64 s[80:81], s[80:81]
	s_cbranch_execz .LBB14_7725
; %bb.7722:
	v_mov_b32_e32 v5, 11
	v_cmp_eq_u16_sdwa s[74:75], v11, v5 src0_sel:BYTE_0 src1_sel:DWORD
	s_mov_b64 s[78:79], -1
	s_mov_b64 vcc, s[84:85]
	s_and_saveexec_b64 s[76:77], s[74:75]
	s_cbranch_execz .LBB14_7724
; %bb.7723:
	v_cmp_neq_f32_e32 vcc, 0, v4
	v_cndmask_b32_e64 v4, 0, 1, vcc
	flat_store_byte v[2:3], v4
	s_xor_b64 s[78:79], exec, -1
	s_or_b64 vcc, s[84:85], exec
.LBB14_7724:
	s_or_b64 exec, exec, s[76:77]
	s_andn2_b64 s[74:75], s[82:83], exec
	s_and_b64 s[76:77], s[78:79], exec
	s_or_b64 s[82:83], s[74:75], s[76:77]
	s_andn2_b64 s[74:75], s[84:85], exec
	s_and_b64 vcc, vcc, exec
	s_or_b64 s[84:85], s[74:75], vcc
.LBB14_7725:
	s_or_b64 exec, exec, s[80:81]
	s_andn2_b64 vcc, s[94:95], exec
	s_and_b64 s[74:75], s[82:83], exec
	s_or_b64 vcc, vcc, s[74:75]
	s_andn2_b64 s[4:5], s[4:5], exec
	s_and_b64 s[74:75], s[84:85], exec
	s_or_b64 s[4:5], s[4:5], s[74:75]
.LBB14_7726:
	s_or_b64 exec, exec, s[86:87]
	s_andn2_b64 s[74:75], s[94:95], exec
	s_and_b64 vcc, vcc, exec
	s_or_b64 s[94:95], s[74:75], vcc
	s_andn2_b64 vcc, s[88:89], exec
	s_and_b64 s[4:5], s[4:5], exec
	s_or_b64 s[88:89], vcc, s[4:5]
.LBB14_7727:
	s_or_b64 exec, exec, s[96:97]
	v_readlane_b32 s4, v43, 22
	v_readlane_b32 s5, v43, 23
	s_andn2_b64 s[4:5], s[4:5], exec
	s_and_b64 vcc, s[94:95], exec
	s_or_b64 s[94:95], s[4:5], vcc
	s_and_b64 s[4:5], s[88:89], exec
                                        ; implicit-def: $vgpr4
                                        ; implicit-def: $vgpr2_vgpr3
	s_andn2_saveexec_b64 s[90:91], s[90:91]
	s_cbranch_execz .LBB14_3950
.LBB14_7728:
	v_mov_b32_e32 v5, 4
	v_cmp_gt_i16_sdwa vcc, v11, v5 src0_sel:BYTE_0 src1_sel:DWORD
	s_and_saveexec_b64 s[74:75], vcc
	s_xor_b64 vcc, exec, s[74:75]
	s_cbranch_execz .LBB14_7750
; %bb.7729:
	v_mov_b32_e32 v5, 7
	v_cmp_gt_i16_sdwa s[74:75], v11, v5 src0_sel:BYTE_0 src1_sel:DWORD
	s_and_saveexec_b64 s[76:77], s[74:75]
	s_xor_b64 s[84:85], exec, s[76:77]
	s_cbranch_execz .LBB14_7739
; %bb.7730:
	v_mov_b32_e32 v5, 8
	v_cmp_gt_i16_sdwa s[74:75], v11, v5 src0_sel:BYTE_0 src1_sel:DWORD
	s_and_saveexec_b64 s[76:77], s[74:75]
	s_xor_b64 s[82:83], exec, s[76:77]
	;; [unrolled: 6-line block ×3, first 2 shown]
	s_cbranch_execz .LBB14_7733
; %bb.7732:
	v_mov_b32_e32 v26, 0
	v_cvt_f64_f32_e32 v[24:25], v4
	v_mov_b32_e32 v27, v26
	flat_store_dwordx4 v[2:3], v[24:27]
                                        ; implicit-def: $vgpr4
                                        ; implicit-def: $vgpr2_vgpr3
.LBB14_7733:
	s_andn2_saveexec_b64 s[76:77], s[78:79]
	s_cbranch_execz .LBB14_7735
; %bb.7734:
	v_mov_b32_e32 v5, 0
	flat_store_dwordx2 v[2:3], v[4:5]
.LBB14_7735:
	s_or_b64 exec, exec, s[76:77]
                                        ; implicit-def: $vgpr4
                                        ; implicit-def: $vgpr2_vgpr3
.LBB14_7736:
	s_andn2_saveexec_b64 s[76:77], s[82:83]
	s_cbranch_execz .LBB14_7738
; %bb.7737:
	v_cvt_f16_f32_e32 v4, v4
	flat_store_dword v[2:3], v4
.LBB14_7738:
	s_or_b64 exec, exec, s[76:77]
                                        ; implicit-def: $vgpr4
                                        ; implicit-def: $vgpr2_vgpr3
.LBB14_7739:
	s_andn2_saveexec_b64 s[82:83], s[84:85]
	s_cbranch_execz .LBB14_7749
; %bb.7740:
	v_mov_b32_e32 v5, 5
	v_cmp_gt_i16_sdwa s[74:75], v11, v5 src0_sel:BYTE_0 src1_sel:DWORD
	s_and_saveexec_b64 s[76:77], s[74:75]
	s_xor_b64 s[80:81], exec, s[76:77]
	s_cbranch_execz .LBB14_7746
; %bb.7741:
	v_mov_b32_e32 v5, 6
	v_cmp_gt_i16_sdwa s[74:75], v11, v5 src0_sel:BYTE_0 src1_sel:DWORD
	s_and_saveexec_b64 s[76:77], s[74:75]
	s_xor_b64 s[76:77], exec, s[76:77]
	s_cbranch_execz .LBB14_7743
; %bb.7742:
	v_cvt_f64_f32_e32 v[4:5], v4
	flat_store_dwordx2 v[2:3], v[4:5]
                                        ; implicit-def: $vgpr2_vgpr3
                                        ; implicit-def: $vgpr4
.LBB14_7743:
	s_andn2_saveexec_b64 s[76:77], s[76:77]
	s_cbranch_execz .LBB14_7745
; %bb.7744:
	flat_store_dword v[2:3], v4
.LBB14_7745:
	s_or_b64 exec, exec, s[76:77]
                                        ; implicit-def: $vgpr4
                                        ; implicit-def: $vgpr2_vgpr3
.LBB14_7746:
	s_andn2_saveexec_b64 s[76:77], s[80:81]
	s_cbranch_execz .LBB14_7748
; %bb.7747:
	v_cvt_f16_f32_e32 v4, v4
	flat_store_short v[2:3], v4
.LBB14_7748:
	s_or_b64 exec, exec, s[76:77]
.LBB14_7749:
	s_or_b64 exec, exec, s[82:83]
                                        ; implicit-def: $vgpr4
                                        ; implicit-def: $vgpr2_vgpr3
.LBB14_7750:
	s_andn2_saveexec_b64 s[88:89], vcc
	s_cbranch_execz .LBB14_7768
; %bb.7751:
	v_mov_b32_e32 v5, 1
	v_cmp_gt_i16_sdwa vcc, v11, v5 src0_sel:BYTE_0 src1_sel:DWORD
	s_and_saveexec_b64 s[74:75], vcc
	s_xor_b64 s[84:85], exec, s[74:75]
	s_cbranch_execz .LBB14_7761
; %bb.7752:
	v_mov_b32_e32 v5, 2
	v_cmp_gt_i16_sdwa vcc, v11, v5 src0_sel:BYTE_0 src1_sel:DWORD
	s_and_saveexec_b64 s[74:75], vcc
	s_xor_b64 s[82:83], exec, s[74:75]
	;; [unrolled: 6-line block ×3, first 2 shown]
	s_cbranch_execz .LBB14_7755
; %bb.7754:
	v_trunc_f32_e32 v4, v4
	s_mov_b32 s74, 0x2f800000
	v_mul_f32_e64 v5, |v4|, s74
	v_floor_f32_e32 v5, v5
	s_mov_b32 s74, 0xcf800000
	v_cvt_u32_f32_e32 v24, v5
	v_fma_f32 v5, v5, s74, |v4|
	v_cvt_u32_f32_e32 v5, v5
	v_ashrrev_i32_e32 v25, 31, v4
	v_xor_b32_e32 v24, v24, v25
	v_xor_b32_e32 v4, v5, v25
	v_sub_co_u32_e32 v4, vcc, v4, v25
	v_subb_co_u32_e32 v5, vcc, v24, v25, vcc
	flat_store_dwordx2 v[2:3], v[4:5]
                                        ; implicit-def: $vgpr4
                                        ; implicit-def: $vgpr2_vgpr3
.LBB14_7755:
	s_andn2_saveexec_b64 vcc, s[80:81]
	s_cbranch_execz .LBB14_7757
; %bb.7756:
	v_cvt_i32_f32_e32 v4, v4
	flat_store_dword v[2:3], v4
.LBB14_7757:
	s_or_b64 exec, exec, vcc
                                        ; implicit-def: $vgpr4
                                        ; implicit-def: $vgpr2_vgpr3
.LBB14_7758:
	s_andn2_saveexec_b64 vcc, s[82:83]
	s_cbranch_execz .LBB14_7760
; %bb.7759:
	v_cvt_i32_f32_e32 v4, v4
	flat_store_short v[2:3], v4
.LBB14_7760:
	s_or_b64 exec, exec, vcc
                                        ; implicit-def: $vgpr4
                                        ; implicit-def: $vgpr2_vgpr3
.LBB14_7761:
	s_andn2_saveexec_b64 vcc, s[84:85]
	s_cbranch_execz .LBB14_7767
; %bb.7762:
	v_mov_b32_e32 v5, 0
	v_cmp_gt_i16_sdwa s[74:75], v11, v5 src0_sel:BYTE_0 src1_sel:DWORD
	s_and_saveexec_b64 s[76:77], s[74:75]
	s_xor_b64 s[76:77], exec, s[76:77]
	s_cbranch_execz .LBB14_7764
; %bb.7763:
	v_cvt_i32_f32_e32 v4, v4
	flat_store_byte v[2:3], v4
                                        ; implicit-def: $vgpr4
                                        ; implicit-def: $vgpr2_vgpr3
.LBB14_7764:
	s_andn2_saveexec_b64 s[80:81], s[76:77]
	s_cbranch_execz .LBB14_7766
; %bb.7765:
	v_trunc_f32_e32 v4, v4
	s_mov_b32 s74, 0x2f800000
	v_mul_f32_e64 v5, |v4|, s74
	v_floor_f32_e32 v5, v5
	s_mov_b32 s74, 0xcf800000
	v_fma_f32 v5, v5, s74, |v4|
	v_cvt_u32_f32_e32 v5, v5
	v_ashrrev_i32_e32 v4, 31, v4
	v_xor_b32_e32 v5, v5, v4
	v_sub_u32_e32 v4, v5, v4
	flat_store_byte v[2:3], v4
.LBB14_7766:
	s_or_b64 exec, exec, s[80:81]
.LBB14_7767:
	s_or_b64 exec, exec, vcc
.LBB14_7768:
	s_or_b64 exec, exec, s[88:89]
	s_or_b64 s[4:5], s[4:5], exec
	s_or_b64 exec, exec, s[90:91]
	s_mov_b64 vcc, 0
	s_and_saveexec_b64 s[76:77], s[4:5]
	s_cbranch_execnz .LBB14_3951
	s_branch .LBB14_3952
.LBB14_7769:
	v_bfe_u32 v5, v4, 21, 1
	s_mov_b32 s84, 0x88fffff
	v_add3_u32 v5, v4, v5, s84
	s_mov_b64 s[82:83], exec
	v_lshrrev_b32_e32 v5, 21, v5
	s_or_saveexec_b64 s[84:85], vcc
                                        ; implicit-def: $sgpr86
	s_xor_b64 exec, exec, s[84:85]
	s_cbranch_execz .LBB14_6934
.LBB14_7770:
	s_mov_b32 s86, 0x42800000
	v_add_f32_e64 v5, |v4|, s86
	v_and_b32_e32 v5, 0xff, v5
	v_cmp_ne_u32_e32 vcc, 0, v5
	s_andn2_b64 s[82:83], s[82:83], exec
	s_and_b64 vcc, vcc, exec
	s_mov_b32 s86, 0
	s_or_b64 s[82:83], s[82:83], vcc
	s_or_b64 exec, exec, s[84:85]
	v_mov_b32_e32 v36, s86
	s_and_saveexec_b64 vcc, s[82:83]
	s_cbranch_execnz .LBB14_6935
	s_branch .LBB14_6936
.LBB14_7771:
	v_bfe_u32 v5, v4, 20, 1
	s_mov_b32 s86, 0x487ffff
	v_add3_u32 v5, v4, v5, s86
	s_mov_b64 s[84:85], exec
	v_lshrrev_b32_e32 v5, 20, v5
	s_or_saveexec_b64 s[86:87], vcc
                                        ; implicit-def: $sgpr88
	s_xor_b64 exec, exec, s[86:87]
	s_cbranch_execz .LBB14_7047
.LBB14_7772:
	s_mov_b32 s88, 0x46000000
	v_add_f32_e64 v5, |v4|, s88
	v_and_b32_e32 v5, 0xff, v5
	v_cmp_ne_u32_e32 vcc, 0, v5
	s_andn2_b64 s[84:85], s[84:85], exec
	s_and_b64 vcc, vcc, exec
	s_mov_b32 s88, 0
	s_or_b64 s[84:85], s[84:85], vcc
	s_or_b64 exec, exec, s[86:87]
	v_mov_b32_e32 v34, s88
	s_and_saveexec_b64 vcc, s[84:85]
	s_cbranch_execnz .LBB14_7048
	s_branch .LBB14_7049
.LBB14_7773:
	v_bfe_u32 v5, v4, 21, 1
	s_mov_b32 s88, 0x88fffff
	v_add3_u32 v5, v4, v5, s88
	s_mov_b64 s[86:87], exec
	v_lshrrev_b32_e32 v5, 21, v5
	s_or_saveexec_b64 s[88:89], vcc
                                        ; implicit-def: $sgpr90
	s_xor_b64 exec, exec, s[88:89]
	s_cbranch_execz .LBB14_7060
.LBB14_7774:
	s_mov_b32 s90, 0x42800000
	v_add_f32_e64 v5, |v4|, s90
	v_and_b32_e32 v5, 0xff, v5
	v_cmp_ne_u32_e32 vcc, 0, v5
	s_andn2_b64 s[86:87], s[86:87], exec
	s_and_b64 vcc, vcc, exec
	s_mov_b32 s90, 0
	s_or_b64 s[86:87], s[86:87], vcc
	s_or_b64 exec, exec, s[88:89]
	v_mov_b32_e32 v34, s90
	s_and_saveexec_b64 vcc, s[86:87]
	s_cbranch_execnz .LBB14_7061
	s_branch .LBB14_7062
.LBB14_7775:
	v_bfe_u32 v5, v4, 20, 1
	s_mov_b32 s90, 0x487ffff
	v_add3_u32 v5, v4, v5, s90
	s_mov_b64 s[88:89], exec
	v_lshrrev_b32_e32 v5, 20, v5
	s_or_saveexec_b64 s[90:91], vcc
                                        ; implicit-def: $sgpr92
	s_xor_b64 exec, exec, s[90:91]
	s_cbranch_execz .LBB14_7173
.LBB14_7776:
	s_mov_b32 s92, 0x46000000
	v_add_f32_e64 v5, |v4|, s92
	v_and_b32_e32 v5, 0xff, v5
	v_cmp_ne_u32_e32 vcc, 0, v5
	s_andn2_b64 s[88:89], s[88:89], exec
	s_and_b64 vcc, vcc, exec
	s_mov_b32 s92, 0
	s_or_b64 s[88:89], s[88:89], vcc
	s_or_b64 exec, exec, s[90:91]
	v_mov_b32_e32 v32, s92
	s_and_saveexec_b64 vcc, s[88:89]
	s_cbranch_execnz .LBB14_7174
	s_branch .LBB14_7175
.LBB14_7777:
	v_bfe_u32 v5, v4, 21, 1
	s_mov_b32 s92, 0x88fffff
	v_add3_u32 v5, v4, v5, s92
	s_mov_b64 s[90:91], exec
	v_lshrrev_b32_e32 v5, 21, v5
	s_or_saveexec_b64 s[92:93], vcc
                                        ; implicit-def: $sgpr94
	s_xor_b64 exec, exec, s[92:93]
	s_cbranch_execz .LBB14_7186
.LBB14_7778:
	s_mov_b32 s94, 0x42800000
	v_add_f32_e64 v5, |v4|, s94
	v_and_b32_e32 v5, 0xff, v5
	v_cmp_ne_u32_e32 vcc, 0, v5
	s_andn2_b64 s[90:91], s[90:91], exec
	s_and_b64 vcc, vcc, exec
	s_mov_b32 s94, 0
	s_or_b64 s[90:91], s[90:91], vcc
	s_or_b64 exec, exec, s[92:93]
	v_mov_b32_e32 v32, s94
	s_and_saveexec_b64 vcc, s[90:91]
	s_cbranch_execnz .LBB14_7187
	s_branch .LBB14_7188
.LBB14_7779:
	v_bfe_u32 v5, v4, 20, 1
	s_mov_b32 s74, 0x487ffff
	v_add3_u32 v5, v4, v5, s74
	s_mov_b64 s[92:93], exec
	v_lshrrev_b32_e32 v5, 20, v5
	s_or_saveexec_b64 s[94:95], vcc
                                        ; implicit-def: $sgpr76
	s_xor_b64 exec, exec, s[94:95]
	s_cbranch_execz .LBB14_7299
.LBB14_7780:
	s_mov_b32 s74, 0x46000000
	v_add_f32_e64 v5, |v4|, s74
	v_and_b32_e32 v5, 0xff, v5
	v_cmp_ne_u32_e32 vcc, 0, v5
	s_andn2_b64 s[74:75], s[92:93], exec
	s_and_b64 vcc, vcc, exec
	s_mov_b32 s76, 0
	s_or_b64 s[92:93], s[74:75], vcc
	s_or_b64 exec, exec, s[94:95]
	v_mov_b32_e32 v30, s76
	s_and_saveexec_b64 vcc, s[92:93]
	s_cbranch_execnz .LBB14_7300
	s_branch .LBB14_7301
.LBB14_7781:
	v_bfe_u32 v5, v4, 21, 1
	s_mov_b32 s74, 0x88fffff
	v_add3_u32 v5, v4, v5, s74
	s_mov_b64 s[94:95], exec
	v_lshrrev_b32_e32 v5, 21, v5
	s_or_saveexec_b64 s[96:97], vcc
                                        ; implicit-def: $sgpr76
	s_xor_b64 exec, exec, s[96:97]
	s_cbranch_execz .LBB14_7312
.LBB14_7782:
	s_mov_b32 s74, 0x42800000
	v_add_f32_e64 v5, |v4|, s74
	v_and_b32_e32 v5, 0xff, v5
	v_cmp_ne_u32_e32 vcc, 0, v5
	s_andn2_b64 s[74:75], s[94:95], exec
	s_and_b64 vcc, vcc, exec
	s_mov_b32 s76, 0
	s_or_b64 s[94:95], s[74:75], vcc
	s_or_b64 exec, exec, s[96:97]
	v_mov_b32_e32 v30, s76
	s_and_saveexec_b64 vcc, s[94:95]
	s_cbranch_execnz .LBB14_7313
	s_branch .LBB14_7314
.LBB14_7783:
	v_bfe_u32 v5, v4, 20, 1
	s_mov_b32 s74, 0x487ffff
	v_add3_u32 v5, v4, v5, s74
	s_mov_b64 s[96:97], exec
	v_lshrrev_b32_e32 v5, 20, v5
	s_or_saveexec_b64 s[80:81], vcc
                                        ; implicit-def: $sgpr76
	s_xor_b64 exec, exec, s[80:81]
	s_cbranch_execz .LBB14_7425
.LBB14_7784:
	s_mov_b32 s74, 0x46000000
	v_add_f32_e64 v5, |v4|, s74
	v_and_b32_e32 v5, 0xff, v5
	v_cmp_ne_u32_e32 vcc, 0, v5
	s_andn2_b64 s[74:75], s[96:97], exec
	s_and_b64 vcc, vcc, exec
	s_mov_b32 s76, 0
	s_or_b64 s[96:97], s[74:75], vcc
	s_or_b64 exec, exec, s[80:81]
	v_mov_b32_e32 v28, s76
	s_and_saveexec_b64 vcc, s[96:97]
	s_cbranch_execnz .LBB14_7426
	s_branch .LBB14_7427
.LBB14_7785:
	v_bfe_u32 v5, v4, 21, 1
	s_mov_b32 s74, 0x88fffff
	v_add3_u32 v5, v4, v5, s74
	s_mov_b64 s[78:79], exec
	v_lshrrev_b32_e32 v5, 21, v5
	s_or_saveexec_b64 s[80:81], vcc
                                        ; implicit-def: $sgpr76
	s_xor_b64 exec, exec, s[80:81]
	s_cbranch_execz .LBB14_7438
.LBB14_7786:
	s_mov_b32 s74, 0x42800000
	v_add_f32_e64 v5, |v4|, s74
	v_and_b32_e32 v5, 0xff, v5
	v_cmp_ne_u32_e32 vcc, 0, v5
	s_andn2_b64 s[74:75], s[78:79], exec
	s_and_b64 vcc, vcc, exec
	s_mov_b32 s76, 0
	s_or_b64 s[78:79], s[74:75], vcc
	s_or_b64 exec, exec, s[80:81]
	v_mov_b32_e32 v28, s76
	s_and_saveexec_b64 vcc, s[78:79]
	s_cbranch_execnz .LBB14_7439
	s_branch .LBB14_7440
.LBB14_7787:
	v_bfe_u32 v5, v4, 20, 1
	s_mov_b32 s74, 0x487ffff
	v_add3_u32 v5, v4, v5, s74
	s_mov_b64 s[82:83], exec
	v_lshrrev_b32_e32 v5, 20, v5
	s_or_saveexec_b64 s[80:81], vcc
                                        ; implicit-def: $sgpr76
	s_xor_b64 exec, exec, s[80:81]
	s_cbranch_execz .LBB14_7551
.LBB14_7788:
	s_mov_b32 s74, 0x46000000
	v_add_f32_e64 v5, |v4|, s74
	v_and_b32_e32 v5, 0xff, v5
	v_cmp_ne_u32_e32 vcc, 0, v5
	s_andn2_b64 s[74:75], s[82:83], exec
	s_and_b64 vcc, vcc, exec
	s_mov_b32 s76, 0
	s_or_b64 s[82:83], s[74:75], vcc
	s_or_b64 exec, exec, s[80:81]
	v_mov_b32_e32 v26, s76
	s_and_saveexec_b64 vcc, s[82:83]
	s_cbranch_execnz .LBB14_7552
	s_branch .LBB14_7553
.LBB14_7789:
	v_bfe_u32 v5, v4, 21, 1
	s_mov_b32 s74, 0x88fffff
	v_add3_u32 v5, v4, v5, s74
	s_mov_b64 s[90:91], exec
	v_lshrrev_b32_e32 v5, 21, v5
	s_or_saveexec_b64 s[80:81], vcc
                                        ; implicit-def: $sgpr76
	s_xor_b64 exec, exec, s[80:81]
	s_cbranch_execz .LBB14_7564
.LBB14_7790:
	s_mov_b32 s74, 0x42800000
	v_add_f32_e64 v5, |v4|, s74
	v_and_b32_e32 v5, 0xff, v5
	v_cmp_ne_u32_e32 vcc, 0, v5
	s_andn2_b64 s[74:75], s[90:91], exec
	s_and_b64 vcc, vcc, exec
	s_mov_b32 s76, 0
	s_or_b64 s[90:91], s[74:75], vcc
	s_or_b64 exec, exec, s[80:81]
	v_mov_b32_e32 v26, s76
	s_and_saveexec_b64 vcc, s[90:91]
	s_cbranch_execnz .LBB14_7565
	s_branch .LBB14_7566
.LBB14_7791:
	v_bfe_u32 v5, v4, 20, 1
	s_mov_b32 s74, 0x487ffff
	v_add3_u32 v5, v4, v5, s74
	s_mov_b64 s[82:83], exec
	v_lshrrev_b32_e32 v5, 20, v5
	s_or_saveexec_b64 s[80:81], vcc
                                        ; implicit-def: $sgpr76
	s_xor_b64 exec, exec, s[80:81]
	s_cbranch_execz .LBB14_7677
.LBB14_7792:
	s_mov_b32 s74, 0x46000000
	v_add_f32_e64 v5, |v4|, s74
	v_and_b32_e32 v5, 0xff, v5
	v_cmp_ne_u32_e32 vcc, 0, v5
	s_andn2_b64 s[74:75], s[82:83], exec
	s_and_b64 vcc, vcc, exec
	s_mov_b32 s76, 0
	s_or_b64 s[82:83], s[74:75], vcc
	s_or_b64 exec, exec, s[80:81]
	v_mov_b32_e32 v24, s76
	s_and_saveexec_b64 vcc, s[82:83]
	s_cbranch_execnz .LBB14_7678
	s_branch .LBB14_7679
.LBB14_7793:
	v_bfe_u32 v5, v4, 20, 1
	s_mov_b32 s74, 0x487ffff
	v_add3_u32 v5, v4, v5, s74
	s_mov_b64 s[82:83], exec
	v_lshrrev_b32_e32 v5, 20, v5
	s_or_saveexec_b64 s[80:81], vcc
                                        ; implicit-def: $sgpr76
	s_xor_b64 exec, exec, s[80:81]
	s_cbranch_execz .LBB14_3986
.LBB14_7794:
	s_mov_b32 s74, 0x46000000
	v_add_f32_e64 v5, |v4|, s74
	v_and_b32_e32 v5, 0xff, v5
	v_cmp_ne_u32_e32 vcc, 0, v5
	s_andn2_b64 s[74:75], s[82:83], exec
	s_and_b64 vcc, vcc, exec
	s_mov_b32 s76, 0
	s_or_b64 s[82:83], s[74:75], vcc
	s_or_b64 exec, exec, s[80:81]
	v_mov_b32_e32 v22, s76
	s_and_saveexec_b64 vcc, s[82:83]
	s_cbranch_execnz .LBB14_3987
	s_branch .LBB14_3988
.LBB14_7795:
	v_mov_b32_e32 v5, 25
	v_readlane_b32 s92, v43, 62
	v_cmp_gt_i16_sdwa s[4:5], v11, v5 src0_sel:BYTE_0 src1_sel:DWORD
	s_mov_b64 s[88:89], 0
	v_readlane_b32 s93, v43, 63
	s_and_saveexec_b64 vcc, s[4:5]
	s_xor_b64 s[90:91], exec, vcc
	s_cbranch_execz .LBB14_7831
; %bb.7796:
	v_mov_b32_e32 v5, 28
	v_readlane_b32 s92, v43, 62
	v_cmp_gt_i16_sdwa vcc, v11, v5 src0_sel:BYTE_0 src1_sel:DWORD
	s_mov_b64 s[4:5], 0
	v_readlane_b32 s93, v43, 63
	s_and_saveexec_b64 s[74:75], vcc
	s_xor_b64 s[88:89], exec, s[74:75]
	s_cbranch_execz .LBB14_7814
; %bb.7797:
	v_mov_b32_e32 v5, 43
	v_readlane_b32 vcc_lo, v43, 62
	v_cmp_gt_i16_sdwa s[74:75], v11, v5 src0_sel:BYTE_0 src1_sel:DWORD
	v_readlane_b32 vcc_hi, v43, 63
	s_and_saveexec_b64 s[76:77], s[74:75]
	s_xor_b64 s[76:77], exec, s[76:77]
	s_cbranch_execz .LBB14_7809
; %bb.7798:
	v_mov_b32_e32 v5, 45
	v_readlane_b32 s84, v43, 62
	v_cmp_gt_i16_sdwa s[4:5], v11, v5 src0_sel:BYTE_0 src1_sel:DWORD
	s_mov_b64 s[86:87], 0
	v_readlane_b32 s85, v43, 63
	s_and_saveexec_b64 vcc, s[4:5]
	s_xor_b64 s[4:5], exec, vcc
	s_cbranch_execz .LBB14_7802
; %bb.7799:
	v_mov_b32_e32 v5, 46
	v_cmp_eq_u16_sdwa s[74:75], v11, v5 src0_sel:BYTE_0 src1_sel:DWORD
	s_mov_b64 vcc, -1
	s_and_saveexec_b64 s[82:83], s[74:75]
	s_cbranch_execz .LBB14_7801
; %bb.7800:
	v_bfe_u32 v5, v4, 16, 1
	s_movk_i32 vcc_lo, 0x7fff
	v_add3_u32 v5, v4, v5, vcc_lo
	v_lshrrev_b32_e32 v5, 16, v5
	v_mov_b32_e32 v9, 0x7fc0
	v_cmp_o_f32_e32 vcc, v4, v4
	v_cndmask_b32_e32 v4, v9, v5, vcc
	s_mov_b64 s[80:81], exec
	flat_store_dword v[2:3], v4
	s_xor_b64 vcc, exec, -1
.LBB14_7801:
	s_or_b64 exec, exec, s[82:83]
	v_readlane_b32 s74, v43, 62
	v_readlane_b32 s75, v43, 63
	s_andn2_b64 s[74:75], s[74:75], exec
	s_and_b64 vcc, vcc, exec
	s_or_b64 s[84:85], s[74:75], vcc
	s_and_b64 s[86:87], s[80:81], exec
                                        ; implicit-def: $vgpr2_vgpr3
                                        ; implicit-def: $vgpr4
.LBB14_7802:
	s_andn2_saveexec_b64 s[92:93], s[4:5]
	s_cbranch_execz .LBB14_7808
; %bb.7803:
	v_mov_b32_e32 v5, 44
	v_cmp_eq_u16_sdwa s[74:75], v11, v5 src0_sel:BYTE_0 src1_sel:DWORD
	s_mov_b64 vcc, -1
	s_mov_b64 s[4:5], s[86:87]
	s_and_saveexec_b64 s[80:81], s[74:75]
	s_cbranch_execz .LBB14_7807
; %bb.7804:
	v_bfe_u32 v5, v4, 23, 8
	s_movk_i32 s4, 0xff
	v_cmp_ne_u32_e32 vcc, s4, v5
	v_mov_b32_e32 v9, 0xff
	s_and_saveexec_b64 s[82:83], vcc
; %bb.7805:
	s_mov_b32 s4, 0x3fffff
	v_lshrrev_b32_e32 v9, 23, v4
	v_and_b32_e32 v10, 0x400000, v4
	v_and_or_b32 v4, v4, s4, v5
	v_cmp_ne_u32_e32 vcc, 0, v10
	v_cmp_ne_u32_e64 s[4:5], 0, v4
	s_and_b64 s[4:5], vcc, s[4:5]
	v_cndmask_b32_e64 v4, 0, 1, s[4:5]
	v_add_u32_e32 v9, v9, v4
; %bb.7806:
	s_or_b64 exec, exec, s[82:83]
	s_xor_b64 vcc, exec, -1
	s_or_b64 s[4:5], s[86:87], exec
	flat_store_byte v[2:3], v9
.LBB14_7807:
	s_or_b64 exec, exec, s[80:81]
	s_andn2_b64 s[74:75], s[84:85], exec
	s_and_b64 vcc, vcc, exec
	s_or_b64 s[84:85], s[74:75], vcc
	s_andn2_b64 vcc, s[86:87], exec
	s_and_b64 s[4:5], s[4:5], exec
	s_or_b64 s[86:87], vcc, s[4:5]
.LBB14_7808:
	s_or_b64 exec, exec, s[92:93]
	v_readlane_b32 s4, v43, 62
	v_readlane_b32 s5, v43, 63
	s_andn2_b64 s[4:5], s[4:5], exec
	s_and_b64 vcc, s[84:85], exec
	s_or_b64 vcc, s[4:5], vcc
	s_and_b64 s[4:5], s[86:87], exec
                                        ; implicit-def: $vgpr4
                                        ; implicit-def: $vgpr2_vgpr3
.LBB14_7809:
	s_andn2_saveexec_b64 s[82:83], s[76:77]
	s_cbranch_execz .LBB14_7813
; %bb.7810:
	v_mov_b32_e32 v5, 29
	v_cmp_eq_u16_sdwa s[74:75], v11, v5 src0_sel:BYTE_0 src1_sel:DWORD
	s_mov_b64 s[86:87], -1
	s_mov_b64 s[84:85], s[4:5]
	s_and_saveexec_b64 s[80:81], s[74:75]
	s_cbranch_execz .LBB14_7812
; %bb.7811:
	v_trunc_f32_e32 v4, v4
	v_mul_f32_e32 v5, 0x2f800000, v4
	v_floor_f32_e32 v9, v5
	v_fmac_f32_e32 v4, 0xcf800000, v9
	v_cvt_u32_f32_e32 v5, v9
	v_cvt_u32_f32_e32 v4, v4
	s_xor_b64 s[86:87], exec, -1
	s_or_b64 s[84:85], s[4:5], exec
	flat_store_dwordx2 v[2:3], v[4:5]
.LBB14_7812:
	s_or_b64 exec, exec, s[80:81]
	s_andn2_b64 vcc, vcc, exec
	s_and_b64 s[74:75], s[86:87], exec
	s_or_b64 vcc, vcc, s[74:75]
	s_andn2_b64 s[4:5], s[4:5], exec
	s_and_b64 s[74:75], s[84:85], exec
	s_or_b64 s[4:5], s[4:5], s[74:75]
.LBB14_7813:
	s_or_b64 exec, exec, s[82:83]
	v_readlane_b32 s74, v43, 62
	v_readlane_b32 s75, v43, 63
	s_andn2_b64 s[74:75], s[74:75], exec
	s_and_b64 vcc, vcc, exec
	s_or_b64 s[92:93], s[74:75], vcc
	s_and_b64 s[4:5], s[4:5], exec
                                        ; implicit-def: $vgpr2_vgpr3
                                        ; implicit-def: $vgpr4
.LBB14_7814:
	s_andn2_saveexec_b64 s[88:89], s[88:89]
	s_cbranch_execz .LBB14_7830
; %bb.7815:
	v_mov_b32_e32 v5, 26
	v_cmp_gt_i16_sdwa vcc, v11, v5 src0_sel:BYTE_0 src1_sel:DWORD
	s_and_saveexec_b64 s[74:75], vcc
	s_xor_b64 vcc, exec, s[74:75]
	s_cbranch_execz .LBB14_7821
; %bb.7816:
	v_cvt_u32_f32_e32 v4, v4
	v_mov_b32_e32 v5, 27
	v_cmp_gt_i16_sdwa s[74:75], v11, v5 src0_sel:BYTE_0 src1_sel:DWORD
	s_and_saveexec_b64 s[76:77], s[74:75]
	s_xor_b64 s[76:77], exec, s[76:77]
	s_cbranch_execz .LBB14_7818
; %bb.7817:
	flat_store_dword v[2:3], v4
                                        ; implicit-def: $vgpr2_vgpr3
                                        ; implicit-def: $vgpr4
.LBB14_7818:
	s_andn2_saveexec_b64 s[76:77], s[76:77]
	s_cbranch_execz .LBB14_7820
; %bb.7819:
	flat_store_short v[2:3], v4
.LBB14_7820:
	s_or_b64 exec, exec, s[76:77]
                                        ; implicit-def: $vgpr2_vgpr3
                                        ; implicit-def: $vgpr4
.LBB14_7821:
	s_andn2_saveexec_b64 s[86:87], vcc
	s_cbranch_execz .LBB14_7829
; %bb.7822:
	v_and_b32_e32 v5, 0x7fffffff, v4
	s_mov_b32 vcc_lo, 0x43800000
	v_cmp_gt_u32_e32 vcc, vcc_lo, v5
	v_mov_b32_e32 v9, 0x80
	s_and_saveexec_b64 s[84:85], vcc
	s_cbranch_execz .LBB14_7828
; %bb.7823:
	s_mov_b32 vcc_lo, 0x3bffffff
	v_cmp_lt_u32_e32 vcc, vcc_lo, v5
	s_mov_b64 s[82:83], 0
                                        ; implicit-def: $vgpr5
	s_and_saveexec_b64 s[74:75], vcc
	s_xor_b64 vcc, exec, s[74:75]
	s_cbranch_execnz .LBB14_7937
; %bb.7824:
	s_or_saveexec_b64 s[80:81], vcc
                                        ; implicit-def: $sgpr76
	s_xor_b64 exec, exec, s[80:81]
	s_cbranch_execnz .LBB14_7938
.LBB14_7825:
	s_or_b64 exec, exec, s[80:81]
	v_mov_b32_e32 v9, s76
	s_and_saveexec_b64 vcc, s[82:83]
.LBB14_7826:
	v_lshrrev_b32_e32 v4, 24, v4
	s_movk_i32 s74, 0x80
	v_and_or_b32 v9, v4, s74, v5
.LBB14_7827:
	s_or_b64 exec, exec, vcc
.LBB14_7828:
	s_or_b64 exec, exec, s[84:85]
	flat_store_byte v[2:3], v9
.LBB14_7829:
	s_or_b64 exec, exec, s[86:87]
	s_or_b64 s[4:5], s[4:5], exec
.LBB14_7830:
	s_or_b64 exec, exec, s[88:89]
	v_readlane_b32 vcc_lo, v43, 62
	v_readlane_b32 vcc_hi, v43, 63
	s_andn2_b64 vcc, vcc, exec
	s_and_b64 s[74:75], s[92:93], exec
	s_or_b64 s[92:93], vcc, s[74:75]
	s_and_b64 s[88:89], s[4:5], exec
                                        ; implicit-def: $vgpr4
                                        ; implicit-def: $vgpr2_vgpr3
.LBB14_7831:
	s_andn2_saveexec_b64 s[90:91], s[90:91]
	s_cbranch_execz .LBB14_7875
; %bb.7832:
	v_mov_b32_e32 v5, 22
	v_cmp_gt_i16_sdwa vcc, v11, v5 src0_sel:BYTE_0 src1_sel:DWORD
	s_mov_b64 s[4:5], s[88:89]
	s_and_saveexec_b64 s[74:75], vcc
	s_xor_b64 s[86:87], exec, s[74:75]
	s_cbranch_execz .LBB14_7864
; %bb.7833:
	v_mov_b32_e32 v5, 23
	v_cmp_gt_i16_sdwa s[4:5], v11, v5 src0_sel:BYTE_0 src1_sel:DWORD
	s_and_saveexec_b64 vcc, s[4:5]
	s_xor_b64 vcc, exec, vcc
	v_writelane_b32 v42, vcc_lo, 8
	v_writelane_b32 v42, vcc_hi, 9
	s_cbranch_execz .LBB14_7853
; %bb.7834:
	v_mov_b32_e32 v5, 24
	v_cmp_gt_i16_sdwa s[4:5], v11, v5 src0_sel:BYTE_0 src1_sel:DWORD
	s_and_saveexec_b64 vcc, s[4:5]
	s_xor_b64 s[4:5], exec, vcc
	s_cbranch_execz .LBB14_7842
; %bb.7835:
	v_and_b32_e32 v5, 0x7fffffff, v4
	s_mov_b32 vcc_lo, 0x47800000
	v_cmp_gt_u32_e32 vcc, vcc_lo, v5
	v_mov_b32_e32 v9, 0x80
	s_and_saveexec_b64 s[84:85], vcc
	s_cbranch_execz .LBB14_7841
; %bb.7836:
	s_mov_b32 vcc_lo, 0x37ffffff
	v_cmp_lt_u32_e32 vcc, vcc_lo, v5
	s_mov_b64 s[82:83], 0
                                        ; implicit-def: $vgpr5
	s_and_saveexec_b64 s[74:75], vcc
	s_xor_b64 vcc, exec, s[74:75]
	s_cbranch_execnz .LBB14_7941
; %bb.7837:
	s_or_saveexec_b64 s[80:81], vcc
                                        ; implicit-def: $sgpr76
	s_xor_b64 exec, exec, s[80:81]
	s_cbranch_execnz .LBB14_7942
.LBB14_7838:
	s_or_b64 exec, exec, s[80:81]
	v_mov_b32_e32 v9, s76
	s_and_saveexec_b64 vcc, s[82:83]
.LBB14_7839:
	v_lshrrev_b32_e32 v4, 24, v4
	s_movk_i32 s74, 0x80
	v_and_or_b32 v9, v4, s74, v5
.LBB14_7840:
	s_or_b64 exec, exec, vcc
.LBB14_7841:
	s_or_b64 exec, exec, s[84:85]
	flat_store_byte v[2:3], v9
                                        ; implicit-def: $vgpr4
                                        ; implicit-def: $vgpr2_vgpr3
.LBB14_7842:
	s_andn2_saveexec_b64 s[4:5], s[4:5]
	s_cbranch_execz .LBB14_7852
; %bb.7843:
	v_and_b32_e32 v9, 0x7fffffff, v4
	s_mov_b32 vcc_lo, 0x43f00000
	v_cmp_gt_u32_e32 vcc, vcc_lo, v9
                                        ; implicit-def: $vgpr5
	s_and_saveexec_b64 s[74:75], vcc
	s_xor_b64 s[80:81], exec, s[74:75]
	s_cbranch_execz .LBB14_7849
; %bb.7844:
	s_mov_b32 vcc_lo, 0x3c7fffff
	v_cmp_lt_u32_e32 vcc, vcc_lo, v9
                                        ; implicit-def: $vgpr5
	s_and_saveexec_b64 s[74:75], vcc
	s_xor_b64 s[78:79], exec, s[74:75]
; %bb.7845:
	v_bfe_u32 v5, v4, 20, 1
	s_mov_b32 vcc_lo, 0x407ffff
	v_add3_u32 v5, v4, v5, vcc_lo
	v_lshrrev_b32_e32 v9, 20, v5
	v_and_b32_e32 v5, 0xff00000, v5
	s_mov_b32 vcc_lo, 0x7f00000
	v_mov_b32_e32 v10, 0x7e
	v_cmp_ne_u32_e32 vcc, vcc_lo, v5
	v_cndmask_b32_e32 v5, v10, v9, vcc
; %bb.7846:
	s_andn2_saveexec_b64 vcc, s[78:79]
; %bb.7847:
	s_mov_b32 s74, 0x46800000
	v_add_f32_e64 v5, |v4|, s74
; %bb.7848:
	s_or_b64 exec, exec, vcc
                                        ; implicit-def: $vgpr9
.LBB14_7849:
	s_andn2_saveexec_b64 s[80:81], s[80:81]
; %bb.7850:
	s_mov_b32 vcc_lo, 0x7f800000
	v_mov_b32_e32 v5, 0x7e
	v_mov_b32_e32 v10, 0x7f
	v_cmp_lt_u32_e32 vcc, vcc_lo, v9
	v_cndmask_b32_e32 v5, v5, v10, vcc
; %bb.7851:
	s_or_b64 exec, exec, s[80:81]
	v_lshrrev_b32_e32 v4, 24, v4
	s_movk_i32 vcc_lo, 0x80
	v_and_or_b32 v4, v4, vcc_lo, v5
	flat_store_byte v[2:3], v4
.LBB14_7852:
	s_or_b64 exec, exec, s[4:5]
                                        ; implicit-def: $vgpr4
                                        ; implicit-def: $vgpr2_vgpr3
.LBB14_7853:
	v_readlane_b32 s4, v42, 8
	v_readlane_b32 s5, v42, 9
	s_andn2_saveexec_b64 s[4:5], s[4:5]
	s_cbranch_execz .LBB14_7863
; %bb.7854:
	v_and_b32_e32 v9, 0x7fffffff, v4
	s_mov_b32 vcc_lo, 0x47800000
	v_cmp_gt_u32_e32 vcc, vcc_lo, v9
                                        ; implicit-def: $vgpr5
	s_and_saveexec_b64 s[74:75], vcc
	s_xor_b64 s[80:81], exec, s[74:75]
	s_cbranch_execz .LBB14_7860
; %bb.7855:
	s_mov_b32 vcc_lo, 0x387fffff
	v_cmp_lt_u32_e32 vcc, vcc_lo, v9
                                        ; implicit-def: $vgpr5
	s_and_saveexec_b64 s[74:75], vcc
	s_xor_b64 vcc, exec, s[74:75]
; %bb.7856:
	v_bfe_u32 v5, v4, 21, 1
	s_mov_b32 s74, 0x80fffff
	v_add3_u32 v5, v4, v5, s74
	v_lshrrev_b32_e32 v5, 21, v5
; %bb.7857:
	s_andn2_saveexec_b64 vcc, vcc
; %bb.7858:
	s_mov_b32 s74, 0x43000000
	v_add_f32_e64 v5, |v4|, s74
; %bb.7859:
	s_or_b64 exec, exec, vcc
                                        ; implicit-def: $vgpr9
.LBB14_7860:
	s_andn2_saveexec_b64 s[80:81], s[80:81]
; %bb.7861:
	s_mov_b32 vcc_lo, 0x7f800000
	v_mov_b32_e32 v5, 0x7c
	v_mov_b32_e32 v10, 0x7f
	v_cmp_lt_u32_e32 vcc, vcc_lo, v9
	v_cndmask_b32_e32 v5, v5, v10, vcc
; %bb.7862:
	s_or_b64 exec, exec, s[80:81]
	v_lshrrev_b32_e32 v4, 24, v4
	s_movk_i32 vcc_lo, 0x80
	v_and_or_b32 v4, v4, vcc_lo, v5
	flat_store_byte v[2:3], v4
.LBB14_7863:
	s_or_b64 exec, exec, s[4:5]
	s_or_b64 s[4:5], s[88:89], exec
                                        ; implicit-def: $vgpr4
                                        ; implicit-def: $vgpr2_vgpr3
.LBB14_7864:
	s_or_saveexec_b64 s[86:87], s[86:87]
	s_mov_b64 vcc, s[92:93]
	s_xor_b64 exec, exec, s[86:87]
	s_cbranch_execz .LBB14_7874
; %bb.7865:
	v_mov_b32_e32 v5, 14
	v_cmp_gt_i16_sdwa vcc, v11, v5 src0_sel:BYTE_0 src1_sel:DWORD
	s_mov_b64 s[84:85], s[4:5]
	s_mov_b64 s[82:83], s[92:93]
	s_and_saveexec_b64 s[74:75], vcc
	s_xor_b64 s[80:81], exec, s[74:75]
	s_cbranch_execz .LBB14_7869
; %bb.7866:
	v_mov_b32_e32 v5, 15
	v_cmp_eq_u16_sdwa s[74:75], v11, v5 src0_sel:BYTE_0 src1_sel:DWORD
	s_mov_b64 s[78:79], -1
	s_mov_b64 vcc, s[4:5]
	s_and_saveexec_b64 s[82:83], s[74:75]
	s_cbranch_execz .LBB14_7868
; %bb.7867:
	v_bfe_u32 v5, v4, 16, 1
	s_movk_i32 vcc_lo, 0x7fff
	v_add3_u32 v5, v4, v5, vcc_lo
	v_lshrrev_b32_e32 v5, 16, v5
	v_mov_b32_e32 v9, 0x7fc0
	v_cmp_o_f32_e32 vcc, v4, v4
	v_cndmask_b32_e32 v4, v9, v5, vcc
	flat_store_short v[2:3], v4
	s_xor_b64 s[78:79], exec, -1
	s_or_b64 vcc, s[4:5], exec
.LBB14_7868:
	s_or_b64 exec, exec, s[82:83]
	s_andn2_b64 s[74:75], s[92:93], exec
	s_and_b64 s[76:77], s[78:79], exec
	s_or_b64 s[82:83], s[74:75], s[76:77]
	s_andn2_b64 s[74:75], s[4:5], exec
	s_and_b64 vcc, vcc, exec
	s_or_b64 s[84:85], s[74:75], vcc
                                        ; implicit-def: $vgpr4
                                        ; implicit-def: $vgpr2_vgpr3
.LBB14_7869:
	s_andn2_saveexec_b64 s[80:81], s[80:81]
	s_cbranch_execz .LBB14_7873
; %bb.7870:
	v_mov_b32_e32 v5, 11
	v_cmp_eq_u16_sdwa s[74:75], v11, v5 src0_sel:BYTE_0 src1_sel:DWORD
	s_mov_b64 s[78:79], -1
	s_mov_b64 vcc, s[84:85]
	s_and_saveexec_b64 s[76:77], s[74:75]
	s_cbranch_execz .LBB14_7872
; %bb.7871:
	v_cmp_neq_f32_e32 vcc, 0, v4
	v_cndmask_b32_e64 v4, 0, 1, vcc
	flat_store_byte v[2:3], v4
	s_xor_b64 s[78:79], exec, -1
	s_or_b64 vcc, s[84:85], exec
.LBB14_7872:
	s_or_b64 exec, exec, s[76:77]
	s_andn2_b64 s[74:75], s[82:83], exec
	s_and_b64 s[76:77], s[78:79], exec
	s_or_b64 s[82:83], s[74:75], s[76:77]
	s_andn2_b64 s[74:75], s[84:85], exec
	s_and_b64 vcc, vcc, exec
	s_or_b64 s[84:85], s[74:75], vcc
.LBB14_7873:
	s_or_b64 exec, exec, s[80:81]
	s_andn2_b64 vcc, s[92:93], exec
	s_and_b64 s[74:75], s[82:83], exec
	s_or_b64 vcc, vcc, s[74:75]
	s_andn2_b64 s[4:5], s[4:5], exec
	s_and_b64 s[74:75], s[84:85], exec
	s_or_b64 s[4:5], s[4:5], s[74:75]
.LBB14_7874:
	s_or_b64 exec, exec, s[86:87]
	s_andn2_b64 s[74:75], s[92:93], exec
	s_and_b64 vcc, vcc, exec
	s_or_b64 s[92:93], s[74:75], vcc
	s_andn2_b64 vcc, s[88:89], exec
	s_and_b64 s[4:5], s[4:5], exec
	s_or_b64 s[88:89], vcc, s[4:5]
.LBB14_7875:
	s_or_b64 exec, exec, s[90:91]
	v_readlane_b32 s4, v43, 62
	v_readlane_b32 s5, v43, 63
	s_andn2_b64 s[4:5], s[4:5], exec
	s_and_b64 vcc, s[92:93], exec
	s_or_b64 s[90:91], s[4:5], vcc
	s_and_b64 s[4:5], s[88:89], exec
                                        ; implicit-def: $vgpr4
                                        ; implicit-def: $vgpr2_vgpr3
	s_andn2_saveexec_b64 s[92:93], s[96:97]
	s_cbranch_execz .LBB14_4602
.LBB14_7876:
	v_mov_b32_e32 v5, 4
	v_cmp_gt_i16_sdwa vcc, v11, v5 src0_sel:BYTE_0 src1_sel:DWORD
	s_and_saveexec_b64 s[74:75], vcc
	s_xor_b64 vcc, exec, s[74:75]
	s_cbranch_execz .LBB14_7898
; %bb.7877:
	v_mov_b32_e32 v5, 7
	v_cmp_gt_i16_sdwa s[74:75], v11, v5 src0_sel:BYTE_0 src1_sel:DWORD
	s_and_saveexec_b64 s[76:77], s[74:75]
	s_xor_b64 s[84:85], exec, s[76:77]
	s_cbranch_execz .LBB14_7887
; %bb.7878:
	v_mov_b32_e32 v5, 8
	v_cmp_gt_i16_sdwa s[74:75], v11, v5 src0_sel:BYTE_0 src1_sel:DWORD
	s_and_saveexec_b64 s[76:77], s[74:75]
	s_xor_b64 s[82:83], exec, s[76:77]
	;; [unrolled: 6-line block ×3, first 2 shown]
	s_cbranch_execz .LBB14_7881
; %bb.7880:
	v_mov_b32_e32 v16, 0
	v_cvt_f64_f32_e32 v[14:15], v4
	v_mov_b32_e32 v17, v16
	flat_store_dwordx4 v[2:3], v[14:17]
                                        ; implicit-def: $vgpr4
                                        ; implicit-def: $vgpr2_vgpr3
.LBB14_7881:
	s_andn2_saveexec_b64 s[76:77], s[78:79]
	s_cbranch_execz .LBB14_7883
; %bb.7882:
	v_mov_b32_e32 v5, 0
	flat_store_dwordx2 v[2:3], v[4:5]
.LBB14_7883:
	s_or_b64 exec, exec, s[76:77]
                                        ; implicit-def: $vgpr4
                                        ; implicit-def: $vgpr2_vgpr3
.LBB14_7884:
	s_andn2_saveexec_b64 s[76:77], s[82:83]
	s_cbranch_execz .LBB14_7886
; %bb.7885:
	v_cvt_f16_f32_e32 v4, v4
	flat_store_dword v[2:3], v4
.LBB14_7886:
	s_or_b64 exec, exec, s[76:77]
                                        ; implicit-def: $vgpr4
                                        ; implicit-def: $vgpr2_vgpr3
.LBB14_7887:
	s_andn2_saveexec_b64 s[82:83], s[84:85]
	s_cbranch_execz .LBB14_7897
; %bb.7888:
	v_mov_b32_e32 v5, 5
	v_cmp_gt_i16_sdwa s[74:75], v11, v5 src0_sel:BYTE_0 src1_sel:DWORD
	s_and_saveexec_b64 s[76:77], s[74:75]
	s_xor_b64 s[80:81], exec, s[76:77]
	s_cbranch_execz .LBB14_7894
; %bb.7889:
	v_mov_b32_e32 v5, 6
	v_cmp_gt_i16_sdwa s[74:75], v11, v5 src0_sel:BYTE_0 src1_sel:DWORD
	s_and_saveexec_b64 s[76:77], s[74:75]
	s_xor_b64 s[76:77], exec, s[76:77]
	s_cbranch_execz .LBB14_7891
; %bb.7890:
	v_cvt_f64_f32_e32 v[4:5], v4
	flat_store_dwordx2 v[2:3], v[4:5]
                                        ; implicit-def: $vgpr2_vgpr3
                                        ; implicit-def: $vgpr4
.LBB14_7891:
	s_andn2_saveexec_b64 s[76:77], s[76:77]
	s_cbranch_execz .LBB14_7893
; %bb.7892:
	flat_store_dword v[2:3], v4
.LBB14_7893:
	s_or_b64 exec, exec, s[76:77]
                                        ; implicit-def: $vgpr4
                                        ; implicit-def: $vgpr2_vgpr3
.LBB14_7894:
	s_andn2_saveexec_b64 s[76:77], s[80:81]
	s_cbranch_execz .LBB14_7896
; %bb.7895:
	v_cvt_f16_f32_e32 v4, v4
	flat_store_short v[2:3], v4
.LBB14_7896:
	s_or_b64 exec, exec, s[76:77]
.LBB14_7897:
	s_or_b64 exec, exec, s[82:83]
                                        ; implicit-def: $vgpr4
                                        ; implicit-def: $vgpr2_vgpr3
.LBB14_7898:
	s_andn2_saveexec_b64 s[88:89], vcc
	s_cbranch_execz .LBB14_7916
; %bb.7899:
	v_mov_b32_e32 v5, 1
	v_cmp_gt_i16_sdwa vcc, v11, v5 src0_sel:BYTE_0 src1_sel:DWORD
	s_and_saveexec_b64 s[74:75], vcc
	s_xor_b64 s[84:85], exec, s[74:75]
	s_cbranch_execz .LBB14_7909
; %bb.7900:
	v_mov_b32_e32 v5, 2
	v_cmp_gt_i16_sdwa vcc, v11, v5 src0_sel:BYTE_0 src1_sel:DWORD
	s_and_saveexec_b64 s[74:75], vcc
	s_xor_b64 s[82:83], exec, s[74:75]
	;; [unrolled: 6-line block ×3, first 2 shown]
	s_cbranch_execz .LBB14_7903
; %bb.7902:
	v_trunc_f32_e32 v4, v4
	s_mov_b32 s74, 0x2f800000
	v_mul_f32_e64 v5, |v4|, s74
	v_floor_f32_e32 v5, v5
	s_mov_b32 s74, 0xcf800000
	v_cvt_u32_f32_e32 v9, v5
	v_fma_f32 v5, v5, s74, |v4|
	v_cvt_u32_f32_e32 v5, v5
	v_ashrrev_i32_e32 v10, 31, v4
	v_xor_b32_e32 v9, v9, v10
	v_xor_b32_e32 v4, v5, v10
	v_sub_co_u32_e32 v4, vcc, v4, v10
	v_subb_co_u32_e32 v5, vcc, v9, v10, vcc
	flat_store_dwordx2 v[2:3], v[4:5]
                                        ; implicit-def: $vgpr4
                                        ; implicit-def: $vgpr2_vgpr3
.LBB14_7903:
	s_andn2_saveexec_b64 vcc, s[80:81]
	s_cbranch_execz .LBB14_7905
; %bb.7904:
	v_cvt_i32_f32_e32 v4, v4
	flat_store_dword v[2:3], v4
.LBB14_7905:
	s_or_b64 exec, exec, vcc
                                        ; implicit-def: $vgpr4
                                        ; implicit-def: $vgpr2_vgpr3
.LBB14_7906:
	s_andn2_saveexec_b64 vcc, s[82:83]
	s_cbranch_execz .LBB14_7908
; %bb.7907:
	v_cvt_i32_f32_e32 v4, v4
	flat_store_short v[2:3], v4
.LBB14_7908:
	s_or_b64 exec, exec, vcc
                                        ; implicit-def: $vgpr4
                                        ; implicit-def: $vgpr2_vgpr3
.LBB14_7909:
	s_andn2_saveexec_b64 vcc, s[84:85]
	s_cbranch_execz .LBB14_7915
; %bb.7910:
	v_mov_b32_e32 v5, 0
	v_cmp_gt_i16_sdwa s[74:75], v11, v5 src0_sel:BYTE_0 src1_sel:DWORD
	s_and_saveexec_b64 s[76:77], s[74:75]
	s_xor_b64 s[76:77], exec, s[76:77]
	s_cbranch_execz .LBB14_7912
; %bb.7911:
	v_cvt_i32_f32_e32 v4, v4
	flat_store_byte v[2:3], v4
                                        ; implicit-def: $vgpr4
                                        ; implicit-def: $vgpr2_vgpr3
.LBB14_7912:
	s_andn2_saveexec_b64 s[80:81], s[76:77]
	s_cbranch_execz .LBB14_7914
; %bb.7913:
	v_trunc_f32_e32 v4, v4
	s_mov_b32 s74, 0x2f800000
	v_mul_f32_e64 v5, |v4|, s74
	v_floor_f32_e32 v5, v5
	s_mov_b32 s74, 0xcf800000
	v_fma_f32 v5, v5, s74, |v4|
	v_cvt_u32_f32_e32 v5, v5
	v_ashrrev_i32_e32 v4, 31, v4
	v_xor_b32_e32 v5, v5, v4
	v_sub_u32_e32 v4, v5, v4
	flat_store_byte v[2:3], v4
.LBB14_7914:
	s_or_b64 exec, exec, s[80:81]
.LBB14_7915:
	s_or_b64 exec, exec, vcc
.LBB14_7916:
	s_or_b64 exec, exec, s[88:89]
	s_or_b64 s[4:5], s[4:5], exec
	s_or_b64 exec, exec, s[92:93]
	s_mov_b64 vcc, 0
	s_and_saveexec_b64 s[76:77], s[4:5]
	s_cbranch_execnz .LBB14_4603
	s_branch .LBB14_4604
.LBB14_7917:
	v_bfe_u32 v5, v4, 21, 1
	s_mov_b32 s74, 0x88fffff
	v_add3_u32 v5, v4, v5, s74
	s_mov_b64 s[82:83], exec
	v_lshrrev_b32_e32 v5, 21, v5
	s_or_saveexec_b64 s[80:81], vcc
                                        ; implicit-def: $sgpr76
	s_xor_b64 exec, exec, s[80:81]
	s_cbranch_execz .LBB14_7690
.LBB14_7918:
	s_mov_b32 s74, 0x42800000
	v_add_f32_e64 v5, |v4|, s74
	v_and_b32_e32 v5, 0xff, v5
	v_cmp_ne_u32_e32 vcc, 0, v5
	s_andn2_b64 s[74:75], s[82:83], exec
	s_and_b64 vcc, vcc, exec
	s_mov_b32 s76, 0
	s_or_b64 s[82:83], s[74:75], vcc
	s_or_b64 exec, exec, s[80:81]
	v_mov_b32_e32 v24, s76
	s_and_saveexec_b64 vcc, s[82:83]
	s_cbranch_execnz .LBB14_7691
	s_branch .LBB14_7692
.LBB14_7919:
	v_bfe_u32 v5, v4, 21, 1
	s_mov_b32 s74, 0x88fffff
	v_add3_u32 v5, v4, v5, s74
	s_mov_b64 s[82:83], exec
	v_lshrrev_b32_e32 v5, 21, v5
	s_or_saveexec_b64 s[80:81], vcc
                                        ; implicit-def: $sgpr76
	s_xor_b64 exec, exec, s[80:81]
	s_cbranch_execz .LBB14_3999
.LBB14_7920:
	s_mov_b32 s74, 0x42800000
	v_add_f32_e64 v5, |v4|, s74
	v_and_b32_e32 v5, 0xff, v5
	v_cmp_ne_u32_e32 vcc, 0, v5
	s_andn2_b64 s[74:75], s[82:83], exec
	s_and_b64 vcc, vcc, exec
	s_mov_b32 s76, 0
	s_or_b64 s[82:83], s[74:75], vcc
	s_or_b64 exec, exec, s[80:81]
	v_mov_b32_e32 v22, s76
	s_and_saveexec_b64 vcc, s[82:83]
	s_cbranch_execnz .LBB14_4000
	s_branch .LBB14_4001
.LBB14_7921:
	v_bfe_u32 v5, v4, 20, 1
	s_mov_b32 s74, 0x487ffff
	v_add3_u32 v5, v4, v5, s74
	s_mov_b64 s[82:83], exec
	v_lshrrev_b32_e32 v5, 20, v5
	s_or_saveexec_b64 s[80:81], vcc
                                        ; implicit-def: $sgpr76
	s_xor_b64 exec, exec, s[80:81]
	s_cbranch_execz .LBB14_4115
.LBB14_7922:
	s_mov_b32 s74, 0x46000000
	v_add_f32_e64 v5, |v4|, s74
	v_and_b32_e32 v5, 0xff, v5
	v_cmp_ne_u32_e32 vcc, 0, v5
	s_andn2_b64 s[74:75], s[82:83], exec
	s_and_b64 vcc, vcc, exec
	s_mov_b32 s76, 0
	s_or_b64 s[82:83], s[74:75], vcc
	s_or_b64 exec, exec, s[80:81]
	v_mov_b32_e32 v20, s76
	s_and_saveexec_b64 vcc, s[82:83]
	s_cbranch_execnz .LBB14_4116
	s_branch .LBB14_4117
.LBB14_7923:
	v_bfe_u32 v5, v4, 21, 1
	s_mov_b32 s74, 0x88fffff
	v_add3_u32 v5, v4, v5, s74
	s_mov_b64 s[82:83], exec
	v_lshrrev_b32_e32 v5, 21, v5
	s_or_saveexec_b64 s[80:81], vcc
                                        ; implicit-def: $sgpr76
	s_xor_b64 exec, exec, s[80:81]
	s_cbranch_execz .LBB14_4128
.LBB14_7924:
	s_mov_b32 s74, 0x42800000
	v_add_f32_e64 v5, |v4|, s74
	v_and_b32_e32 v5, 0xff, v5
	v_cmp_ne_u32_e32 vcc, 0, v5
	s_andn2_b64 s[74:75], s[82:83], exec
	s_and_b64 vcc, vcc, exec
	s_mov_b32 s76, 0
	s_or_b64 s[82:83], s[74:75], vcc
	s_or_b64 exec, exec, s[80:81]
	v_mov_b32_e32 v20, s76
	s_and_saveexec_b64 vcc, s[82:83]
	s_cbranch_execnz .LBB14_4129
	s_branch .LBB14_4130
.LBB14_7925:
	v_bfe_u32 v5, v4, 20, 1
	s_mov_b32 s74, 0x487ffff
	v_add3_u32 v5, v4, v5, s74
	s_mov_b64 s[82:83], exec
	v_lshrrev_b32_e32 v5, 20, v5
	s_or_saveexec_b64 s[80:81], vcc
                                        ; implicit-def: $sgpr76
	s_xor_b64 exec, exec, s[80:81]
	s_cbranch_execz .LBB14_4244
.LBB14_7926:
	s_mov_b32 s74, 0x46000000
	v_add_f32_e64 v5, |v4|, s74
	v_and_b32_e32 v5, 0xff, v5
	v_cmp_ne_u32_e32 vcc, 0, v5
	s_andn2_b64 s[74:75], s[82:83], exec
	s_and_b64 vcc, vcc, exec
	s_mov_b32 s76, 0
	s_or_b64 s[82:83], s[74:75], vcc
	s_or_b64 exec, exec, s[80:81]
	v_mov_b32_e32 v18, s76
	s_and_saveexec_b64 vcc, s[82:83]
	s_cbranch_execnz .LBB14_4245
	s_branch .LBB14_4246
.LBB14_7927:
	v_bfe_u32 v5, v4, 21, 1
	s_mov_b32 s74, 0x88fffff
	v_add3_u32 v5, v4, v5, s74
	s_mov_b64 s[82:83], exec
	v_lshrrev_b32_e32 v5, 21, v5
	s_or_saveexec_b64 s[80:81], vcc
                                        ; implicit-def: $sgpr76
	s_xor_b64 exec, exec, s[80:81]
	s_cbranch_execz .LBB14_4257
.LBB14_7928:
	s_mov_b32 s74, 0x42800000
	v_add_f32_e64 v5, |v4|, s74
	v_and_b32_e32 v5, 0xff, v5
	v_cmp_ne_u32_e32 vcc, 0, v5
	s_andn2_b64 s[74:75], s[82:83], exec
	s_and_b64 vcc, vcc, exec
	s_mov_b32 s76, 0
	s_or_b64 s[82:83], s[74:75], vcc
	s_or_b64 exec, exec, s[80:81]
	v_mov_b32_e32 v18, s76
	s_and_saveexec_b64 vcc, s[82:83]
	s_cbranch_execnz .LBB14_4258
	s_branch .LBB14_4259
.LBB14_7929:
	v_bfe_u32 v5, v4, 20, 1
	s_mov_b32 s74, 0x487ffff
	v_add3_u32 v5, v4, v5, s74
	s_mov_b64 s[82:83], exec
	v_lshrrev_b32_e32 v5, 20, v5
	s_or_saveexec_b64 s[80:81], vcc
                                        ; implicit-def: $sgpr76
	s_xor_b64 exec, exec, s[80:81]
	s_cbranch_execz .LBB14_4373
.LBB14_7930:
	s_mov_b32 s74, 0x46000000
	v_add_f32_e64 v5, |v4|, s74
	v_and_b32_e32 v5, 0xff, v5
	v_cmp_ne_u32_e32 vcc, 0, v5
	s_andn2_b64 s[74:75], s[82:83], exec
	s_and_b64 vcc, vcc, exec
	s_mov_b32 s76, 0
	s_or_b64 s[82:83], s[74:75], vcc
	s_or_b64 exec, exec, s[80:81]
	v_mov_b32_e32 v16, s76
	s_and_saveexec_b64 vcc, s[82:83]
	s_cbranch_execnz .LBB14_4374
	s_branch .LBB14_4375
.LBB14_7931:
	v_bfe_u32 v5, v4, 21, 1
	s_mov_b32 s74, 0x88fffff
	v_add3_u32 v5, v4, v5, s74
	s_mov_b64 s[82:83], exec
	v_lshrrev_b32_e32 v5, 21, v5
	s_or_saveexec_b64 s[80:81], vcc
                                        ; implicit-def: $sgpr76
	s_xor_b64 exec, exec, s[80:81]
	s_cbranch_execz .LBB14_4386
.LBB14_7932:
	s_mov_b32 s74, 0x42800000
	v_add_f32_e64 v5, |v4|, s74
	v_and_b32_e32 v5, 0xff, v5
	v_cmp_ne_u32_e32 vcc, 0, v5
	s_andn2_b64 s[74:75], s[82:83], exec
	s_and_b64 vcc, vcc, exec
	s_mov_b32 s76, 0
	s_or_b64 s[82:83], s[74:75], vcc
	s_or_b64 exec, exec, s[80:81]
	v_mov_b32_e32 v16, s76
	s_and_saveexec_b64 vcc, s[82:83]
	s_cbranch_execnz .LBB14_4387
	s_branch .LBB14_4388
.LBB14_7933:
	v_bfe_u32 v5, v4, 20, 1
	s_mov_b32 s74, 0x487ffff
	v_add3_u32 v5, v4, v5, s74
	s_mov_b64 s[82:83], exec
	v_lshrrev_b32_e32 v5, 20, v5
	s_or_saveexec_b64 s[80:81], vcc
                                        ; implicit-def: $sgpr76
	s_xor_b64 exec, exec, s[80:81]
	s_cbranch_execz .LBB14_4502
.LBB14_7934:
	s_mov_b32 s74, 0x46000000
	v_add_f32_e64 v5, |v4|, s74
	v_and_b32_e32 v5, 0xff, v5
	v_cmp_ne_u32_e32 vcc, 0, v5
	s_andn2_b64 s[74:75], s[82:83], exec
	s_and_b64 vcc, vcc, exec
	s_mov_b32 s76, 0
	s_or_b64 s[82:83], s[74:75], vcc
	s_or_b64 exec, exec, s[80:81]
	v_mov_b32_e32 v14, s76
	s_and_saveexec_b64 vcc, s[82:83]
	s_cbranch_execnz .LBB14_4503
	s_branch .LBB14_4504
.LBB14_7935:
	v_bfe_u32 v5, v4, 21, 1
	s_mov_b32 s74, 0x88fffff
	v_add3_u32 v5, v4, v5, s74
	s_mov_b64 s[82:83], exec
	v_lshrrev_b32_e32 v5, 21, v5
	s_or_saveexec_b64 s[80:81], vcc
                                        ; implicit-def: $sgpr76
	s_xor_b64 exec, exec, s[80:81]
	s_cbranch_execz .LBB14_4515
.LBB14_7936:
	s_mov_b32 s74, 0x42800000
	v_add_f32_e64 v5, |v4|, s74
	v_and_b32_e32 v5, 0xff, v5
	v_cmp_ne_u32_e32 vcc, 0, v5
	s_andn2_b64 s[74:75], s[82:83], exec
	s_and_b64 vcc, vcc, exec
	s_mov_b32 s76, 0
	s_or_b64 s[82:83], s[74:75], vcc
	s_or_b64 exec, exec, s[80:81]
	v_mov_b32_e32 v14, s76
	s_and_saveexec_b64 vcc, s[82:83]
	s_cbranch_execnz .LBB14_4516
	s_branch .LBB14_4517
.LBB14_7937:
	v_bfe_u32 v5, v4, 20, 1
	s_mov_b32 s74, 0x487ffff
	v_add3_u32 v5, v4, v5, s74
	s_mov_b64 s[82:83], exec
	v_lshrrev_b32_e32 v5, 20, v5
	s_or_saveexec_b64 s[80:81], vcc
                                        ; implicit-def: $sgpr76
	s_xor_b64 exec, exec, s[80:81]
	s_cbranch_execz .LBB14_7825
.LBB14_7938:
	s_mov_b32 s74, 0x46000000
	v_add_f32_e64 v5, |v4|, s74
	v_and_b32_e32 v5, 0xff, v5
	v_cmp_ne_u32_e32 vcc, 0, v5
	s_andn2_b64 s[74:75], s[82:83], exec
	s_and_b64 vcc, vcc, exec
	s_mov_b32 s76, 0
	s_or_b64 s[82:83], s[74:75], vcc
	s_or_b64 exec, exec, s[80:81]
	v_mov_b32_e32 v9, s76
	s_and_saveexec_b64 vcc, s[82:83]
	s_cbranch_execnz .LBB14_7826
	s_branch .LBB14_7827
.LBB14_7939:
	v_bfe_u32 v0, v2, 20, 1
	s_mov_b32 s74, 0x487ffff
	v_add3_u32 v0, v2, v0, s74
	s_mov_b64 s[82:83], exec
	v_lshrrev_b32_e32 v0, 20, v0
	s_or_saveexec_b64 s[80:81], vcc
                                        ; implicit-def: $sgpr76
	s_xor_b64 exec, exec, s[80:81]
	s_cbranch_execz .LBB14_4638
.LBB14_7940:
	s_mov_b32 s74, 0x46000000
	v_add_f32_e64 v0, |v2|, s74
	v_and_b32_e32 v0, 0xff, v0
	v_cmp_ne_u32_e32 vcc, 0, v0
	s_andn2_b64 s[74:75], s[82:83], exec
	s_and_b64 vcc, vcc, exec
	s_mov_b32 s76, 0
	s_or_b64 s[82:83], s[74:75], vcc
	s_or_b64 exec, exec, s[80:81]
	v_mov_b32_e32 v1, s76
	s_and_saveexec_b64 vcc, s[82:83]
	s_cbranch_execnz .LBB14_4639
	s_branch .LBB14_4640
.LBB14_7941:
	v_bfe_u32 v5, v4, 21, 1
	s_mov_b32 s74, 0x88fffff
	v_add3_u32 v5, v4, v5, s74
	s_mov_b64 s[82:83], exec
	v_lshrrev_b32_e32 v5, 21, v5
	s_or_saveexec_b64 s[80:81], vcc
                                        ; implicit-def: $sgpr76
	s_xor_b64 exec, exec, s[80:81]
	s_cbranch_execz .LBB14_7838
.LBB14_7942:
	s_mov_b32 s74, 0x42800000
	v_add_f32_e64 v5, |v4|, s74
	v_and_b32_e32 v5, 0xff, v5
	v_cmp_ne_u32_e32 vcc, 0, v5
	s_andn2_b64 s[74:75], s[82:83], exec
	s_and_b64 vcc, vcc, exec
	s_mov_b32 s76, 0
	s_or_b64 s[82:83], s[74:75], vcc
	s_or_b64 exec, exec, s[80:81]
	v_mov_b32_e32 v9, s76
	s_and_saveexec_b64 vcc, s[82:83]
	s_cbranch_execnz .LBB14_7839
	s_branch .LBB14_7840
.LBB14_7943:
	v_bfe_u32 v0, v2, 21, 1
	s_mov_b32 s74, 0x88fffff
	v_add3_u32 v0, v2, v0, s74
	s_mov_b64 s[82:83], exec
	v_lshrrev_b32_e32 v0, 21, v0
	s_or_saveexec_b64 s[80:81], vcc
                                        ; implicit-def: $sgpr76
	s_xor_b64 exec, exec, s[80:81]
	s_cbranch_execz .LBB14_4651
.LBB14_7944:
	s_mov_b32 s74, 0x42800000
	v_add_f32_e64 v0, |v2|, s74
	v_and_b32_e32 v0, 0xff, v0
	v_cmp_ne_u32_e32 vcc, 0, v0
	s_andn2_b64 s[74:75], s[82:83], exec
	s_and_b64 vcc, vcc, exec
	s_mov_b32 s76, 0
	s_or_b64 s[82:83], s[74:75], vcc
	s_or_b64 exec, exec, s[80:81]
	v_mov_b32_e32 v1, s76
	s_and_saveexec_b64 vcc, s[82:83]
	s_cbranch_execnz .LBB14_4652
	s_branch .LBB14_4653
.Lfunc_end14:
	.size	_ZN2at6native25elementwise_kernel_helperILb1EZZZNS0_12prelu_kernelERNS_14TensorIteratorEENKUlvE_clEvENKUlvE0_clEvEUlffE_NS0_6memory8policies11unroll_baseILi512ESt5arrayIPcLm3EE23TrivialOffsetCalculatorILi2EjESD_ILi1EjENS7_12LoadWithCastILi2EEENS7_13StoreWithCastILi1EEELi32ELi1EEEEEvT0_T1_, .Lfunc_end14-_ZN2at6native25elementwise_kernel_helperILb1EZZZNS0_12prelu_kernelERNS_14TensorIteratorEENKUlvE_clEvENKUlvE0_clEvEUlffE_NS0_6memory8policies11unroll_baseILi512ESt5arrayIPcLm3EE23TrivialOffsetCalculatorILi2EjESD_ILi1EjENS7_12LoadWithCastILi2EEENS7_13StoreWithCastILi1EEELi32ELi1EEEEEvT0_T1_
                                        ; -- End function
	.section	.AMDGPU.csdata,"",@progbits
; Function info:
; codeLenInByte = 169488
; NumSgprs: 102
; NumVgprs: 118
; NumAgprs: 0
; TotalNumVgprs: 118
; ScratchSize: 288
; MemoryBound: 1
	.section	.text._ZN2at6native39vectorized_templated_elementwise_kernelILi8EZZZNS0_12prelu_kernelERNS_14TensorIteratorEENKUlvE_clEvENKUlvE0_clEvEUlffE_St5arrayIPcLm3EE23TrivialOffsetCalculatorILi2EjESA_ILi1EjENS0_6memory12LoadWithCastILi2EEENSD_13StoreWithCastILi1EEEfJfN3c108BFloat16EEEEviT0_T1_T2_T3_T4_T5_,"axG",@progbits,_ZN2at6native39vectorized_templated_elementwise_kernelILi8EZZZNS0_12prelu_kernelERNS_14TensorIteratorEENKUlvE_clEvENKUlvE0_clEvEUlffE_St5arrayIPcLm3EE23TrivialOffsetCalculatorILi2EjESA_ILi1EjENS0_6memory12LoadWithCastILi2EEENSD_13StoreWithCastILi1EEEfJfN3c108BFloat16EEEEviT0_T1_T2_T3_T4_T5_,comdat
	.globl	_ZN2at6native39vectorized_templated_elementwise_kernelILi8EZZZNS0_12prelu_kernelERNS_14TensorIteratorEENKUlvE_clEvENKUlvE0_clEvEUlffE_St5arrayIPcLm3EE23TrivialOffsetCalculatorILi2EjESA_ILi1EjENS0_6memory12LoadWithCastILi2EEENSD_13StoreWithCastILi1EEEfJfN3c108BFloat16EEEEviT0_T1_T2_T3_T4_T5_ ; -- Begin function _ZN2at6native39vectorized_templated_elementwise_kernelILi8EZZZNS0_12prelu_kernelERNS_14TensorIteratorEENKUlvE_clEvENKUlvE0_clEvEUlffE_St5arrayIPcLm3EE23TrivialOffsetCalculatorILi2EjESA_ILi1EjENS0_6memory12LoadWithCastILi2EEENSD_13StoreWithCastILi1EEEfJfN3c108BFloat16EEEEviT0_T1_T2_T3_T4_T5_
	.p2align	8
	.type	_ZN2at6native39vectorized_templated_elementwise_kernelILi8EZZZNS0_12prelu_kernelERNS_14TensorIteratorEENKUlvE_clEvENKUlvE0_clEvEUlffE_St5arrayIPcLm3EE23TrivialOffsetCalculatorILi2EjESA_ILi1EjENS0_6memory12LoadWithCastILi2EEENSD_13StoreWithCastILi1EEEfJfN3c108BFloat16EEEEviT0_T1_T2_T3_T4_T5_,@function
_ZN2at6native39vectorized_templated_elementwise_kernelILi8EZZZNS0_12prelu_kernelERNS_14TensorIteratorEENKUlvE_clEvENKUlvE0_clEvEUlffE_St5arrayIPcLm3EE23TrivialOffsetCalculatorILi2EjESA_ILi1EjENS0_6memory12LoadWithCastILi2EEENSD_13StoreWithCastILi1EEEfJfN3c108BFloat16EEEEviT0_T1_T2_T3_T4_T5_: ; @_ZN2at6native39vectorized_templated_elementwise_kernelILi8EZZZNS0_12prelu_kernelERNS_14TensorIteratorEENKUlvE_clEvENKUlvE0_clEvEUlffE_St5arrayIPcLm3EE23TrivialOffsetCalculatorILi2EjESA_ILi1EjENS0_6memory12LoadWithCastILi2EEENSD_13StoreWithCastILi1EEEfJfN3c108BFloat16EEEEviT0_T1_T2_T3_T4_T5_
; %bb.0:
	s_add_u32 flat_scratch_lo, s6, s9
	s_addc_u32 flat_scratch_hi, s7, 0
	s_add_u32 s0, s0, s9
	s_load_dword s6, s[4:5], 0x38
	s_load_dwordx2 s[10:11], s[4:5], 0x18
	s_load_dword s7, s[4:5], 0x0
	s_load_dwordx4 s[16:19], s[4:5], 0x8
	s_addc_u32 s1, s1, 0
	s_mov_b32 s12, s8
	s_not_b32 s8, s8
	s_waitcnt lgkmcnt(0)
	s_add_i32 s6, s6, s8
	s_lshl_b32 s14, s6, 14
	s_sub_i32 s13, s7, s14
	s_cmpk_gt_i32 s13, 0x3fff
	s_mov_b64 s[6:7], -1
	s_mov_b32 s32, 0
	s_cbranch_scc1 .LBB15_3
; %bb.1:
	s_andn2_b64 vcc, exec, s[6:7]
	s_cbranch_vccz .LBB15_4
.LBB15_2:
	s_endpgm
.LBB15_3:
	s_ashr_i32 s15, s14, 31
	s_lshl_b64 s[8:9], s[14:15], 2
	s_add_u32 s6, s18, s8
	s_addc_u32 s7, s19, s9
	s_lshl_b64 s[14:15], s[14:15], 1
	s_add_u32 s14, s10, s14
	s_addc_u32 s15, s11, s15
	v_lshlrev_b32_e32 v1, 4, v0
	global_load_dwordx4 v[2:5], v1, s[14:15]
	v_lshlrev_b32_e32 v52, 5, v0
	global_load_dwordx4 v[6:9], v52, s[6:7]
	global_load_dwordx4 v[10:13], v52, s[6:7] offset:16
	v_mov_b32_e32 v14, s7
	v_add_co_u32_e32 v38, vcc, s6, v52
	v_addc_co_u32_e32 v40, vcc, 0, v14, vcc
	v_mov_b32_e32 v14, s15
	v_add_co_u32_e32 v1, vcc, s14, v1
	s_movk_i32 s21, 0x2000
	v_addc_co_u32_e32 v43, vcc, 0, v14, vcc
	v_add_co_u32_e32 v14, vcc, s21, v1
	s_movk_i32 s20, 0x4000
	v_addc_co_u32_e32 v15, vcc, 0, v43, vcc
	v_add_co_u32_e32 v18, vcc, s20, v38
	global_load_dwordx4 v[14:17], v[14:15], off
	v_addc_co_u32_e32 v19, vcc, 0, v40, vcc
	global_load_dwordx4 v[18:21], v[18:19], off
	v_add_co_u32_e32 v22, vcc, 0x4000, v38
	v_addc_co_u32_e32 v23, vcc, 0, v40, vcc
	global_load_dwordx4 v[22:25], v[22:23], off offset:16
	v_or_b32_e32 v26, 0x400, v0
	v_lshlrev_b32_e32 v53, 5, v26
	v_lshlrev_b32_e32 v34, 4, v26
	global_load_dwordx4 v[26:29], v53, s[6:7] offset:16
	global_load_dwordx4 v[30:33], v34, s[14:15]
	v_add_co_u32_e32 v46, vcc, 0xc000, v38
	global_load_dwordx4 v[34:37], v53, s[6:7]
	s_movk_i32 s22, 0x6000
	v_addc_co_u32_e32 v47, vcc, 0, v40, vcc
	s_add_u32 s8, s16, s8
	v_add_co_u32_e32 v42, vcc, s22, v1
	s_mov_b32 s21, 0xc000
	s_addc_u32 s9, s17, s9
	v_addc_co_u32_e32 v43, vcc, 0, v43, vcc
	v_add_co_u32_e64 v38, s[6:7], s21, v38
	v_mov_b32_e32 v44, s9
	v_add_co_u32_e32 v1, vcc, s8, v52
	v_addc_co_u32_e64 v39, s[6:7], 0, v40, s[6:7]
	v_addc_co_u32_e32 v54, vcc, 0, v44, vcc
	global_load_dwordx4 v[42:45], v[42:43], off
	s_nop 0
	global_load_dwordx4 v[38:41], v[38:39], off
	s_waitcnt vmcnt(10)
	v_and_b32_e32 v49, 0xffff0000, v2
	v_lshlrev_b32_e32 v48, 16, v2
	v_and_b32_e32 v51, 0xffff0000, v3
	v_lshlrev_b32_e32 v50, 16, v3
	s_waitcnt vmcnt(9)
	v_pk_mul_f32 v[2:3], v[6:7], v[48:49]
	v_cmp_lt_f32_e32 vcc, 0, v7
	v_cndmask_b32_e32 v7, v3, v7, vcc
	v_cmp_lt_f32_e32 vcc, 0, v6
	v_cndmask_b32_e32 v6, v2, v6, vcc
	v_pk_mul_f32 v[48:49], v[8:9], v[50:51]
	v_cmp_lt_f32_e32 vcc, 0, v9
	v_cndmask_b32_e32 v9, v49, v9, vcc
	v_cmp_lt_f32_e32 vcc, 0, v8
	v_cndmask_b32_e32 v8, v48, v8, vcc
	global_load_dwordx4 v[46:49], v[46:47], off offset:16
	v_and_b32_e32 v3, 0xffff0000, v4
	v_lshlrev_b32_e32 v2, 16, v4
	s_waitcnt vmcnt(9)
	v_pk_mul_f32 v[2:3], v[10:11], v[2:3]
	v_cmp_lt_f32_e32 vcc, 0, v11
	v_cndmask_b32_e32 v3, v3, v11, vcc
	v_cmp_lt_f32_e32 vcc, 0, v10
	v_cndmask_b32_e32 v2, v2, v10, vcc
	v_and_b32_e32 v11, 0xffff0000, v5
	v_lshlrev_b32_e32 v10, 16, v5
	v_pk_mul_f32 v[4:5], v[12:13], v[10:11]
	v_cmp_lt_f32_e32 vcc, 0, v13
	v_cndmask_b32_e32 v5, v5, v13, vcc
	v_cmp_lt_f32_e32 vcc, 0, v12
	s_waitcnt vmcnt(8)
	v_and_b32_e32 v11, 0xffff0000, v14
	v_lshlrev_b32_e32 v10, 16, v14
	v_cndmask_b32_e32 v4, v4, v12, vcc
	s_waitcnt vmcnt(7)
	v_pk_mul_f32 v[10:11], v[18:19], v[10:11]
	v_cmp_lt_f32_e32 vcc, 0, v19
	v_cndmask_b32_e32 v11, v11, v19, vcc
	v_cmp_lt_f32_e32 vcc, 0, v18
	v_and_b32_e32 v13, 0xffff0000, v15
	v_lshlrev_b32_e32 v12, 16, v15
	v_cndmask_b32_e32 v10, v10, v18, vcc
	v_pk_mul_f32 v[12:13], v[20:21], v[12:13]
	v_cmp_lt_f32_e32 vcc, 0, v21
	v_cndmask_b32_e32 v13, v13, v21, vcc
	v_cmp_lt_f32_e32 vcc, 0, v20
	v_and_b32_e32 v15, 0xffff0000, v16
	v_lshlrev_b32_e32 v14, 16, v16
	v_cndmask_b32_e32 v12, v12, v20, vcc
	s_waitcnt vmcnt(6)
	v_pk_mul_f32 v[14:15], v[22:23], v[14:15]
	v_cmp_lt_f32_e32 vcc, 0, v23
	v_cndmask_b32_e32 v15, v15, v23, vcc
	v_cmp_lt_f32_e32 vcc, 0, v22
	v_and_b32_e32 v19, 0xffff0000, v17
	v_lshlrev_b32_e32 v18, 16, v17
	v_cndmask_b32_e32 v14, v14, v22, vcc
	v_pk_mul_f32 v[16:17], v[24:25], v[18:19]
	v_cmp_lt_f32_e32 vcc, 0, v25
	v_cndmask_b32_e32 v17, v17, v25, vcc
	v_cmp_lt_f32_e32 vcc, 0, v24
	s_waitcnt vmcnt(4)
	v_and_b32_e32 v19, 0xffff0000, v30
	v_lshlrev_b32_e32 v18, 16, v30
	v_cndmask_b32_e32 v16, v16, v24, vcc
	s_waitcnt vmcnt(3)
	v_pk_mul_f32 v[18:19], v[34:35], v[18:19]
	v_cmp_lt_f32_e32 vcc, 0, v35
	v_cndmask_b32_e32 v19, v19, v35, vcc
	v_cmp_lt_f32_e32 vcc, 0, v34
	v_and_b32_e32 v21, 0xffff0000, v31
	v_lshlrev_b32_e32 v20, 16, v31
	v_cndmask_b32_e32 v18, v18, v34, vcc
	v_pk_mul_f32 v[20:21], v[36:37], v[20:21]
	v_cmp_lt_f32_e32 vcc, 0, v37
	v_cndmask_b32_e32 v21, v21, v37, vcc
	v_cmp_lt_f32_e32 vcc, 0, v36
	v_and_b32_e32 v23, 0xffff0000, v32
	v_lshlrev_b32_e32 v22, 16, v32
	v_cndmask_b32_e32 v20, v20, v36, vcc
	;; [unrolled: 7-line block ×3, first 2 shown]
	v_pk_mul_f32 v[24:25], v[28:29], v[24:25]
	v_cmp_lt_f32_e32 vcc, 0, v29
	v_cndmask_b32_e32 v25, v25, v29, vcc
	v_cmp_lt_f32_e32 vcc, 0, v28
	s_waitcnt vmcnt(2)
	v_and_b32_e32 v27, 0xffff0000, v42
	v_lshlrev_b32_e32 v26, 16, v42
	v_cndmask_b32_e32 v24, v24, v28, vcc
	s_waitcnt vmcnt(1)
	v_pk_mul_f32 v[26:27], v[38:39], v[26:27]
	v_cmp_lt_f32_e32 vcc, 0, v39
	v_cndmask_b32_e32 v27, v27, v39, vcc
	v_cmp_lt_f32_e32 vcc, 0, v38
	v_and_b32_e32 v29, 0xffff0000, v43
	v_lshlrev_b32_e32 v28, 16, v43
	v_cndmask_b32_e32 v26, v26, v38, vcc
	v_pk_mul_f32 v[28:29], v[40:41], v[28:29]
	v_cmp_lt_f32_e32 vcc, 0, v41
	v_cndmask_b32_e32 v29, v29, v41, vcc
	v_cmp_lt_f32_e32 vcc, 0, v40
	v_and_b32_e32 v31, 0xffff0000, v44
	v_lshlrev_b32_e32 v30, 16, v44
	v_cndmask_b32_e32 v28, v28, v40, vcc
	s_waitcnt vmcnt(0)
	v_pk_mul_f32 v[30:31], v[46:47], v[30:31]
	v_cmp_lt_f32_e32 vcc, 0, v47
	v_cndmask_b32_e32 v31, v31, v47, vcc
	v_cmp_lt_f32_e32 vcc, 0, v46
	v_and_b32_e32 v33, 0xffff0000, v45
	v_lshlrev_b32_e32 v32, 16, v45
	v_cndmask_b32_e32 v30, v30, v46, vcc
	v_pk_mul_f32 v[32:33], v[48:49], v[32:33]
	v_cmp_lt_f32_e32 vcc, 0, v49
	v_cndmask_b32_e32 v33, v33, v49, vcc
	v_cmp_lt_f32_e32 vcc, 0, v48
	v_cndmask_b32_e32 v32, v32, v48, vcc
	global_store_dwordx4 v52, v[6:9], s[8:9]
	global_store_dwordx4 v52, v[2:5], s[8:9] offset:16
	s_nop 0
	v_add_co_u32_e32 v2, vcc, s20, v1
	v_addc_co_u32_e32 v3, vcc, 0, v54, vcc
	global_store_dwordx4 v[2:3], v[10:13], off
	global_store_dwordx4 v[2:3], v[14:17], off offset:16
	global_store_dwordx4 v53, v[18:21], s[8:9]
	global_store_dwordx4 v53, v[22:25], s[8:9] offset:16
	v_add_co_u32_e32 v2, vcc, 0xc000, v1
	v_addc_co_u32_e32 v3, vcc, 0, v54, vcc
	global_store_dwordx4 v[2:3], v[26:29], off
	global_store_dwordx4 v[2:3], v[30:33], off offset:16
	s_cbranch_execnz .LBB15_2
.LBB15_4:
	s_load_dword s6, s[4:5], 0x24
	s_load_dwordx4 s[20:23], s[4:5], 0x28
	s_add_u32 s8, s4, 56
	s_addc_u32 s9, s5, 0
	v_mov_b32_e32 v31, v0
	s_waitcnt lgkmcnt(0)
	v_lshrrev_b16_e64 v8, 8, s6
	v_mov_b32_e32 v0, s16
	v_mov_b32_e32 v1, s17
	;; [unrolled: 1-line block ×12, first 2 shown]
	s_getpc_b64 s[4:5]
	s_add_u32 s4, s4, _ZN2at6native25elementwise_kernel_helperILb1EZZZNS0_12prelu_kernelERNS_14TensorIteratorEENKUlvE_clEvENKUlvE0_clEvEUlffE_NS0_6memory8policies11unroll_baseILi512ESt5arrayIPcLm3EE23TrivialOffsetCalculatorILi2EjESD_ILi1EjENS7_12LoadWithCastILi2EEENS7_13StoreWithCastILi1EEELi32ELi1EEEEEvT0_T1_@rel32@lo+4
	s_addc_u32 s5, s5, _ZN2at6native25elementwise_kernel_helperILb1EZZZNS0_12prelu_kernelERNS_14TensorIteratorEENKUlvE_clEvENKUlvE0_clEvEUlffE_NS0_6memory8policies11unroll_baseILi512ESt5arrayIPcLm3EE23TrivialOffsetCalculatorILi2EjESD_ILi1EjENS7_12LoadWithCastILi2EEENS7_13StoreWithCastILi1EEELi32ELi1EEEEEvT0_T1_@rel32@hi+12
	s_swappc_b64 s[30:31], s[4:5]
	s_endpgm
	.section	.rodata,"a",@progbits
	.p2align	6, 0x0
	.amdhsa_kernel _ZN2at6native39vectorized_templated_elementwise_kernelILi8EZZZNS0_12prelu_kernelERNS_14TensorIteratorEENKUlvE_clEvENKUlvE0_clEvEUlffE_St5arrayIPcLm3EE23TrivialOffsetCalculatorILi2EjESA_ILi1EjENS0_6memory12LoadWithCastILi2EEENSD_13StoreWithCastILi1EEEfJfN3c108BFloat16EEEEviT0_T1_T2_T3_T4_T5_
		.amdhsa_group_segment_fixed_size 0
		.amdhsa_private_segment_fixed_size 288
		.amdhsa_kernarg_size 312
		.amdhsa_user_sgpr_count 8
		.amdhsa_user_sgpr_private_segment_buffer 1
		.amdhsa_user_sgpr_dispatch_ptr 0
		.amdhsa_user_sgpr_queue_ptr 0
		.amdhsa_user_sgpr_kernarg_segment_ptr 1
		.amdhsa_user_sgpr_dispatch_id 0
		.amdhsa_user_sgpr_flat_scratch_init 1
		.amdhsa_user_sgpr_kernarg_preload_length 0
		.amdhsa_user_sgpr_kernarg_preload_offset 0
		.amdhsa_user_sgpr_private_segment_size 0
		.amdhsa_uses_dynamic_stack 0
		.amdhsa_system_sgpr_private_segment_wavefront_offset 1
		.amdhsa_system_sgpr_workgroup_id_x 1
		.amdhsa_system_sgpr_workgroup_id_y 0
		.amdhsa_system_sgpr_workgroup_id_z 0
		.amdhsa_system_sgpr_workgroup_info 0
		.amdhsa_system_vgpr_workitem_id 0
		.amdhsa_next_free_vgpr 118
		.amdhsa_next_free_sgpr 98
		.amdhsa_accum_offset 120
		.amdhsa_reserve_vcc 1
		.amdhsa_reserve_flat_scratch 1
		.amdhsa_float_round_mode_32 0
		.amdhsa_float_round_mode_16_64 0
		.amdhsa_float_denorm_mode_32 3
		.amdhsa_float_denorm_mode_16_64 3
		.amdhsa_dx10_clamp 1
		.amdhsa_ieee_mode 1
		.amdhsa_fp16_overflow 0
		.amdhsa_tg_split 0
		.amdhsa_exception_fp_ieee_invalid_op 0
		.amdhsa_exception_fp_denorm_src 0
		.amdhsa_exception_fp_ieee_div_zero 0
		.amdhsa_exception_fp_ieee_overflow 0
		.amdhsa_exception_fp_ieee_underflow 0
		.amdhsa_exception_fp_ieee_inexact 0
		.amdhsa_exception_int_div_zero 0
	.end_amdhsa_kernel
	.section	.text._ZN2at6native39vectorized_templated_elementwise_kernelILi8EZZZNS0_12prelu_kernelERNS_14TensorIteratorEENKUlvE_clEvENKUlvE0_clEvEUlffE_St5arrayIPcLm3EE23TrivialOffsetCalculatorILi2EjESA_ILi1EjENS0_6memory12LoadWithCastILi2EEENSD_13StoreWithCastILi1EEEfJfN3c108BFloat16EEEEviT0_T1_T2_T3_T4_T5_,"axG",@progbits,_ZN2at6native39vectorized_templated_elementwise_kernelILi8EZZZNS0_12prelu_kernelERNS_14TensorIteratorEENKUlvE_clEvENKUlvE0_clEvEUlffE_St5arrayIPcLm3EE23TrivialOffsetCalculatorILi2EjESA_ILi1EjENS0_6memory12LoadWithCastILi2EEENSD_13StoreWithCastILi1EEEfJfN3c108BFloat16EEEEviT0_T1_T2_T3_T4_T5_,comdat
.Lfunc_end15:
	.size	_ZN2at6native39vectorized_templated_elementwise_kernelILi8EZZZNS0_12prelu_kernelERNS_14TensorIteratorEENKUlvE_clEvENKUlvE0_clEvEUlffE_St5arrayIPcLm3EE23TrivialOffsetCalculatorILi2EjESA_ILi1EjENS0_6memory12LoadWithCastILi2EEENSD_13StoreWithCastILi1EEEfJfN3c108BFloat16EEEEviT0_T1_T2_T3_T4_T5_, .Lfunc_end15-_ZN2at6native39vectorized_templated_elementwise_kernelILi8EZZZNS0_12prelu_kernelERNS_14TensorIteratorEENKUlvE_clEvENKUlvE0_clEvEUlffE_St5arrayIPcLm3EE23TrivialOffsetCalculatorILi2EjESA_ILi1EjENS0_6memory12LoadWithCastILi2EEENSD_13StoreWithCastILi1EEEfJfN3c108BFloat16EEEEviT0_T1_T2_T3_T4_T5_
                                        ; -- End function
	.section	.AMDGPU.csdata,"",@progbits
; Kernel info:
; codeLenInByte = 1208
; NumSgprs: 104
; NumVgprs: 118
; NumAgprs: 0
; TotalNumVgprs: 118
; ScratchSize: 288
; MemoryBound: 0
; FloatMode: 240
; IeeeMode: 1
; LDSByteSize: 0 bytes/workgroup (compile time only)
; SGPRBlocks: 12
; VGPRBlocks: 14
; NumSGPRsForWavesPerEU: 104
; NumVGPRsForWavesPerEU: 118
; AccumOffset: 120
; Occupancy: 4
; WaveLimiterHint : 0
; COMPUTE_PGM_RSRC2:SCRATCH_EN: 1
; COMPUTE_PGM_RSRC2:USER_SGPR: 8
; COMPUTE_PGM_RSRC2:TRAP_HANDLER: 0
; COMPUTE_PGM_RSRC2:TGID_X_EN: 1
; COMPUTE_PGM_RSRC2:TGID_Y_EN: 0
; COMPUTE_PGM_RSRC2:TGID_Z_EN: 0
; COMPUTE_PGM_RSRC2:TIDIG_COMP_CNT: 0
; COMPUTE_PGM_RSRC3_GFX90A:ACCUM_OFFSET: 29
; COMPUTE_PGM_RSRC3_GFX90A:TG_SPLIT: 0
	.section	.text._ZN2at6native39vectorized_templated_elementwise_kernelILi4EZZZNS0_12prelu_kernelERNS_14TensorIteratorEENKUlvE_clEvENKUlvE0_clEvEUlffE_St5arrayIPcLm3EE23TrivialOffsetCalculatorILi2EjESA_ILi1EjENS0_6memory12LoadWithCastILi2EEENSD_13StoreWithCastILi1EEEfJfN3c108BFloat16EEEEviT0_T1_T2_T3_T4_T5_,"axG",@progbits,_ZN2at6native39vectorized_templated_elementwise_kernelILi4EZZZNS0_12prelu_kernelERNS_14TensorIteratorEENKUlvE_clEvENKUlvE0_clEvEUlffE_St5arrayIPcLm3EE23TrivialOffsetCalculatorILi2EjESA_ILi1EjENS0_6memory12LoadWithCastILi2EEENSD_13StoreWithCastILi1EEEfJfN3c108BFloat16EEEEviT0_T1_T2_T3_T4_T5_,comdat
	.globl	_ZN2at6native39vectorized_templated_elementwise_kernelILi4EZZZNS0_12prelu_kernelERNS_14TensorIteratorEENKUlvE_clEvENKUlvE0_clEvEUlffE_St5arrayIPcLm3EE23TrivialOffsetCalculatorILi2EjESA_ILi1EjENS0_6memory12LoadWithCastILi2EEENSD_13StoreWithCastILi1EEEfJfN3c108BFloat16EEEEviT0_T1_T2_T3_T4_T5_ ; -- Begin function _ZN2at6native39vectorized_templated_elementwise_kernelILi4EZZZNS0_12prelu_kernelERNS_14TensorIteratorEENKUlvE_clEvENKUlvE0_clEvEUlffE_St5arrayIPcLm3EE23TrivialOffsetCalculatorILi2EjESA_ILi1EjENS0_6memory12LoadWithCastILi2EEENSD_13StoreWithCastILi1EEEfJfN3c108BFloat16EEEEviT0_T1_T2_T3_T4_T5_
	.p2align	8
	.type	_ZN2at6native39vectorized_templated_elementwise_kernelILi4EZZZNS0_12prelu_kernelERNS_14TensorIteratorEENKUlvE_clEvENKUlvE0_clEvEUlffE_St5arrayIPcLm3EE23TrivialOffsetCalculatorILi2EjESA_ILi1EjENS0_6memory12LoadWithCastILi2EEENSD_13StoreWithCastILi1EEEfJfN3c108BFloat16EEEEviT0_T1_T2_T3_T4_T5_,@function
_ZN2at6native39vectorized_templated_elementwise_kernelILi4EZZZNS0_12prelu_kernelERNS_14TensorIteratorEENKUlvE_clEvENKUlvE0_clEvEUlffE_St5arrayIPcLm3EE23TrivialOffsetCalculatorILi2EjESA_ILi1EjENS0_6memory12LoadWithCastILi2EEENSD_13StoreWithCastILi1EEEfJfN3c108BFloat16EEEEviT0_T1_T2_T3_T4_T5_: ; @_ZN2at6native39vectorized_templated_elementwise_kernelILi4EZZZNS0_12prelu_kernelERNS_14TensorIteratorEENKUlvE_clEvENKUlvE0_clEvEUlffE_St5arrayIPcLm3EE23TrivialOffsetCalculatorILi2EjESA_ILi1EjENS0_6memory12LoadWithCastILi2EEENSD_13StoreWithCastILi1EEEfJfN3c108BFloat16EEEEviT0_T1_T2_T3_T4_T5_
; %bb.0:
	s_add_u32 flat_scratch_lo, s6, s9
	s_addc_u32 flat_scratch_hi, s7, 0
	s_add_u32 s0, s0, s9
	s_mov_b32 s12, s8
	s_load_dword s8, s[4:5], 0x38
	s_load_dwordx2 s[6:7], s[4:5], 0x18
	s_load_dword s9, s[4:5], 0x0
	s_load_dwordx4 s[16:19], s[4:5], 0x8
	s_addc_u32 s1, s1, 0
	s_not_b32 s10, s12
	s_waitcnt lgkmcnt(0)
	s_add_i32 s8, s8, s10
	s_lshl_b32 s14, s8, 14
	s_sub_i32 s13, s9, s14
	s_cmpk_gt_i32 s13, 0x3fff
	s_mov_b64 s[8:9], -1
	s_mov_b32 s32, 0
	s_cbranch_scc1 .LBB16_3
; %bb.1:
	s_andn2_b64 vcc, exec, s[8:9]
	s_cbranch_vccz .LBB16_4
.LBB16_2:
	s_endpgm
.LBB16_3:
	s_ashr_i32 s15, s14, 31
	s_lshl_b64 s[8:9], s[14:15], 2
	s_add_u32 s10, s18, s8
	s_addc_u32 s11, s19, s9
	s_lshl_b64 s[14:15], s[14:15], 1
	s_add_u32 s14, s6, s14
	s_addc_u32 s15, s7, s15
	v_lshlrev_b32_e32 v2, 3, v0
	v_or_b32_e32 v34, 0x800, v0
	v_mov_b32_e32 v3, s15
	v_add_co_u32_e32 v4, vcc, s14, v2
	v_addc_co_u32_e32 v5, vcc, 0, v3, vcc
	global_load_dwordx2 v[18:19], v2, s[14:15]
	s_movk_i32 s20, 0x1000
	v_lshlrev_b32_e32 v2, 3, v34
	global_load_dwordx2 v[20:21], v2, s[14:15]
	v_add_co_u32_e32 v2, vcc, s20, v4
	v_or_b32_e32 v1, 0x400, v0
	v_addc_co_u32_e32 v3, vcc, 0, v5, vcc
	s_movk_i32 s20, 0x3000
	v_lshlrev_b32_e32 v6, 3, v1
	global_load_dwordx2 v[22:23], v[2:3], off
	global_load_dwordx2 v[24:25], v6, s[14:15]
	v_add_co_u32_e32 v2, vcc, s20, v4
	v_addc_co_u32_e32 v3, vcc, 0, v5, vcc
	s_movk_i32 s20, 0x5000
	global_load_dwordx2 v[26:27], v[2:3], off
	v_add_co_u32_e32 v2, vcc, s20, v4
	v_or_b32_e32 v35, 0xc00, v0
	v_addc_co_u32_e32 v3, vcc, 0, v5, vcc
	global_load_dwordx2 v[28:29], v[2:3], off
	v_lshlrev_b32_e32 v2, 3, v35
	global_load_dwordx2 v[30:31], v2, s[14:15]
	s_movk_i32 s14, 0x7000
	v_add_co_u32_e32 v2, vcc, s14, v4
	v_addc_co_u32_e32 v3, vcc, 0, v5, vcc
	v_lshlrev_b32_e32 v60, 4, v0
	global_load_dwordx2 v[32:33], v[2:3], off
	v_mov_b32_e32 v6, s11
	global_load_dwordx4 v[2:5], v60, s[10:11]
	v_add_co_u32_e32 v61, vcc, s10, v60
	v_addc_co_u32_e32 v62, vcc, 0, v6, vcc
	s_movk_i32 s14, 0x2000
	v_add_co_u32_e32 v6, vcc, s14, v61
	v_addc_co_u32_e32 v7, vcc, 0, v62, vcc
	global_load_dwordx4 v[6:9], v[6:7], off
	v_lshlrev_b32_e32 v1, 4, v1
	global_load_dwordx4 v[10:13], v1, s[10:11]
	s_movk_i32 s15, 0x6000
	v_add_co_u32_e32 v14, vcc, s15, v61
	v_addc_co_u32_e32 v15, vcc, 0, v62, vcc
	global_load_dwordx4 v[14:17], v[14:15], off
	v_lshlrev_b32_e32 v63, 4, v34
	v_lshlrev_b32_e32 v64, 4, v35
	s_mov_b32 s20, 0xa000
	s_add_u32 s8, s16, s8
	s_addc_u32 s9, s17, s9
	s_waitcnt vmcnt(11)
	v_lshlrev_b32_e32 v34, 16, v18
	v_and_b32_e32 v35, 0xffff0000, v18
	v_lshlrev_b32_e32 v18, 16, v19
	v_and_b32_e32 v19, 0xffff0000, v19
	s_waitcnt vmcnt(10)
	v_lshlrev_b32_e32 v36, 16, v20
	v_and_b32_e32 v37, 0xffff0000, v20
	v_lshlrev_b32_e32 v38, 16, v21
	v_and_b32_e32 v39, 0xffff0000, v21
	s_waitcnt vmcnt(9)
	v_lshlrev_b32_e32 v20, 16, v22
	s_waitcnt vmcnt(8)
	v_lshlrev_b32_e32 v40, 16, v24
	v_and_b32_e32 v41, 0xffff0000, v24
	v_lshlrev_b32_e32 v42, 16, v25
	v_and_b32_e32 v43, 0xffff0000, v25
	v_and_b32_e32 v21, 0xffff0000, v22
	v_lshlrev_b32_e32 v22, 16, v23
	v_and_b32_e32 v23, 0xffff0000, v23
	s_waitcnt vmcnt(7)
	v_lshlrev_b32_e32 v44, 16, v26
	v_and_b32_e32 v45, 0xffff0000, v26
	v_lshlrev_b32_e32 v46, 16, v27
	v_and_b32_e32 v47, 0xffff0000, v27
	s_waitcnt vmcnt(6)
	v_lshlrev_b32_e32 v48, 16, v28
	;; [unrolled: 5-line block ×4, first 2 shown]
	v_and_b32_e32 v57, 0xffff0000, v32
	s_waitcnt vmcnt(3)
	v_pk_mul_f32 v[24:25], v[2:3], v[34:35]
	v_cmp_lt_f32_e32 vcc, 0, v3
	v_cndmask_b32_e32 v3, v25, v3, vcc
	v_cmp_lt_f32_e32 vcc, 0, v2
	v_cndmask_b32_e32 v2, v24, v2, vcc
	v_pk_mul_f32 v[18:19], v[4:5], v[18:19]
	v_cmp_lt_f32_e32 vcc, 0, v5
	v_cndmask_b32_e32 v5, v19, v5, vcc
	v_cmp_lt_f32_e32 vcc, 0, v4
	v_cndmask_b32_e32 v4, v18, v4, vcc
	s_waitcnt vmcnt(2)
	v_pk_mul_f32 v[18:19], v[6:7], v[20:21]
	v_cmp_lt_f32_e32 vcc, 0, v7
	v_cndmask_b32_e32 v7, v19, v7, vcc
	v_cmp_lt_f32_e32 vcc, 0, v6
	v_cndmask_b32_e32 v6, v18, v6, vcc
	v_pk_mul_f32 v[22:23], v[8:9], v[22:23]
	v_cmp_lt_f32_e32 vcc, 0, v9
	global_load_dwordx4 v[18:21], v63, s[10:11]
	v_cndmask_b32_e32 v9, v23, v9, vcc
	v_cmp_lt_f32_e32 vcc, 0, v8
	v_cndmask_b32_e32 v8, v22, v8, vcc
	v_add_co_u32_e32 v22, vcc, s20, v61
	v_addc_co_u32_e32 v23, vcc, 0, v62, vcc
	s_waitcnt vmcnt(2)
	v_pk_mul_f32 v[26:27], v[10:11], v[40:41]
	global_load_dwordx4 v[22:25], v[22:23], off
	v_cmp_lt_f32_e32 vcc, 0, v11
	v_cndmask_b32_e32 v11, v27, v11, vcc
	v_cmp_lt_f32_e32 vcc, 0, v10
	v_cndmask_b32_e32 v10, v26, v10, vcc
	v_pk_mul_f32 v[26:27], v[12:13], v[42:43]
	v_cmp_lt_f32_e32 vcc, 0, v13
	v_cndmask_b32_e32 v13, v27, v13, vcc
	v_cmp_lt_f32_e32 vcc, 0, v12
	v_cndmask_b32_e32 v12, v26, v12, vcc
	global_load_dwordx4 v[26:29], v64, s[10:11]
	s_waitcnt vmcnt(3)
	v_pk_mul_f32 v[30:31], v[14:15], v[44:45]
	v_cmp_lt_f32_e32 vcc, 0, v15
	v_cndmask_b32_e32 v15, v31, v15, vcc
	v_cmp_lt_f32_e32 vcc, 0, v14
	s_mov_b32 s10, 0xe000
	v_cndmask_b32_e32 v14, v30, v14, vcc
	v_add_co_u32_e32 v30, vcc, s10, v61
	v_addc_co_u32_e32 v31, vcc, 0, v62, vcc
	v_lshlrev_b32_e32 v58, 16, v33
	v_and_b32_e32 v59, 0xffff0000, v33
	global_load_dwordx4 v[30:33], v[30:31], off
	v_pk_mul_f32 v[34:35], v[16:17], v[46:47]
	v_cmp_lt_f32_e32 vcc, 0, v17
	v_cndmask_b32_e32 v17, v35, v17, vcc
	v_cmp_lt_f32_e32 vcc, 0, v16
	v_mov_b32_e32 v40, s9
	v_cndmask_b32_e32 v16, v34, v16, vcc
	v_add_co_u32_e32 v41, vcc, s8, v60
	v_addc_co_u32_e32 v40, vcc, 0, v40, vcc
	global_store_dwordx4 v60, v[2:5], s[8:9]
	s_waitcnt vmcnt(4)
	v_pk_mul_f32 v[34:35], v[18:19], v[36:37]
	v_cmp_lt_f32_e32 vcc, 0, v19
	v_cndmask_b32_e32 v19, v35, v19, vcc
	v_cmp_lt_f32_e32 vcc, 0, v18
	v_cndmask_b32_e32 v18, v34, v18, vcc
	v_pk_mul_f32 v[34:35], v[20:21], v[38:39]
	v_cmp_lt_f32_e32 vcc, 0, v21
	v_cndmask_b32_e32 v21, v35, v21, vcc
	v_cmp_lt_f32_e32 vcc, 0, v20
	v_cndmask_b32_e32 v20, v34, v20, vcc
	s_waitcnt vmcnt(3)
	v_pk_mul_f32 v[34:35], v[22:23], v[48:49]
	v_cmp_lt_f32_e32 vcc, 0, v23
	v_cndmask_b32_e32 v23, v35, v23, vcc
	v_cmp_lt_f32_e32 vcc, 0, v22
	v_cndmask_b32_e32 v22, v34, v22, vcc
	v_pk_mul_f32 v[34:35], v[24:25], v[50:51]
	v_cmp_lt_f32_e32 vcc, 0, v25
	v_cndmask_b32_e32 v25, v35, v25, vcc
	v_cmp_lt_f32_e32 vcc, 0, v24
	v_cndmask_b32_e32 v24, v34, v24, vcc
	;; [unrolled: 11-line block ×4, first 2 shown]
	v_add_co_u32_e32 v2, vcc, s14, v41
	v_addc_co_u32_e32 v3, vcc, 0, v40, vcc
	global_store_dwordx4 v[2:3], v[6:9], off
	global_store_dwordx4 v1, v[10:13], s[8:9]
	v_add_co_u32_e32 v2, vcc, s15, v41
	v_addc_co_u32_e32 v3, vcc, 0, v40, vcc
	global_store_dwordx4 v[2:3], v[14:17], off
	global_store_dwordx4 v63, v[18:21], s[8:9]
	;; [unrolled: 4-line block ×3, first 2 shown]
	v_add_co_u32_e32 v2, vcc, 0xe000, v41
	v_addc_co_u32_e32 v3, vcc, 0, v40, vcc
	global_store_dwordx4 v[2:3], v[30:33], off
	s_cbranch_execnz .LBB16_2
.LBB16_4:
	s_load_dword s10, s[4:5], 0x24
	s_load_dwordx4 s[20:23], s[4:5], 0x28
	s_add_u32 s8, s4, 56
	s_addc_u32 s9, s5, 0
	v_mov_b32_e32 v31, v0
	s_waitcnt lgkmcnt(0)
	v_lshrrev_b16_e64 v8, 8, s10
	v_mov_b32_e32 v0, s16
	v_mov_b32_e32 v1, s17
	;; [unrolled: 1-line block ×12, first 2 shown]
	s_getpc_b64 s[4:5]
	s_add_u32 s4, s4, _ZN2at6native25elementwise_kernel_helperILb1EZZZNS0_12prelu_kernelERNS_14TensorIteratorEENKUlvE_clEvENKUlvE0_clEvEUlffE_NS0_6memory8policies11unroll_baseILi512ESt5arrayIPcLm3EE23TrivialOffsetCalculatorILi2EjESD_ILi1EjENS7_12LoadWithCastILi2EEENS7_13StoreWithCastILi1EEELi32ELi1EEEEEvT0_T1_@rel32@lo+4
	s_addc_u32 s5, s5, _ZN2at6native25elementwise_kernel_helperILb1EZZZNS0_12prelu_kernelERNS_14TensorIteratorEENKUlvE_clEvENKUlvE0_clEvEUlffE_NS0_6memory8policies11unroll_baseILi512ESt5arrayIPcLm3EE23TrivialOffsetCalculatorILi2EjESD_ILi1EjENS7_12LoadWithCastILi2EEENS7_13StoreWithCastILi1EEELi32ELi1EEEEEvT0_T1_@rel32@hi+12
	s_swappc_b64 s[30:31], s[4:5]
	s_endpgm
	.section	.rodata,"a",@progbits
	.p2align	6, 0x0
	.amdhsa_kernel _ZN2at6native39vectorized_templated_elementwise_kernelILi4EZZZNS0_12prelu_kernelERNS_14TensorIteratorEENKUlvE_clEvENKUlvE0_clEvEUlffE_St5arrayIPcLm3EE23TrivialOffsetCalculatorILi2EjESA_ILi1EjENS0_6memory12LoadWithCastILi2EEENSD_13StoreWithCastILi1EEEfJfN3c108BFloat16EEEEviT0_T1_T2_T3_T4_T5_
		.amdhsa_group_segment_fixed_size 0
		.amdhsa_private_segment_fixed_size 288
		.amdhsa_kernarg_size 312
		.amdhsa_user_sgpr_count 8
		.amdhsa_user_sgpr_private_segment_buffer 1
		.amdhsa_user_sgpr_dispatch_ptr 0
		.amdhsa_user_sgpr_queue_ptr 0
		.amdhsa_user_sgpr_kernarg_segment_ptr 1
		.amdhsa_user_sgpr_dispatch_id 0
		.amdhsa_user_sgpr_flat_scratch_init 1
		.amdhsa_user_sgpr_kernarg_preload_length 0
		.amdhsa_user_sgpr_kernarg_preload_offset 0
		.amdhsa_user_sgpr_private_segment_size 0
		.amdhsa_uses_dynamic_stack 0
		.amdhsa_system_sgpr_private_segment_wavefront_offset 1
		.amdhsa_system_sgpr_workgroup_id_x 1
		.amdhsa_system_sgpr_workgroup_id_y 0
		.amdhsa_system_sgpr_workgroup_id_z 0
		.amdhsa_system_sgpr_workgroup_info 0
		.amdhsa_system_vgpr_workitem_id 0
		.amdhsa_next_free_vgpr 118
		.amdhsa_next_free_sgpr 98
		.amdhsa_accum_offset 120
		.amdhsa_reserve_vcc 1
		.amdhsa_reserve_flat_scratch 1
		.amdhsa_float_round_mode_32 0
		.amdhsa_float_round_mode_16_64 0
		.amdhsa_float_denorm_mode_32 3
		.amdhsa_float_denorm_mode_16_64 3
		.amdhsa_dx10_clamp 1
		.amdhsa_ieee_mode 1
		.amdhsa_fp16_overflow 0
		.amdhsa_tg_split 0
		.amdhsa_exception_fp_ieee_invalid_op 0
		.amdhsa_exception_fp_denorm_src 0
		.amdhsa_exception_fp_ieee_div_zero 0
		.amdhsa_exception_fp_ieee_overflow 0
		.amdhsa_exception_fp_ieee_underflow 0
		.amdhsa_exception_fp_ieee_inexact 0
		.amdhsa_exception_int_div_zero 0
	.end_amdhsa_kernel
	.section	.text._ZN2at6native39vectorized_templated_elementwise_kernelILi4EZZZNS0_12prelu_kernelERNS_14TensorIteratorEENKUlvE_clEvENKUlvE0_clEvEUlffE_St5arrayIPcLm3EE23TrivialOffsetCalculatorILi2EjESA_ILi1EjENS0_6memory12LoadWithCastILi2EEENSD_13StoreWithCastILi1EEEfJfN3c108BFloat16EEEEviT0_T1_T2_T3_T4_T5_,"axG",@progbits,_ZN2at6native39vectorized_templated_elementwise_kernelILi4EZZZNS0_12prelu_kernelERNS_14TensorIteratorEENKUlvE_clEvENKUlvE0_clEvEUlffE_St5arrayIPcLm3EE23TrivialOffsetCalculatorILi2EjESA_ILi1EjENS0_6memory12LoadWithCastILi2EEENSD_13StoreWithCastILi1EEEfJfN3c108BFloat16EEEEviT0_T1_T2_T3_T4_T5_,comdat
.Lfunc_end16:
	.size	_ZN2at6native39vectorized_templated_elementwise_kernelILi4EZZZNS0_12prelu_kernelERNS_14TensorIteratorEENKUlvE_clEvENKUlvE0_clEvEUlffE_St5arrayIPcLm3EE23TrivialOffsetCalculatorILi2EjESA_ILi1EjENS0_6memory12LoadWithCastILi2EEENSD_13StoreWithCastILi1EEEfJfN3c108BFloat16EEEEviT0_T1_T2_T3_T4_T5_, .Lfunc_end16-_ZN2at6native39vectorized_templated_elementwise_kernelILi4EZZZNS0_12prelu_kernelERNS_14TensorIteratorEENKUlvE_clEvENKUlvE0_clEvEUlffE_St5arrayIPcLm3EE23TrivialOffsetCalculatorILi2EjESA_ILi1EjENS0_6memory12LoadWithCastILi2EEENSD_13StoreWithCastILi1EEEfJfN3c108BFloat16EEEEviT0_T1_T2_T3_T4_T5_
                                        ; -- End function
	.section	.AMDGPU.csdata,"",@progbits
; Kernel info:
; codeLenInByte = 1324
; NumSgprs: 104
; NumVgprs: 118
; NumAgprs: 0
; TotalNumVgprs: 118
; ScratchSize: 288
; MemoryBound: 0
; FloatMode: 240
; IeeeMode: 1
; LDSByteSize: 0 bytes/workgroup (compile time only)
; SGPRBlocks: 12
; VGPRBlocks: 14
; NumSGPRsForWavesPerEU: 104
; NumVGPRsForWavesPerEU: 118
; AccumOffset: 120
; Occupancy: 4
; WaveLimiterHint : 0
; COMPUTE_PGM_RSRC2:SCRATCH_EN: 1
; COMPUTE_PGM_RSRC2:USER_SGPR: 8
; COMPUTE_PGM_RSRC2:TRAP_HANDLER: 0
; COMPUTE_PGM_RSRC2:TGID_X_EN: 1
; COMPUTE_PGM_RSRC2:TGID_Y_EN: 0
; COMPUTE_PGM_RSRC2:TGID_Z_EN: 0
; COMPUTE_PGM_RSRC2:TIDIG_COMP_CNT: 0
; COMPUTE_PGM_RSRC3_GFX90A:ACCUM_OFFSET: 29
; COMPUTE_PGM_RSRC3_GFX90A:TG_SPLIT: 0
	.section	.text._ZN2at6native39vectorized_templated_elementwise_kernelILi2EZZZNS0_12prelu_kernelERNS_14TensorIteratorEENKUlvE_clEvENKUlvE0_clEvEUlffE_St5arrayIPcLm3EE23TrivialOffsetCalculatorILi2EjESA_ILi1EjENS0_6memory12LoadWithCastILi2EEENSD_13StoreWithCastILi1EEEfJfN3c108BFloat16EEEEviT0_T1_T2_T3_T4_T5_,"axG",@progbits,_ZN2at6native39vectorized_templated_elementwise_kernelILi2EZZZNS0_12prelu_kernelERNS_14TensorIteratorEENKUlvE_clEvENKUlvE0_clEvEUlffE_St5arrayIPcLm3EE23TrivialOffsetCalculatorILi2EjESA_ILi1EjENS0_6memory12LoadWithCastILi2EEENSD_13StoreWithCastILi1EEEfJfN3c108BFloat16EEEEviT0_T1_T2_T3_T4_T5_,comdat
	.globl	_ZN2at6native39vectorized_templated_elementwise_kernelILi2EZZZNS0_12prelu_kernelERNS_14TensorIteratorEENKUlvE_clEvENKUlvE0_clEvEUlffE_St5arrayIPcLm3EE23TrivialOffsetCalculatorILi2EjESA_ILi1EjENS0_6memory12LoadWithCastILi2EEENSD_13StoreWithCastILi1EEEfJfN3c108BFloat16EEEEviT0_T1_T2_T3_T4_T5_ ; -- Begin function _ZN2at6native39vectorized_templated_elementwise_kernelILi2EZZZNS0_12prelu_kernelERNS_14TensorIteratorEENKUlvE_clEvENKUlvE0_clEvEUlffE_St5arrayIPcLm3EE23TrivialOffsetCalculatorILi2EjESA_ILi1EjENS0_6memory12LoadWithCastILi2EEENSD_13StoreWithCastILi1EEEfJfN3c108BFloat16EEEEviT0_T1_T2_T3_T4_T5_
	.p2align	8
	.type	_ZN2at6native39vectorized_templated_elementwise_kernelILi2EZZZNS0_12prelu_kernelERNS_14TensorIteratorEENKUlvE_clEvENKUlvE0_clEvEUlffE_St5arrayIPcLm3EE23TrivialOffsetCalculatorILi2EjESA_ILi1EjENS0_6memory12LoadWithCastILi2EEENSD_13StoreWithCastILi1EEEfJfN3c108BFloat16EEEEviT0_T1_T2_T3_T4_T5_,@function
_ZN2at6native39vectorized_templated_elementwise_kernelILi2EZZZNS0_12prelu_kernelERNS_14TensorIteratorEENKUlvE_clEvENKUlvE0_clEvEUlffE_St5arrayIPcLm3EE23TrivialOffsetCalculatorILi2EjESA_ILi1EjENS0_6memory12LoadWithCastILi2EEENSD_13StoreWithCastILi1EEEfJfN3c108BFloat16EEEEviT0_T1_T2_T3_T4_T5_: ; @_ZN2at6native39vectorized_templated_elementwise_kernelILi2EZZZNS0_12prelu_kernelERNS_14TensorIteratorEENKUlvE_clEvENKUlvE0_clEvEUlffE_St5arrayIPcLm3EE23TrivialOffsetCalculatorILi2EjESA_ILi1EjENS0_6memory12LoadWithCastILi2EEENSD_13StoreWithCastILi1EEEfJfN3c108BFloat16EEEEviT0_T1_T2_T3_T4_T5_
; %bb.0:
	s_add_u32 flat_scratch_lo, s6, s9
	s_addc_u32 flat_scratch_hi, s7, 0
	s_add_u32 s0, s0, s9
	s_mov_b32 s12, s8
	s_load_dword s8, s[4:5], 0x38
	s_load_dwordx2 s[6:7], s[4:5], 0x18
	s_load_dword s9, s[4:5], 0x0
	s_load_dwordx4 s[16:19], s[4:5], 0x8
	s_addc_u32 s1, s1, 0
	s_not_b32 s10, s12
	s_waitcnt lgkmcnt(0)
	s_add_i32 s8, s8, s10
	s_lshl_b32 s14, s8, 14
	s_sub_i32 s13, s9, s14
	s_cmpk_gt_i32 s13, 0x3fff
	s_mov_b64 s[8:9], -1
	s_mov_b32 s32, 0
	s_cbranch_scc1 .LBB17_3
; %bb.1:
	s_andn2_b64 vcc, exec, s[8:9]
	s_cbranch_vccz .LBB17_4
.LBB17_2:
	s_endpgm
.LBB17_3:
	s_ashr_i32 s15, s14, 31
	s_lshl_b64 s[8:9], s[14:15], 2
	s_add_u32 s10, s18, s8
	s_addc_u32 s11, s19, s9
	s_lshl_b64 s[14:15], s[14:15], 1
	s_add_u32 s14, s6, s14
	s_addc_u32 s15, s7, s15
	v_lshlrev_b32_e32 v7, 2, v0
	v_mov_b32_e32 v2, s15
	v_add_co_u32_e32 v24, vcc, s14, v7
	s_movk_i32 s20, 0x1000
	v_addc_co_u32_e32 v34, vcc, 0, v2, vcc
	v_add_co_u32_e32 v2, vcc, s20, v24
	v_addc_co_u32_e32 v3, vcc, 0, v34, vcc
	s_movk_i32 s21, 0x2000
	v_or_b32_e32 v1, 0x400, v0
	v_add_co_u32_e32 v4, vcc, s21, v24
	v_or_b32_e32 v6, 0x800, v0
	v_or_b32_e32 v8, 0xc00, v0
	v_lshlrev_b32_e32 v9, 2, v1
	v_addc_co_u32_e32 v5, vcc, 0, v34, vcc
	s_movk_i32 s21, 0x3000
	global_load_dword v10, v7, s[14:15]
	global_load_dword v12, v7, s[14:15] offset:2048
	v_lshlrev_b32_e32 v11, 2, v6
	v_lshlrev_b32_e32 v7, 2, v8
	global_load_dword v14, v9, s[14:15]
	global_load_dword v16, v[2:3], off offset:2048
	global_load_dword v18, v11, s[14:15]
	global_load_dword v20, v[4:5], off offset:2048
	global_load_dword v22, v7, s[14:15]
	v_add_co_u32_e32 v2, vcc, s21, v24
	v_addc_co_u32_e32 v3, vcc, 0, v34, vcc
	v_lshlrev_b32_e32 v50, 3, v0
	v_mov_b32_e32 v4, s11
	v_add_co_u32_e32 v40, vcc, s10, v50
	v_addc_co_u32_e32 v41, vcc, 0, v4, vcc
	global_load_dword v42, v[2:3], off offset:2048
	v_add_co_u32_e32 v4, vcc, s20, v40
	global_load_dwordx2 v[2:3], v50, s[10:11]
	v_addc_co_u32_e32 v5, vcc, 0, v41, vcc
	global_load_dwordx2 v[4:5], v[4:5], off
	v_or_b32_e32 v9, 0x1000, v0
	v_lshlrev_b32_e32 v52, 3, v8
	v_add_co_u32_e32 v8, vcc, s21, v40
	v_lshlrev_b32_e32 v1, 3, v1
	v_lshlrev_b32_e32 v53, 3, v9
	;; [unrolled: 1-line block ×3, first 2 shown]
	v_addc_co_u32_e32 v9, vcc, 0, v41, vcc
	global_load_dwordx2 v[8:9], v[8:9], off
	v_lshlrev_b32_e32 v51, 3, v6
	global_load_dwordx2 v[6:7], v1, s[10:11]
	s_movk_i32 s22, 0x4000
	v_add_co_u32_e32 v26, vcc, s22, v24
	v_or_b32_e32 v28, 0x1400, v0
	v_addc_co_u32_e32 v27, vcc, 0, v34, vcc
	s_movk_i32 s22, 0x5000
	v_lshlrev_b32_e32 v54, 3, v28
	v_lshlrev_b32_e32 v28, 2, v28
	global_load_dword v44, v29, s[14:15]
	global_load_dword v45, v[26:27], off offset:2048
	global_load_dword v46, v28, s[14:15]
	v_add_co_u32_e32 v26, vcc, s22, v24
	v_or_b32_e32 v30, 0x1800, v0
	v_addc_co_u32_e32 v27, vcc, 0, v34, vcc
	v_lshlrev_b32_e32 v55, 3, v30
	v_lshlrev_b32_e32 v36, 2, v30
	v_add_co_u32_e32 v30, vcc, s22, v40
	s_movk_i32 s23, 0x6000
	v_addc_co_u32_e32 v31, vcc, 0, v41, vcc
	v_or_b32_e32 v35, 0x1c00, v0
	global_load_dwordx2 v[28:29], v51, s[10:11]
	v_add_co_u32_e32 v32, vcc, s23, v24
	global_load_dwordx2 v[30:31], v[30:31], off
	v_lshlrev_b32_e32 v56, 3, v35
	v_addc_co_u32_e32 v33, vcc, 0, v34, vcc
	v_lshlrev_b32_e32 v35, 2, v35
	global_load_dword v47, v[26:27], off offset:2048
	global_load_dword v48, v36, s[14:15]
	global_load_dword v49, v[32:33], off offset:2048
	global_load_dword v57, v35, s[14:15]
	s_movk_i32 s14, 0x7000
	v_add_co_u32_e32 v32, vcc, s14, v24
	v_addc_co_u32_e32 v33, vcc, 0, v34, vcc
	global_load_dwordx2 v[26:27], v52, s[10:11]
	v_add_co_u32_e32 v34, vcc, s14, v40
	v_addc_co_u32_e32 v35, vcc, 0, v41, vcc
	global_load_dwordx2 v[36:37], v[34:35], off
	global_load_dword v58, v[32:33], off offset:2048
	s_mov_b32 s15, 0x9000
	s_mov_b32 s23, 0xb000
	global_load_dwordx2 v[32:33], v54, s[10:11]
	s_waitcnt vmcnt(24)
	v_and_b32_e32 v11, 0xffff0000, v10
	v_lshlrev_b32_e32 v10, 16, v10
	s_waitcnt vmcnt(23)
	v_and_b32_e32 v13, 0xffff0000, v12
	v_lshlrev_b32_e32 v12, 16, v12
	;; [unrolled: 3-line block ×3, first 2 shown]
	s_mov_b32 s24, 0xd000
	s_waitcnt vmcnt(21)
	v_and_b32_e32 v17, 0xffff0000, v16
	v_lshlrev_b32_e32 v16, 16, v16
	s_waitcnt vmcnt(20)
	v_and_b32_e32 v19, 0xffff0000, v18
	v_lshlrev_b32_e32 v18, 16, v18
	;; [unrolled: 3-line block ×5, first 2 shown]
	s_add_u32 s8, s16, s8
	s_waitcnt vmcnt(16)
	v_pk_mul_f32 v[10:11], v[2:3], v[10:11]
	v_cmp_lt_f32_e32 vcc, 0, v3
	v_cndmask_b32_e32 v3, v11, v3, vcc
	v_cmp_lt_f32_e32 vcc, 0, v2
	v_cndmask_b32_e32 v2, v10, v2, vcc
	s_waitcnt vmcnt(15)
	v_pk_mul_f32 v[10:11], v[4:5], v[12:13]
	v_cmp_lt_f32_e32 vcc, 0, v5
	global_load_dwordx2 v[12:13], v53, s[10:11]
	v_cndmask_b32_e32 v5, v11, v5, vcc
	v_cmp_lt_f32_e32 vcc, 0, v4
	v_cndmask_b32_e32 v4, v10, v4, vcc
	s_addc_u32 s9, s17, s9
	s_waitcnt vmcnt(14)
	v_pk_mul_f32 v[10:11], v[6:7], v[14:15]
	v_add_co_u32_e32 v14, vcc, s15, v40
	v_addc_co_u32_e32 v15, vcc, 0, v41, vcc
	global_load_dwordx2 v[14:15], v[14:15], off
	v_cmp_lt_f32_e32 vcc, 0, v7
	v_cndmask_b32_e32 v7, v11, v7, vcc
	v_add_co_u32_e32 v34, vcc, s23, v40
	v_addc_co_u32_e32 v35, vcc, 0, v41, vcc
	global_load_dwordx2 v[34:35], v[34:35], off
	v_cmp_lt_f32_e32 vcc, 0, v6
	v_cndmask_b32_e32 v6, v10, v6, vcc
	v_add_co_u32_e32 v38, vcc, s24, v40
	v_pk_mul_f32 v[10:11], v[8:9], v[16:17]
	global_load_dwordx2 v[16:17], v55, s[10:11]
	v_addc_co_u32_e32 v39, vcc, 0, v41, vcc
	v_cmp_lt_f32_e32 vcc, 0, v9
	global_load_dwordx2 v[38:39], v[38:39], off
	v_cndmask_b32_e32 v9, v11, v9, vcc
	v_cmp_lt_f32_e32 vcc, 0, v8
	v_cndmask_b32_e32 v8, v10, v8, vcc
	global_load_dwordx2 v[10:11], v56, s[10:11]
	s_mov_b32 s10, 0xf000
	v_add_co_u32_e32 v40, vcc, s10, v40
	v_addc_co_u32_e32 v41, vcc, 0, v41, vcc
	global_load_dwordx2 v[40:41], v[40:41], off
	s_waitcnt vmcnt(16)
	v_pk_mul_f32 v[18:19], v[28:29], v[18:19]
	v_cmp_lt_f32_e32 vcc, 0, v29
	v_cndmask_b32_e32 v19, v19, v29, vcc
	v_cmp_lt_f32_e32 vcc, 0, v28
	v_cndmask_b32_e32 v18, v18, v28, vcc
	s_waitcnt vmcnt(15)
	v_pk_mul_f32 v[20:21], v[30:31], v[20:21]
	v_cmp_lt_f32_e32 vcc, 0, v31
	v_cndmask_b32_e32 v21, v21, v31, vcc
	v_cmp_lt_f32_e32 vcc, 0, v30
	v_cndmask_b32_e32 v20, v20, v30, vcc
	;; [unrolled: 6-line block ×3, first 2 shown]
	s_waitcnt vmcnt(9)
	v_pk_mul_f32 v[24:25], v[36:37], v[24:25]
	v_cmp_lt_f32_e32 vcc, 0, v37
	v_and_b32_e32 v43, 0xffff0000, v44
	v_lshlrev_b32_e32 v42, 16, v44
	v_cndmask_b32_e32 v25, v25, v37, vcc
	v_cmp_lt_f32_e32 vcc, 0, v36
	v_cndmask_b32_e32 v24, v24, v36, vcc
	v_and_b32_e32 v29, 0xffff0000, v45
	v_lshlrev_b32_e32 v28, 16, v45
	v_and_b32_e32 v45, 0xffff0000, v46
	v_lshlrev_b32_e32 v44, 16, v46
	;; [unrolled: 2-line block ×6, first 2 shown]
	v_mov_b32_e32 v57, s9
	s_waitcnt vmcnt(8)
	v_and_b32_e32 v37, 0xffff0000, v58
	v_lshlrev_b32_e32 v36, 16, v58
	global_store_dwordx2 v50, v[2:3], s[8:9]
	s_waitcnt vmcnt(7)
	v_pk_mul_f32 v[42:43], v[12:13], v[42:43]
	v_cmp_lt_f32_e32 vcc, 0, v13
	v_cndmask_b32_e32 v13, v43, v13, vcc
	v_cmp_lt_f32_e32 vcc, 0, v12
	v_cndmask_b32_e32 v12, v42, v12, vcc
	v_add_co_u32_e32 v42, vcc, s8, v50
	v_addc_co_u32_e32 v43, vcc, 0, v57, vcc
	s_waitcnt vmcnt(6)
	v_pk_mul_f32 v[28:29], v[14:15], v[28:29]
	v_cmp_lt_f32_e32 vcc, 0, v15
	v_cndmask_b32_e32 v15, v29, v15, vcc
	v_cmp_lt_f32_e32 vcc, 0, v14
	v_cndmask_b32_e32 v14, v28, v14, vcc
	v_pk_mul_f32 v[28:29], v[32:33], v[44:45]
	v_cmp_lt_f32_e32 vcc, 0, v33
	v_cndmask_b32_e32 v29, v29, v33, vcc
	v_cmp_lt_f32_e32 vcc, 0, v32
	v_cndmask_b32_e32 v28, v28, v32, vcc
	s_waitcnt vmcnt(5)
	v_pk_mul_f32 v[30:31], v[34:35], v[30:31]
	v_cmp_lt_f32_e32 vcc, 0, v35
	v_cndmask_b32_e32 v31, v31, v35, vcc
	v_cmp_lt_f32_e32 vcc, 0, v34
	v_cndmask_b32_e32 v30, v30, v34, vcc
	s_waitcnt vmcnt(4)
	;; [unrolled: 6-line block ×5, first 2 shown]
	v_pk_mul_f32 v[32:33], v[40:41], v[36:37]
	v_cmp_lt_f32_e32 vcc, 0, v41
	v_cndmask_b32_e32 v33, v33, v41, vcc
	v_cmp_lt_f32_e32 vcc, 0, v40
	v_cndmask_b32_e32 v32, v32, v40, vcc
	v_add_co_u32_e32 v2, vcc, s20, v42
	v_addc_co_u32_e32 v3, vcc, 0, v43, vcc
	global_store_dwordx2 v[2:3], v[4:5], off
	global_store_dwordx2 v1, v[6:7], s[8:9]
	v_add_co_u32_e32 v2, vcc, s21, v42
	v_addc_co_u32_e32 v3, vcc, 0, v43, vcc
	global_store_dwordx2 v[2:3], v[8:9], off
	global_store_dwordx2 v51, v[18:19], s[8:9]
	;; [unrolled: 4-line block ×7, first 2 shown]
	v_add_co_u32_e32 v2, vcc, 0xf000, v42
	v_addc_co_u32_e32 v3, vcc, 0, v43, vcc
	global_store_dwordx2 v[2:3], v[32:33], off
	s_cbranch_execnz .LBB17_2
.LBB17_4:
	s_load_dword s10, s[4:5], 0x24
	s_load_dwordx4 s[20:23], s[4:5], 0x28
	s_add_u32 s8, s4, 56
	s_addc_u32 s9, s5, 0
	v_mov_b32_e32 v31, v0
	s_waitcnt lgkmcnt(0)
	v_lshrrev_b16_e64 v8, 8, s10
	v_mov_b32_e32 v0, s16
	v_mov_b32_e32 v1, s17
	;; [unrolled: 1-line block ×12, first 2 shown]
	s_getpc_b64 s[4:5]
	s_add_u32 s4, s4, _ZN2at6native25elementwise_kernel_helperILb1EZZZNS0_12prelu_kernelERNS_14TensorIteratorEENKUlvE_clEvENKUlvE0_clEvEUlffE_NS0_6memory8policies11unroll_baseILi512ESt5arrayIPcLm3EE23TrivialOffsetCalculatorILi2EjESD_ILi1EjENS7_12LoadWithCastILi2EEENS7_13StoreWithCastILi1EEELi32ELi1EEEEEvT0_T1_@rel32@lo+4
	s_addc_u32 s5, s5, _ZN2at6native25elementwise_kernel_helperILb1EZZZNS0_12prelu_kernelERNS_14TensorIteratorEENKUlvE_clEvENKUlvE0_clEvEUlffE_NS0_6memory8policies11unroll_baseILi512ESt5arrayIPcLm3EE23TrivialOffsetCalculatorILi2EjESD_ILi1EjENS7_12LoadWithCastILi2EEENS7_13StoreWithCastILi1EEELi32ELi1EEEEEvT0_T1_@rel32@hi+12
	s_swappc_b64 s[30:31], s[4:5]
	s_endpgm
	.section	.rodata,"a",@progbits
	.p2align	6, 0x0
	.amdhsa_kernel _ZN2at6native39vectorized_templated_elementwise_kernelILi2EZZZNS0_12prelu_kernelERNS_14TensorIteratorEENKUlvE_clEvENKUlvE0_clEvEUlffE_St5arrayIPcLm3EE23TrivialOffsetCalculatorILi2EjESA_ILi1EjENS0_6memory12LoadWithCastILi2EEENSD_13StoreWithCastILi1EEEfJfN3c108BFloat16EEEEviT0_T1_T2_T3_T4_T5_
		.amdhsa_group_segment_fixed_size 0
		.amdhsa_private_segment_fixed_size 288
		.amdhsa_kernarg_size 312
		.amdhsa_user_sgpr_count 8
		.amdhsa_user_sgpr_private_segment_buffer 1
		.amdhsa_user_sgpr_dispatch_ptr 0
		.amdhsa_user_sgpr_queue_ptr 0
		.amdhsa_user_sgpr_kernarg_segment_ptr 1
		.amdhsa_user_sgpr_dispatch_id 0
		.amdhsa_user_sgpr_flat_scratch_init 1
		.amdhsa_user_sgpr_kernarg_preload_length 0
		.amdhsa_user_sgpr_kernarg_preload_offset 0
		.amdhsa_user_sgpr_private_segment_size 0
		.amdhsa_uses_dynamic_stack 0
		.amdhsa_system_sgpr_private_segment_wavefront_offset 1
		.amdhsa_system_sgpr_workgroup_id_x 1
		.amdhsa_system_sgpr_workgroup_id_y 0
		.amdhsa_system_sgpr_workgroup_id_z 0
		.amdhsa_system_sgpr_workgroup_info 0
		.amdhsa_system_vgpr_workitem_id 0
		.amdhsa_next_free_vgpr 118
		.amdhsa_next_free_sgpr 98
		.amdhsa_accum_offset 120
		.amdhsa_reserve_vcc 1
		.amdhsa_reserve_flat_scratch 1
		.amdhsa_float_round_mode_32 0
		.amdhsa_float_round_mode_16_64 0
		.amdhsa_float_denorm_mode_32 3
		.amdhsa_float_denorm_mode_16_64 3
		.amdhsa_dx10_clamp 1
		.amdhsa_ieee_mode 1
		.amdhsa_fp16_overflow 0
		.amdhsa_tg_split 0
		.amdhsa_exception_fp_ieee_invalid_op 0
		.amdhsa_exception_fp_denorm_src 0
		.amdhsa_exception_fp_ieee_div_zero 0
		.amdhsa_exception_fp_ieee_overflow 0
		.amdhsa_exception_fp_ieee_underflow 0
		.amdhsa_exception_fp_ieee_inexact 0
		.amdhsa_exception_int_div_zero 0
	.end_amdhsa_kernel
	.section	.text._ZN2at6native39vectorized_templated_elementwise_kernelILi2EZZZNS0_12prelu_kernelERNS_14TensorIteratorEENKUlvE_clEvENKUlvE0_clEvEUlffE_St5arrayIPcLm3EE23TrivialOffsetCalculatorILi2EjESA_ILi1EjENS0_6memory12LoadWithCastILi2EEENSD_13StoreWithCastILi1EEEfJfN3c108BFloat16EEEEviT0_T1_T2_T3_T4_T5_,"axG",@progbits,_ZN2at6native39vectorized_templated_elementwise_kernelILi2EZZZNS0_12prelu_kernelERNS_14TensorIteratorEENKUlvE_clEvENKUlvE0_clEvEUlffE_St5arrayIPcLm3EE23TrivialOffsetCalculatorILi2EjESA_ILi1EjENS0_6memory12LoadWithCastILi2EEENSD_13StoreWithCastILi1EEEfJfN3c108BFloat16EEEEviT0_T1_T2_T3_T4_T5_,comdat
.Lfunc_end17:
	.size	_ZN2at6native39vectorized_templated_elementwise_kernelILi2EZZZNS0_12prelu_kernelERNS_14TensorIteratorEENKUlvE_clEvENKUlvE0_clEvEUlffE_St5arrayIPcLm3EE23TrivialOffsetCalculatorILi2EjESA_ILi1EjENS0_6memory12LoadWithCastILi2EEENSD_13StoreWithCastILi1EEEfJfN3c108BFloat16EEEEviT0_T1_T2_T3_T4_T5_, .Lfunc_end17-_ZN2at6native39vectorized_templated_elementwise_kernelILi2EZZZNS0_12prelu_kernelERNS_14TensorIteratorEENKUlvE_clEvENKUlvE0_clEvEUlffE_St5arrayIPcLm3EE23TrivialOffsetCalculatorILi2EjESA_ILi1EjENS0_6memory12LoadWithCastILi2EEENSD_13StoreWithCastILi1EEEfJfN3c108BFloat16EEEEviT0_T1_T2_T3_T4_T5_
                                        ; -- End function
	.section	.AMDGPU.csdata,"",@progbits
; Kernel info:
; codeLenInByte = 1716
; NumSgprs: 104
; NumVgprs: 118
; NumAgprs: 0
; TotalNumVgprs: 118
; ScratchSize: 288
; MemoryBound: 0
; FloatMode: 240
; IeeeMode: 1
; LDSByteSize: 0 bytes/workgroup (compile time only)
; SGPRBlocks: 12
; VGPRBlocks: 14
; NumSGPRsForWavesPerEU: 104
; NumVGPRsForWavesPerEU: 118
; AccumOffset: 120
; Occupancy: 4
; WaveLimiterHint : 0
; COMPUTE_PGM_RSRC2:SCRATCH_EN: 1
; COMPUTE_PGM_RSRC2:USER_SGPR: 8
; COMPUTE_PGM_RSRC2:TRAP_HANDLER: 0
; COMPUTE_PGM_RSRC2:TGID_X_EN: 1
; COMPUTE_PGM_RSRC2:TGID_Y_EN: 0
; COMPUTE_PGM_RSRC2:TGID_Z_EN: 0
; COMPUTE_PGM_RSRC2:TIDIG_COMP_CNT: 0
; COMPUTE_PGM_RSRC3_GFX90A:ACCUM_OFFSET: 29
; COMPUTE_PGM_RSRC3_GFX90A:TG_SPLIT: 0
	.section	.text._ZN2at6native39vectorized_templated_elementwise_kernelILi8EZZZNS0_12prelu_kernelERNS_14TensorIteratorEENKUlvE_clEvENKUlvE0_clEvEUlffE_St5arrayIPcLm3EE23TrivialOffsetCalculatorILi2EjESA_ILi1EjENS0_6memory12LoadWithCastILi2EEENSD_13StoreWithCastILi1EEEfJN3c108BFloat16EfEEEviT0_T1_T2_T3_T4_T5_,"axG",@progbits,_ZN2at6native39vectorized_templated_elementwise_kernelILi8EZZZNS0_12prelu_kernelERNS_14TensorIteratorEENKUlvE_clEvENKUlvE0_clEvEUlffE_St5arrayIPcLm3EE23TrivialOffsetCalculatorILi2EjESA_ILi1EjENS0_6memory12LoadWithCastILi2EEENSD_13StoreWithCastILi1EEEfJN3c108BFloat16EfEEEviT0_T1_T2_T3_T4_T5_,comdat
	.globl	_ZN2at6native39vectorized_templated_elementwise_kernelILi8EZZZNS0_12prelu_kernelERNS_14TensorIteratorEENKUlvE_clEvENKUlvE0_clEvEUlffE_St5arrayIPcLm3EE23TrivialOffsetCalculatorILi2EjESA_ILi1EjENS0_6memory12LoadWithCastILi2EEENSD_13StoreWithCastILi1EEEfJN3c108BFloat16EfEEEviT0_T1_T2_T3_T4_T5_ ; -- Begin function _ZN2at6native39vectorized_templated_elementwise_kernelILi8EZZZNS0_12prelu_kernelERNS_14TensorIteratorEENKUlvE_clEvENKUlvE0_clEvEUlffE_St5arrayIPcLm3EE23TrivialOffsetCalculatorILi2EjESA_ILi1EjENS0_6memory12LoadWithCastILi2EEENSD_13StoreWithCastILi1EEEfJN3c108BFloat16EfEEEviT0_T1_T2_T3_T4_T5_
	.p2align	8
	.type	_ZN2at6native39vectorized_templated_elementwise_kernelILi8EZZZNS0_12prelu_kernelERNS_14TensorIteratorEENKUlvE_clEvENKUlvE0_clEvEUlffE_St5arrayIPcLm3EE23TrivialOffsetCalculatorILi2EjESA_ILi1EjENS0_6memory12LoadWithCastILi2EEENSD_13StoreWithCastILi1EEEfJN3c108BFloat16EfEEEviT0_T1_T2_T3_T4_T5_,@function
_ZN2at6native39vectorized_templated_elementwise_kernelILi8EZZZNS0_12prelu_kernelERNS_14TensorIteratorEENKUlvE_clEvENKUlvE0_clEvEUlffE_St5arrayIPcLm3EE23TrivialOffsetCalculatorILi2EjESA_ILi1EjENS0_6memory12LoadWithCastILi2EEENSD_13StoreWithCastILi1EEEfJN3c108BFloat16EfEEEviT0_T1_T2_T3_T4_T5_: ; @_ZN2at6native39vectorized_templated_elementwise_kernelILi8EZZZNS0_12prelu_kernelERNS_14TensorIteratorEENKUlvE_clEvENKUlvE0_clEvEUlffE_St5arrayIPcLm3EE23TrivialOffsetCalculatorILi2EjESA_ILi1EjENS0_6memory12LoadWithCastILi2EEENSD_13StoreWithCastILi1EEEfJN3c108BFloat16EfEEEviT0_T1_T2_T3_T4_T5_
; %bb.0:
	s_add_u32 flat_scratch_lo, s6, s9
	s_addc_u32 flat_scratch_hi, s7, 0
	s_add_u32 s0, s0, s9
	s_mov_b32 s12, s8
	s_load_dword s8, s[4:5], 0x38
	s_load_dwordx2 s[6:7], s[4:5], 0x18
	s_load_dword s9, s[4:5], 0x0
	s_load_dwordx4 s[16:19], s[4:5], 0x8
	s_addc_u32 s1, s1, 0
	s_not_b32 s10, s12
	s_waitcnt lgkmcnt(0)
	s_add_i32 s8, s8, s10
	s_lshl_b32 s8, s8, 14
	s_sub_i32 s13, s9, s8
	s_cmpk_gt_i32 s13, 0x3fff
	s_mov_b64 s[10:11], -1
	s_mov_b32 s32, 0
	s_cbranch_scc1 .LBB18_3
; %bb.1:
	s_andn2_b64 vcc, exec, s[10:11]
	s_cbranch_vccz .LBB18_4
.LBB18_2:
	s_endpgm
.LBB18_3:
	s_ashr_i32 s9, s8, 31
	s_lshl_b64 s[10:11], s[8:9], 1
	s_add_u32 s10, s18, s10
	s_addc_u32 s11, s19, s11
	v_lshlrev_b32_e32 v1, 4, v0
	s_lshl_b64 s[8:9], s[8:9], 2
	global_load_dwordx4 v[2:5], v1, s[10:11]
	s_add_u32 s14, s6, s8
	v_lshlrev_b32_e32 v56, 5, v0
	s_addc_u32 s15, s7, s9
	global_load_dwordx4 v[6:9], v56, s[14:15]
	global_load_dwordx4 v[10:13], v56, s[14:15] offset:16
	v_mov_b32_e32 v14, s11
	v_add_co_u32_e32 v1, vcc, s10, v1
	s_movk_i32 s21, 0x2000
	v_addc_co_u32_e32 v39, vcc, 0, v14, vcc
	v_add_co_u32_e32 v14, vcc, s21, v1
	v_addc_co_u32_e32 v15, vcc, 0, v39, vcc
	v_mov_b32_e32 v16, s15
	v_add_co_u32_e32 v42, vcc, s14, v56
	s_movk_i32 s20, 0x4000
	v_addc_co_u32_e32 v43, vcc, 0, v16, vcc
	global_load_dwordx4 v[14:17], v[14:15], off
	v_add_co_u32_e32 v26, vcc, s20, v42
	v_addc_co_u32_e32 v27, vcc, 0, v43, vcc
	global_load_dwordx4 v[18:21], v[26:27], off
	global_load_dwordx4 v[22:25], v[26:27], off offset:16
	v_or_b32_e32 v30, 0x400, v0
	v_lshlrev_b32_e32 v26, 4, v30
	global_load_dwordx4 v[26:29], v26, s[10:11]
	v_lshlrev_b32_e32 v57, 5, v30
	global_load_dwordx4 v[30:33], v57, s[14:15]
	global_load_dwordx4 v[34:37], v57, s[14:15] offset:16
	s_movk_i32 s11, 0x6000
	v_add_co_u32_e32 v38, vcc, s11, v1
	s_mov_b32 s10, 0xc000
	v_addc_co_u32_e32 v39, vcc, 0, v39, vcc
	v_add_co_u32_e32 v46, vcc, s10, v42
	global_load_dwordx4 v[38:41], v[38:39], off
	v_addc_co_u32_e32 v47, vcc, 0, v43, vcc
	global_load_dwordx4 v[42:45], v[46:47], off
	s_add_u32 s8, s16, s8
	s_addc_u32 s9, s17, s9
	v_mov_b32_e32 v1, s9
	s_waitcnt vmcnt(10)
	v_and_b32_e32 v49, 0xffff0000, v2
	v_lshlrev_b32_e32 v48, 16, v2
	v_and_b32_e32 v51, 0xffff0000, v3
	v_lshlrev_b32_e32 v50, 16, v3
	s_waitcnt vmcnt(9)
	v_pk_mul_f32 v[2:3], v[6:7], v[48:49]
	v_cmp_lt_f32_e32 vcc, 0, v49
	v_cndmask_b32_e32 v3, v3, v49, vcc
	v_cmp_lt_f32_e32 vcc, 0, v48
	v_cndmask_b32_e32 v2, v2, v48, vcc
	global_load_dwordx4 v[46:49], v[46:47], off offset:16
	v_add_co_u32_e32 v58, vcc, s8, v56
	v_addc_co_u32_e32 v1, vcc, 0, v1, vcc
	v_and_b32_e32 v53, 0xffff0000, v4
	v_lshlrev_b32_e32 v52, 16, v4
	v_and_b32_e32 v55, 0xffff0000, v5
	v_lshlrev_b32_e32 v54, 16, v5
	v_pk_mul_f32 v[4:5], v[8:9], v[50:51]
	v_cmp_lt_f32_e32 vcc, 0, v51
	v_cndmask_b32_e32 v5, v5, v51, vcc
	v_cmp_lt_f32_e32 vcc, 0, v50
	s_waitcnt vmcnt(9)
	v_pk_mul_f32 v[6:7], v[10:11], v[52:53]
	v_cndmask_b32_e32 v4, v4, v50, vcc
	v_cmp_lt_f32_e32 vcc, 0, v53
	v_cndmask_b32_e32 v7, v7, v53, vcc
	v_cmp_lt_f32_e32 vcc, 0, v52
	v_pk_mul_f32 v[8:9], v[12:13], v[54:55]
	v_cndmask_b32_e32 v6, v6, v52, vcc
	v_cmp_lt_f32_e32 vcc, 0, v55
	v_cndmask_b32_e32 v9, v9, v55, vcc
	v_cmp_lt_f32_e32 vcc, 0, v54
	s_waitcnt vmcnt(8)
	v_and_b32_e32 v11, 0xffff0000, v14
	v_lshlrev_b32_e32 v10, 16, v14
	v_cndmask_b32_e32 v8, v8, v54, vcc
	s_waitcnt vmcnt(7)
	v_pk_mul_f32 v[12:13], v[18:19], v[10:11]
	v_cmp_lt_f32_e32 vcc, 0, v11
	v_cndmask_b32_e32 v11, v13, v11, vcc
	v_cmp_lt_f32_e32 vcc, 0, v10
	v_cndmask_b32_e32 v10, v12, v10, vcc
	v_and_b32_e32 v13, 0xffff0000, v15
	v_lshlrev_b32_e32 v12, 16, v15
	v_pk_mul_f32 v[14:15], v[20:21], v[12:13]
	v_cmp_lt_f32_e32 vcc, 0, v13
	v_cndmask_b32_e32 v13, v15, v13, vcc
	v_cmp_lt_f32_e32 vcc, 0, v12
	v_cndmask_b32_e32 v12, v14, v12, vcc
	v_and_b32_e32 v15, 0xffff0000, v16
	v_lshlrev_b32_e32 v14, 16, v16
	s_waitcnt vmcnt(6)
	v_pk_mul_f32 v[18:19], v[22:23], v[14:15]
	v_cmp_lt_f32_e32 vcc, 0, v15
	v_cndmask_b32_e32 v15, v19, v15, vcc
	v_cmp_lt_f32_e32 vcc, 0, v14
	v_cndmask_b32_e32 v14, v18, v14, vcc
	v_and_b32_e32 v19, 0xffff0000, v17
	v_lshlrev_b32_e32 v18, 16, v17
	v_pk_mul_f32 v[16:17], v[24:25], v[18:19]
	v_cmp_lt_f32_e32 vcc, 0, v19
	v_cndmask_b32_e32 v17, v17, v19, vcc
	v_cmp_lt_f32_e32 vcc, 0, v18
	v_cndmask_b32_e32 v16, v16, v18, vcc
	s_waitcnt vmcnt(5)
	v_and_b32_e32 v19, 0xffff0000, v26
	v_lshlrev_b32_e32 v18, 16, v26
	s_waitcnt vmcnt(4)
	v_pk_mul_f32 v[20:21], v[30:31], v[18:19]
	v_cmp_lt_f32_e32 vcc, 0, v19
	v_cndmask_b32_e32 v19, v21, v19, vcc
	v_cmp_lt_f32_e32 vcc, 0, v18
	v_cndmask_b32_e32 v18, v20, v18, vcc
	v_and_b32_e32 v21, 0xffff0000, v27
	v_lshlrev_b32_e32 v20, 16, v27
	v_pk_mul_f32 v[22:23], v[32:33], v[20:21]
	v_cmp_lt_f32_e32 vcc, 0, v21
	v_cndmask_b32_e32 v21, v23, v21, vcc
	v_cmp_lt_f32_e32 vcc, 0, v20
	v_cndmask_b32_e32 v20, v22, v20, vcc
	v_and_b32_e32 v23, 0xffff0000, v28
	v_lshlrev_b32_e32 v22, 16, v28
	s_waitcnt vmcnt(3)
	v_pk_mul_f32 v[24:25], v[34:35], v[22:23]
	v_cmp_lt_f32_e32 vcc, 0, v23
	v_cndmask_b32_e32 v23, v25, v23, vcc
	v_cmp_lt_f32_e32 vcc, 0, v22
	v_cndmask_b32_e32 v22, v24, v22, vcc
	v_and_b32_e32 v25, 0xffff0000, v29
	v_lshlrev_b32_e32 v24, 16, v29
	v_pk_mul_f32 v[26:27], v[36:37], v[24:25]
	v_cmp_lt_f32_e32 vcc, 0, v25
	v_cndmask_b32_e32 v25, v27, v25, vcc
	v_cmp_lt_f32_e32 vcc, 0, v24
	v_cndmask_b32_e32 v24, v26, v24, vcc
	s_waitcnt vmcnt(2)
	v_and_b32_e32 v27, 0xffff0000, v38
	v_lshlrev_b32_e32 v26, 16, v38
	s_waitcnt vmcnt(1)
	v_pk_mul_f32 v[28:29], v[42:43], v[26:27]
	v_cmp_lt_f32_e32 vcc, 0, v27
	v_cndmask_b32_e32 v27, v29, v27, vcc
	v_cmp_lt_f32_e32 vcc, 0, v26
	v_cndmask_b32_e32 v26, v28, v26, vcc
	v_and_b32_e32 v29, 0xffff0000, v39
	v_lshlrev_b32_e32 v28, 16, v39
	v_pk_mul_f32 v[30:31], v[44:45], v[28:29]
	v_cmp_lt_f32_e32 vcc, 0, v29
	v_cndmask_b32_e32 v29, v31, v29, vcc
	v_cmp_lt_f32_e32 vcc, 0, v28
	v_cndmask_b32_e32 v28, v30, v28, vcc
	v_and_b32_e32 v31, 0xffff0000, v40
	v_lshlrev_b32_e32 v30, 16, v40
	s_waitcnt vmcnt(0)
	v_pk_mul_f32 v[32:33], v[46:47], v[30:31]
	v_cmp_lt_f32_e32 vcc, 0, v31
	v_cndmask_b32_e32 v31, v33, v31, vcc
	v_cmp_lt_f32_e32 vcc, 0, v30
	v_cndmask_b32_e32 v30, v32, v30, vcc
	v_and_b32_e32 v33, 0xffff0000, v41
	v_lshlrev_b32_e32 v32, 16, v41
	v_pk_mul_f32 v[34:35], v[48:49], v[32:33]
	v_cmp_lt_f32_e32 vcc, 0, v33
	v_cndmask_b32_e32 v33, v35, v33, vcc
	v_cmp_lt_f32_e32 vcc, 0, v32
	v_cndmask_b32_e32 v32, v34, v32, vcc
	global_store_dwordx4 v56, v[2:5], s[8:9]
	global_store_dwordx4 v56, v[6:9], s[8:9] offset:16
	v_add_co_u32_e32 v2, vcc, s20, v58
	v_addc_co_u32_e32 v3, vcc, 0, v1, vcc
	global_store_dwordx4 v[2:3], v[10:13], off
	global_store_dwordx4 v[2:3], v[14:17], off offset:16
	global_store_dwordx4 v57, v[18:21], s[8:9]
	global_store_dwordx4 v57, v[22:25], s[8:9] offset:16
	v_add_co_u32_e32 v2, vcc, 0xc000, v58
	v_addc_co_u32_e32 v3, vcc, 0, v1, vcc
	global_store_dwordx4 v[2:3], v[26:29], off
	global_store_dwordx4 v[2:3], v[30:33], off offset:16
	s_cbranch_execnz .LBB18_2
.LBB18_4:
	s_load_dword s10, s[4:5], 0x24
	s_load_dwordx4 s[20:23], s[4:5], 0x28
	s_add_u32 s8, s4, 56
	s_addc_u32 s9, s5, 0
	v_mov_b32_e32 v31, v0
	s_waitcnt lgkmcnt(0)
	v_lshrrev_b16_e64 v8, 8, s10
	v_mov_b32_e32 v0, s16
	v_mov_b32_e32 v1, s17
	;; [unrolled: 1-line block ×12, first 2 shown]
	s_getpc_b64 s[4:5]
	s_add_u32 s4, s4, _ZN2at6native25elementwise_kernel_helperILb1EZZZNS0_12prelu_kernelERNS_14TensorIteratorEENKUlvE_clEvENKUlvE0_clEvEUlffE_NS0_6memory8policies11unroll_baseILi512ESt5arrayIPcLm3EE23TrivialOffsetCalculatorILi2EjESD_ILi1EjENS7_12LoadWithCastILi2EEENS7_13StoreWithCastILi1EEELi32ELi1EEEEEvT0_T1_@rel32@lo+4
	s_addc_u32 s5, s5, _ZN2at6native25elementwise_kernel_helperILb1EZZZNS0_12prelu_kernelERNS_14TensorIteratorEENKUlvE_clEvENKUlvE0_clEvEUlffE_NS0_6memory8policies11unroll_baseILi512ESt5arrayIPcLm3EE23TrivialOffsetCalculatorILi2EjESD_ILi1EjENS7_12LoadWithCastILi2EEENS7_13StoreWithCastILi1EEELi32ELi1EEEEEvT0_T1_@rel32@hi+12
	s_swappc_b64 s[30:31], s[4:5]
	s_endpgm
	.section	.rodata,"a",@progbits
	.p2align	6, 0x0
	.amdhsa_kernel _ZN2at6native39vectorized_templated_elementwise_kernelILi8EZZZNS0_12prelu_kernelERNS_14TensorIteratorEENKUlvE_clEvENKUlvE0_clEvEUlffE_St5arrayIPcLm3EE23TrivialOffsetCalculatorILi2EjESA_ILi1EjENS0_6memory12LoadWithCastILi2EEENSD_13StoreWithCastILi1EEEfJN3c108BFloat16EfEEEviT0_T1_T2_T3_T4_T5_
		.amdhsa_group_segment_fixed_size 0
		.amdhsa_private_segment_fixed_size 288
		.amdhsa_kernarg_size 312
		.amdhsa_user_sgpr_count 8
		.amdhsa_user_sgpr_private_segment_buffer 1
		.amdhsa_user_sgpr_dispatch_ptr 0
		.amdhsa_user_sgpr_queue_ptr 0
		.amdhsa_user_sgpr_kernarg_segment_ptr 1
		.amdhsa_user_sgpr_dispatch_id 0
		.amdhsa_user_sgpr_flat_scratch_init 1
		.amdhsa_user_sgpr_kernarg_preload_length 0
		.amdhsa_user_sgpr_kernarg_preload_offset 0
		.amdhsa_user_sgpr_private_segment_size 0
		.amdhsa_uses_dynamic_stack 0
		.amdhsa_system_sgpr_private_segment_wavefront_offset 1
		.amdhsa_system_sgpr_workgroup_id_x 1
		.amdhsa_system_sgpr_workgroup_id_y 0
		.amdhsa_system_sgpr_workgroup_id_z 0
		.amdhsa_system_sgpr_workgroup_info 0
		.amdhsa_system_vgpr_workitem_id 0
		.amdhsa_next_free_vgpr 118
		.amdhsa_next_free_sgpr 98
		.amdhsa_accum_offset 120
		.amdhsa_reserve_vcc 1
		.amdhsa_reserve_flat_scratch 1
		.amdhsa_float_round_mode_32 0
		.amdhsa_float_round_mode_16_64 0
		.amdhsa_float_denorm_mode_32 3
		.amdhsa_float_denorm_mode_16_64 3
		.amdhsa_dx10_clamp 1
		.amdhsa_ieee_mode 1
		.amdhsa_fp16_overflow 0
		.amdhsa_tg_split 0
		.amdhsa_exception_fp_ieee_invalid_op 0
		.amdhsa_exception_fp_denorm_src 0
		.amdhsa_exception_fp_ieee_div_zero 0
		.amdhsa_exception_fp_ieee_overflow 0
		.amdhsa_exception_fp_ieee_underflow 0
		.amdhsa_exception_fp_ieee_inexact 0
		.amdhsa_exception_int_div_zero 0
	.end_amdhsa_kernel
	.section	.text._ZN2at6native39vectorized_templated_elementwise_kernelILi8EZZZNS0_12prelu_kernelERNS_14TensorIteratorEENKUlvE_clEvENKUlvE0_clEvEUlffE_St5arrayIPcLm3EE23TrivialOffsetCalculatorILi2EjESA_ILi1EjENS0_6memory12LoadWithCastILi2EEENSD_13StoreWithCastILi1EEEfJN3c108BFloat16EfEEEviT0_T1_T2_T3_T4_T5_,"axG",@progbits,_ZN2at6native39vectorized_templated_elementwise_kernelILi8EZZZNS0_12prelu_kernelERNS_14TensorIteratorEENKUlvE_clEvENKUlvE0_clEvEUlffE_St5arrayIPcLm3EE23TrivialOffsetCalculatorILi2EjESA_ILi1EjENS0_6memory12LoadWithCastILi2EEENSD_13StoreWithCastILi1EEEfJN3c108BFloat16EfEEEviT0_T1_T2_T3_T4_T5_,comdat
.Lfunc_end18:
	.size	_ZN2at6native39vectorized_templated_elementwise_kernelILi8EZZZNS0_12prelu_kernelERNS_14TensorIteratorEENKUlvE_clEvENKUlvE0_clEvEUlffE_St5arrayIPcLm3EE23TrivialOffsetCalculatorILi2EjESA_ILi1EjENS0_6memory12LoadWithCastILi2EEENSD_13StoreWithCastILi1EEEfJN3c108BFloat16EfEEEviT0_T1_T2_T3_T4_T5_, .Lfunc_end18-_ZN2at6native39vectorized_templated_elementwise_kernelILi8EZZZNS0_12prelu_kernelERNS_14TensorIteratorEENKUlvE_clEvENKUlvE0_clEvEUlffE_St5arrayIPcLm3EE23TrivialOffsetCalculatorILi2EjESA_ILi1EjENS0_6memory12LoadWithCastILi2EEENSD_13StoreWithCastILi1EEEfJN3c108BFloat16EfEEEviT0_T1_T2_T3_T4_T5_
                                        ; -- End function
	.section	.AMDGPU.csdata,"",@progbits
; Kernel info:
; codeLenInByte = 1172
; NumSgprs: 104
; NumVgprs: 118
; NumAgprs: 0
; TotalNumVgprs: 118
; ScratchSize: 288
; MemoryBound: 0
; FloatMode: 240
; IeeeMode: 1
; LDSByteSize: 0 bytes/workgroup (compile time only)
; SGPRBlocks: 12
; VGPRBlocks: 14
; NumSGPRsForWavesPerEU: 104
; NumVGPRsForWavesPerEU: 118
; AccumOffset: 120
; Occupancy: 4
; WaveLimiterHint : 0
; COMPUTE_PGM_RSRC2:SCRATCH_EN: 1
; COMPUTE_PGM_RSRC2:USER_SGPR: 8
; COMPUTE_PGM_RSRC2:TRAP_HANDLER: 0
; COMPUTE_PGM_RSRC2:TGID_X_EN: 1
; COMPUTE_PGM_RSRC2:TGID_Y_EN: 0
; COMPUTE_PGM_RSRC2:TGID_Z_EN: 0
; COMPUTE_PGM_RSRC2:TIDIG_COMP_CNT: 0
; COMPUTE_PGM_RSRC3_GFX90A:ACCUM_OFFSET: 29
; COMPUTE_PGM_RSRC3_GFX90A:TG_SPLIT: 0
	.section	.text._ZN2at6native39vectorized_templated_elementwise_kernelILi4EZZZNS0_12prelu_kernelERNS_14TensorIteratorEENKUlvE_clEvENKUlvE0_clEvEUlffE_St5arrayIPcLm3EE23TrivialOffsetCalculatorILi2EjESA_ILi1EjENS0_6memory12LoadWithCastILi2EEENSD_13StoreWithCastILi1EEEfJN3c108BFloat16EfEEEviT0_T1_T2_T3_T4_T5_,"axG",@progbits,_ZN2at6native39vectorized_templated_elementwise_kernelILi4EZZZNS0_12prelu_kernelERNS_14TensorIteratorEENKUlvE_clEvENKUlvE0_clEvEUlffE_St5arrayIPcLm3EE23TrivialOffsetCalculatorILi2EjESA_ILi1EjENS0_6memory12LoadWithCastILi2EEENSD_13StoreWithCastILi1EEEfJN3c108BFloat16EfEEEviT0_T1_T2_T3_T4_T5_,comdat
	.globl	_ZN2at6native39vectorized_templated_elementwise_kernelILi4EZZZNS0_12prelu_kernelERNS_14TensorIteratorEENKUlvE_clEvENKUlvE0_clEvEUlffE_St5arrayIPcLm3EE23TrivialOffsetCalculatorILi2EjESA_ILi1EjENS0_6memory12LoadWithCastILi2EEENSD_13StoreWithCastILi1EEEfJN3c108BFloat16EfEEEviT0_T1_T2_T3_T4_T5_ ; -- Begin function _ZN2at6native39vectorized_templated_elementwise_kernelILi4EZZZNS0_12prelu_kernelERNS_14TensorIteratorEENKUlvE_clEvENKUlvE0_clEvEUlffE_St5arrayIPcLm3EE23TrivialOffsetCalculatorILi2EjESA_ILi1EjENS0_6memory12LoadWithCastILi2EEENSD_13StoreWithCastILi1EEEfJN3c108BFloat16EfEEEviT0_T1_T2_T3_T4_T5_
	.p2align	8
	.type	_ZN2at6native39vectorized_templated_elementwise_kernelILi4EZZZNS0_12prelu_kernelERNS_14TensorIteratorEENKUlvE_clEvENKUlvE0_clEvEUlffE_St5arrayIPcLm3EE23TrivialOffsetCalculatorILi2EjESA_ILi1EjENS0_6memory12LoadWithCastILi2EEENSD_13StoreWithCastILi1EEEfJN3c108BFloat16EfEEEviT0_T1_T2_T3_T4_T5_,@function
_ZN2at6native39vectorized_templated_elementwise_kernelILi4EZZZNS0_12prelu_kernelERNS_14TensorIteratorEENKUlvE_clEvENKUlvE0_clEvEUlffE_St5arrayIPcLm3EE23TrivialOffsetCalculatorILi2EjESA_ILi1EjENS0_6memory12LoadWithCastILi2EEENSD_13StoreWithCastILi1EEEfJN3c108BFloat16EfEEEviT0_T1_T2_T3_T4_T5_: ; @_ZN2at6native39vectorized_templated_elementwise_kernelILi4EZZZNS0_12prelu_kernelERNS_14TensorIteratorEENKUlvE_clEvENKUlvE0_clEvEUlffE_St5arrayIPcLm3EE23TrivialOffsetCalculatorILi2EjESA_ILi1EjENS0_6memory12LoadWithCastILi2EEENSD_13StoreWithCastILi1EEEfJN3c108BFloat16EfEEEviT0_T1_T2_T3_T4_T5_
; %bb.0:
	s_add_u32 flat_scratch_lo, s6, s9
	s_addc_u32 flat_scratch_hi, s7, 0
	s_add_u32 s0, s0, s9
	s_mov_b32 s12, s8
	s_load_dword s8, s[4:5], 0x38
	s_load_dwordx2 s[6:7], s[4:5], 0x18
	s_load_dword s9, s[4:5], 0x0
	s_load_dwordx4 s[16:19], s[4:5], 0x8
	s_addc_u32 s1, s1, 0
	s_not_b32 s10, s12
	s_waitcnt lgkmcnt(0)
	s_add_i32 s8, s8, s10
	s_lshl_b32 s8, s8, 14
	s_sub_i32 s13, s9, s8
	s_cmpk_gt_i32 s13, 0x3fff
	s_mov_b64 s[10:11], -1
	s_mov_b32 s32, 0
	s_cbranch_scc1 .LBB19_3
; %bb.1:
	s_andn2_b64 vcc, exec, s[10:11]
	s_cbranch_vccz .LBB19_4
.LBB19_2:
	s_endpgm
.LBB19_3:
	s_ashr_i32 s9, s8, 31
	s_lshl_b64 s[10:11], s[8:9], 1
	s_add_u32 s10, s18, s10
	s_addc_u32 s11, s19, s11
	v_lshlrev_b32_e32 v1, 3, v0
	v_mov_b32_e32 v2, s11
	v_add_co_u32_e32 v32, vcc, s10, v1
	v_addc_co_u32_e32 v33, vcc, 0, v2, vcc
	s_movk_i32 s14, 0x1000
	global_load_dwordx2 v[18:19], v1, s[10:11]
	v_add_co_u32_e32 v2, vcc, s14, v32
	v_or_b32_e32 v1, 0x800, v0
	v_addc_co_u32_e32 v3, vcc, 0, v33, vcc
	v_lshlrev_b32_e32 v4, 3, v1
	v_or_b32_e32 v10, 0x400, v0
	s_movk_i32 s14, 0x3000
	global_load_dwordx2 v[20:21], v4, s[10:11]
	v_lshlrev_b32_e32 v4, 3, v10
	global_load_dwordx2 v[22:23], v[2:3], off
	global_load_dwordx2 v[24:25], v4, s[10:11]
	v_add_co_u32_e32 v2, vcc, s14, v32
	v_addc_co_u32_e32 v3, vcc, 0, v33, vcc
	s_movk_i32 s14, 0x5000
	global_load_dwordx2 v[26:27], v[2:3], off
	v_add_co_u32_e32 v2, vcc, s14, v32
	v_addc_co_u32_e32 v3, vcc, 0, v33, vcc
	v_or_b32_e32 v56, 0xc00, v0
	global_load_dwordx2 v[28:29], v[2:3], off
	v_lshlrev_b32_e32 v2, 3, v56
	s_lshl_b64 s[8:9], s[8:9], 2
	global_load_dwordx2 v[30:31], v2, s[10:11]
	s_add_u32 s10, s6, s8
	s_addc_u32 s11, s7, s9
	v_lshlrev_b32_e32 v57, 4, v0
	v_mov_b32_e32 v6, s11
	global_load_dwordx4 v[2:5], v57, s[10:11]
	v_add_co_u32_e32 v58, vcc, s10, v57
	v_addc_co_u32_e32 v59, vcc, 0, v6, vcc
	s_movk_i32 s14, 0x2000
	v_add_co_u32_e32 v6, vcc, s14, v58
	v_addc_co_u32_e32 v7, vcc, 0, v59, vcc
	global_load_dwordx4 v[6:9], v[6:7], off
	v_lshlrev_b32_e32 v60, 4, v10
	global_load_dwordx4 v[10:13], v60, s[10:11]
	s_movk_i32 s15, 0x6000
	v_add_co_u32_e32 v14, vcc, s15, v58
	v_addc_co_u32_e32 v15, vcc, 0, v59, vcc
	global_load_dwordx4 v[14:17], v[14:15], off
	s_movk_i32 s20, 0x7000
	v_add_co_u32_e32 v32, vcc, s20, v32
	v_addc_co_u32_e32 v33, vcc, 0, v33, vcc
	global_load_dwordx2 v[32:33], v[32:33], off
	v_lshlrev_b32_e32 v1, 4, v1
	s_mov_b32 s20, 0xa000
	v_lshlrev_b32_e32 v56, 4, v56
	s_add_u32 s8, s16, s8
	s_addc_u32 s9, s17, s9
	s_waitcnt vmcnt(11)
	v_lshlrev_b32_e32 v34, 16, v18
	v_and_b32_e32 v35, 0xffff0000, v18
	v_cmp_lt_f32_e32 vcc, 0, v35
	v_lshlrev_b32_e32 v18, 16, v19
	v_and_b32_e32 v19, 0xffff0000, v19
	s_waitcnt vmcnt(10)
	v_lshlrev_b32_e32 v36, 16, v20
	v_and_b32_e32 v37, 0xffff0000, v20
	v_lshlrev_b32_e32 v38, 16, v21
	v_and_b32_e32 v39, 0xffff0000, v21
	s_waitcnt vmcnt(9)
	v_lshlrev_b32_e32 v20, 16, v22
	v_and_b32_e32 v21, 0xffff0000, v22
	;; [unrolled: 5-line block ×5, first 2 shown]
	v_lshlrev_b32_e32 v50, 16, v29
	v_and_b32_e32 v51, 0xffff0000, v29
	global_load_dwordx4 v[26:29], v56, s[10:11]
	s_waitcnt vmcnt(6)
	v_lshlrev_b32_e32 v52, 16, v30
	s_waitcnt vmcnt(5)
	v_pk_mul_f32 v[2:3], v[2:3], v[34:35]
	v_cndmask_b32_e32 v3, v3, v35, vcc
	v_cmp_lt_f32_e32 vcc, 0, v34
	v_cndmask_b32_e32 v2, v2, v34, vcc
	v_pk_mul_f32 v[4:5], v[4:5], v[18:19]
	v_cmp_lt_f32_e32 vcc, 0, v19
	v_cndmask_b32_e32 v5, v5, v19, vcc
	v_cmp_lt_f32_e32 vcc, 0, v18
	v_cndmask_b32_e32 v4, v4, v18, vcc
	v_cmp_lt_f32_e32 vcc, 0, v21
	s_waitcnt vmcnt(4)
	v_pk_mul_f32 v[6:7], v[6:7], v[20:21]
	v_cndmask_b32_e32 v7, v7, v21, vcc
	v_cmp_lt_f32_e32 vcc, 0, v20
	v_cndmask_b32_e32 v6, v6, v20, vcc
	v_pk_mul_f32 v[8:9], v[8:9], v[22:23]
	v_cmp_lt_f32_e32 vcc, 0, v23
	global_load_dwordx4 v[18:21], v1, s[10:11]
	v_cndmask_b32_e32 v9, v9, v23, vcc
	v_cmp_lt_f32_e32 vcc, 0, v22
	v_cndmask_b32_e32 v8, v8, v22, vcc
	s_waitcnt vmcnt(4)
	v_pk_mul_f32 v[10:11], v[10:11], v[40:41]
	v_cmp_lt_f32_e32 vcc, 0, v41
	v_cndmask_b32_e32 v11, v11, v41, vcc
	v_cmp_lt_f32_e32 vcc, 0, v40
	v_cndmask_b32_e32 v10, v10, v40, vcc
	v_add_co_u32_e32 v22, vcc, s20, v58
	v_addc_co_u32_e32 v23, vcc, 0, v59, vcc
	global_load_dwordx4 v[22:25], v[22:23], off
	v_pk_mul_f32 v[12:13], v[12:13], v[42:43]
	v_cmp_lt_f32_e32 vcc, 0, v43
	v_cndmask_b32_e32 v13, v13, v43, vcc
	v_cmp_lt_f32_e32 vcc, 0, v42
	v_cndmask_b32_e32 v12, v12, v42, vcc
	s_waitcnt vmcnt(4)
	v_pk_mul_f32 v[14:15], v[14:15], v[44:45]
	v_cmp_lt_f32_e32 vcc, 0, v45
	v_cndmask_b32_e32 v15, v15, v45, vcc
	v_cmp_lt_f32_e32 vcc, 0, v44
	s_mov_b32 s10, 0xe000
	v_and_b32_e32 v53, 0xffff0000, v30
	v_cndmask_b32_e32 v14, v14, v44, vcc
	v_add_co_u32_e32 v30, vcc, s10, v58
	v_lshlrev_b32_e32 v54, 16, v31
	v_and_b32_e32 v55, 0xffff0000, v31
	v_addc_co_u32_e32 v31, vcc, 0, v59, vcc
	s_waitcnt vmcnt(3)
	v_lshlrev_b32_e32 v34, 16, v32
	v_and_b32_e32 v35, 0xffff0000, v32
	v_lshlrev_b32_e32 v40, 16, v33
	v_and_b32_e32 v41, 0xffff0000, v33
	global_load_dwordx4 v[30:33], v[30:31], off
	v_pk_mul_f32 v[16:17], v[16:17], v[46:47]
	v_cmp_lt_f32_e32 vcc, 0, v47
	v_cndmask_b32_e32 v17, v17, v47, vcc
	v_cmp_lt_f32_e32 vcc, 0, v46
	v_cndmask_b32_e32 v16, v16, v46, vcc
	v_cmp_lt_f32_e32 vcc, 0, v37
	v_mov_b32_e32 v42, s9
	global_store_dwordx4 v57, v[2:5], s[8:9]
	s_waitcnt vmcnt(4)
	v_pk_mul_f32 v[26:27], v[26:27], v[52:53]
	v_pk_mul_f32 v[28:29], v[28:29], v[54:55]
	s_waitcnt vmcnt(3)
	v_pk_mul_f32 v[18:19], v[18:19], v[36:37]
	v_cndmask_b32_e32 v19, v19, v37, vcc
	v_cmp_lt_f32_e32 vcc, 0, v36
	v_cndmask_b32_e32 v18, v18, v36, vcc
	v_add_co_u32_e32 v36, vcc, s8, v57
	v_addc_co_u32_e32 v37, vcc, 0, v42, vcc
	v_pk_mul_f32 v[20:21], v[20:21], v[38:39]
	v_cmp_lt_f32_e32 vcc, 0, v39
	v_cndmask_b32_e32 v21, v21, v39, vcc
	v_cmp_lt_f32_e32 vcc, 0, v38
	v_cndmask_b32_e32 v20, v20, v38, vcc
	s_waitcnt vmcnt(2)
	v_pk_mul_f32 v[22:23], v[22:23], v[48:49]
	v_cmp_lt_f32_e32 vcc, 0, v49
	v_cndmask_b32_e32 v23, v23, v49, vcc
	v_cmp_lt_f32_e32 vcc, 0, v48
	v_cndmask_b32_e32 v22, v22, v48, vcc
	v_pk_mul_f32 v[24:25], v[24:25], v[50:51]
	v_cmp_lt_f32_e32 vcc, 0, v51
	v_cndmask_b32_e32 v25, v25, v51, vcc
	v_cmp_lt_f32_e32 vcc, 0, v50
	v_cndmask_b32_e32 v24, v24, v50, vcc
	;; [unrolled: 2-line block ×6, first 2 shown]
	v_cmp_lt_f32_e32 vcc, 0, v35
	s_waitcnt vmcnt(1)
	v_pk_mul_f32 v[30:31], v[30:31], v[34:35]
	v_cndmask_b32_e32 v31, v31, v35, vcc
	v_cmp_lt_f32_e32 vcc, 0, v34
	v_cndmask_b32_e32 v30, v30, v34, vcc
	v_pk_mul_f32 v[32:33], v[32:33], v[40:41]
	v_cmp_lt_f32_e32 vcc, 0, v41
	v_cndmask_b32_e32 v33, v33, v41, vcc
	v_cmp_lt_f32_e32 vcc, 0, v40
	v_cndmask_b32_e32 v32, v32, v40, vcc
	v_add_co_u32_e32 v2, vcc, s14, v36
	v_addc_co_u32_e32 v3, vcc, 0, v37, vcc
	global_store_dwordx4 v[2:3], v[6:9], off
	global_store_dwordx4 v60, v[10:13], s[8:9]
	v_add_co_u32_e32 v2, vcc, s15, v36
	v_addc_co_u32_e32 v3, vcc, 0, v37, vcc
	global_store_dwordx4 v[2:3], v[14:17], off
	global_store_dwordx4 v1, v[18:21], s[8:9]
	;; [unrolled: 4-line block ×3, first 2 shown]
	v_add_co_u32_e32 v2, vcc, 0xe000, v36
	v_addc_co_u32_e32 v3, vcc, 0, v37, vcc
	global_store_dwordx4 v[2:3], v[30:33], off
	s_cbranch_execnz .LBB19_2
.LBB19_4:
	s_load_dword s10, s[4:5], 0x24
	s_load_dwordx4 s[20:23], s[4:5], 0x28
	s_add_u32 s8, s4, 56
	s_addc_u32 s9, s5, 0
	v_mov_b32_e32 v31, v0
	s_waitcnt lgkmcnt(0)
	v_lshrrev_b16_e64 v8, 8, s10
	v_mov_b32_e32 v0, s16
	v_mov_b32_e32 v1, s17
	;; [unrolled: 1-line block ×12, first 2 shown]
	s_getpc_b64 s[4:5]
	s_add_u32 s4, s4, _ZN2at6native25elementwise_kernel_helperILb1EZZZNS0_12prelu_kernelERNS_14TensorIteratorEENKUlvE_clEvENKUlvE0_clEvEUlffE_NS0_6memory8policies11unroll_baseILi512ESt5arrayIPcLm3EE23TrivialOffsetCalculatorILi2EjESD_ILi1EjENS7_12LoadWithCastILi2EEENS7_13StoreWithCastILi1EEELi32ELi1EEEEEvT0_T1_@rel32@lo+4
	s_addc_u32 s5, s5, _ZN2at6native25elementwise_kernel_helperILb1EZZZNS0_12prelu_kernelERNS_14TensorIteratorEENKUlvE_clEvENKUlvE0_clEvEUlffE_NS0_6memory8policies11unroll_baseILi512ESt5arrayIPcLm3EE23TrivialOffsetCalculatorILi2EjESD_ILi1EjENS7_12LoadWithCastILi2EEENS7_13StoreWithCastILi1EEELi32ELi1EEEEEvT0_T1_@rel32@hi+12
	s_swappc_b64 s[30:31], s[4:5]
	s_endpgm
	.section	.rodata,"a",@progbits
	.p2align	6, 0x0
	.amdhsa_kernel _ZN2at6native39vectorized_templated_elementwise_kernelILi4EZZZNS0_12prelu_kernelERNS_14TensorIteratorEENKUlvE_clEvENKUlvE0_clEvEUlffE_St5arrayIPcLm3EE23TrivialOffsetCalculatorILi2EjESA_ILi1EjENS0_6memory12LoadWithCastILi2EEENSD_13StoreWithCastILi1EEEfJN3c108BFloat16EfEEEviT0_T1_T2_T3_T4_T5_
		.amdhsa_group_segment_fixed_size 0
		.amdhsa_private_segment_fixed_size 288
		.amdhsa_kernarg_size 312
		.amdhsa_user_sgpr_count 8
		.amdhsa_user_sgpr_private_segment_buffer 1
		.amdhsa_user_sgpr_dispatch_ptr 0
		.amdhsa_user_sgpr_queue_ptr 0
		.amdhsa_user_sgpr_kernarg_segment_ptr 1
		.amdhsa_user_sgpr_dispatch_id 0
		.amdhsa_user_sgpr_flat_scratch_init 1
		.amdhsa_user_sgpr_kernarg_preload_length 0
		.amdhsa_user_sgpr_kernarg_preload_offset 0
		.amdhsa_user_sgpr_private_segment_size 0
		.amdhsa_uses_dynamic_stack 0
		.amdhsa_system_sgpr_private_segment_wavefront_offset 1
		.amdhsa_system_sgpr_workgroup_id_x 1
		.amdhsa_system_sgpr_workgroup_id_y 0
		.amdhsa_system_sgpr_workgroup_id_z 0
		.amdhsa_system_sgpr_workgroup_info 0
		.amdhsa_system_vgpr_workitem_id 0
		.amdhsa_next_free_vgpr 118
		.amdhsa_next_free_sgpr 98
		.amdhsa_accum_offset 120
		.amdhsa_reserve_vcc 1
		.amdhsa_reserve_flat_scratch 1
		.amdhsa_float_round_mode_32 0
		.amdhsa_float_round_mode_16_64 0
		.amdhsa_float_denorm_mode_32 3
		.amdhsa_float_denorm_mode_16_64 3
		.amdhsa_dx10_clamp 1
		.amdhsa_ieee_mode 1
		.amdhsa_fp16_overflow 0
		.amdhsa_tg_split 0
		.amdhsa_exception_fp_ieee_invalid_op 0
		.amdhsa_exception_fp_denorm_src 0
		.amdhsa_exception_fp_ieee_div_zero 0
		.amdhsa_exception_fp_ieee_overflow 0
		.amdhsa_exception_fp_ieee_underflow 0
		.amdhsa_exception_fp_ieee_inexact 0
		.amdhsa_exception_int_div_zero 0
	.end_amdhsa_kernel
	.section	.text._ZN2at6native39vectorized_templated_elementwise_kernelILi4EZZZNS0_12prelu_kernelERNS_14TensorIteratorEENKUlvE_clEvENKUlvE0_clEvEUlffE_St5arrayIPcLm3EE23TrivialOffsetCalculatorILi2EjESA_ILi1EjENS0_6memory12LoadWithCastILi2EEENSD_13StoreWithCastILi1EEEfJN3c108BFloat16EfEEEviT0_T1_T2_T3_T4_T5_,"axG",@progbits,_ZN2at6native39vectorized_templated_elementwise_kernelILi4EZZZNS0_12prelu_kernelERNS_14TensorIteratorEENKUlvE_clEvENKUlvE0_clEvEUlffE_St5arrayIPcLm3EE23TrivialOffsetCalculatorILi2EjESA_ILi1EjENS0_6memory12LoadWithCastILi2EEENSD_13StoreWithCastILi1EEEfJN3c108BFloat16EfEEEviT0_T1_T2_T3_T4_T5_,comdat
.Lfunc_end19:
	.size	_ZN2at6native39vectorized_templated_elementwise_kernelILi4EZZZNS0_12prelu_kernelERNS_14TensorIteratorEENKUlvE_clEvENKUlvE0_clEvEUlffE_St5arrayIPcLm3EE23TrivialOffsetCalculatorILi2EjESA_ILi1EjENS0_6memory12LoadWithCastILi2EEENSD_13StoreWithCastILi1EEEfJN3c108BFloat16EfEEEviT0_T1_T2_T3_T4_T5_, .Lfunc_end19-_ZN2at6native39vectorized_templated_elementwise_kernelILi4EZZZNS0_12prelu_kernelERNS_14TensorIteratorEENKUlvE_clEvENKUlvE0_clEvEUlffE_St5arrayIPcLm3EE23TrivialOffsetCalculatorILi2EjESA_ILi1EjENS0_6memory12LoadWithCastILi2EEENSD_13StoreWithCastILi1EEEfJN3c108BFloat16EfEEEviT0_T1_T2_T3_T4_T5_
                                        ; -- End function
	.section	.AMDGPU.csdata,"",@progbits
; Kernel info:
; codeLenInByte = 1324
; NumSgprs: 104
; NumVgprs: 118
; NumAgprs: 0
; TotalNumVgprs: 118
; ScratchSize: 288
; MemoryBound: 0
; FloatMode: 240
; IeeeMode: 1
; LDSByteSize: 0 bytes/workgroup (compile time only)
; SGPRBlocks: 12
; VGPRBlocks: 14
; NumSGPRsForWavesPerEU: 104
; NumVGPRsForWavesPerEU: 118
; AccumOffset: 120
; Occupancy: 4
; WaveLimiterHint : 0
; COMPUTE_PGM_RSRC2:SCRATCH_EN: 1
; COMPUTE_PGM_RSRC2:USER_SGPR: 8
; COMPUTE_PGM_RSRC2:TRAP_HANDLER: 0
; COMPUTE_PGM_RSRC2:TGID_X_EN: 1
; COMPUTE_PGM_RSRC2:TGID_Y_EN: 0
; COMPUTE_PGM_RSRC2:TGID_Z_EN: 0
; COMPUTE_PGM_RSRC2:TIDIG_COMP_CNT: 0
; COMPUTE_PGM_RSRC3_GFX90A:ACCUM_OFFSET: 29
; COMPUTE_PGM_RSRC3_GFX90A:TG_SPLIT: 0
	.section	.text._ZN2at6native39vectorized_templated_elementwise_kernelILi2EZZZNS0_12prelu_kernelERNS_14TensorIteratorEENKUlvE_clEvENKUlvE0_clEvEUlffE_St5arrayIPcLm3EE23TrivialOffsetCalculatorILi2EjESA_ILi1EjENS0_6memory12LoadWithCastILi2EEENSD_13StoreWithCastILi1EEEfJN3c108BFloat16EfEEEviT0_T1_T2_T3_T4_T5_,"axG",@progbits,_ZN2at6native39vectorized_templated_elementwise_kernelILi2EZZZNS0_12prelu_kernelERNS_14TensorIteratorEENKUlvE_clEvENKUlvE0_clEvEUlffE_St5arrayIPcLm3EE23TrivialOffsetCalculatorILi2EjESA_ILi1EjENS0_6memory12LoadWithCastILi2EEENSD_13StoreWithCastILi1EEEfJN3c108BFloat16EfEEEviT0_T1_T2_T3_T4_T5_,comdat
	.globl	_ZN2at6native39vectorized_templated_elementwise_kernelILi2EZZZNS0_12prelu_kernelERNS_14TensorIteratorEENKUlvE_clEvENKUlvE0_clEvEUlffE_St5arrayIPcLm3EE23TrivialOffsetCalculatorILi2EjESA_ILi1EjENS0_6memory12LoadWithCastILi2EEENSD_13StoreWithCastILi1EEEfJN3c108BFloat16EfEEEviT0_T1_T2_T3_T4_T5_ ; -- Begin function _ZN2at6native39vectorized_templated_elementwise_kernelILi2EZZZNS0_12prelu_kernelERNS_14TensorIteratorEENKUlvE_clEvENKUlvE0_clEvEUlffE_St5arrayIPcLm3EE23TrivialOffsetCalculatorILi2EjESA_ILi1EjENS0_6memory12LoadWithCastILi2EEENSD_13StoreWithCastILi1EEEfJN3c108BFloat16EfEEEviT0_T1_T2_T3_T4_T5_
	.p2align	8
	.type	_ZN2at6native39vectorized_templated_elementwise_kernelILi2EZZZNS0_12prelu_kernelERNS_14TensorIteratorEENKUlvE_clEvENKUlvE0_clEvEUlffE_St5arrayIPcLm3EE23TrivialOffsetCalculatorILi2EjESA_ILi1EjENS0_6memory12LoadWithCastILi2EEENSD_13StoreWithCastILi1EEEfJN3c108BFloat16EfEEEviT0_T1_T2_T3_T4_T5_,@function
_ZN2at6native39vectorized_templated_elementwise_kernelILi2EZZZNS0_12prelu_kernelERNS_14TensorIteratorEENKUlvE_clEvENKUlvE0_clEvEUlffE_St5arrayIPcLm3EE23TrivialOffsetCalculatorILi2EjESA_ILi1EjENS0_6memory12LoadWithCastILi2EEENSD_13StoreWithCastILi1EEEfJN3c108BFloat16EfEEEviT0_T1_T2_T3_T4_T5_: ; @_ZN2at6native39vectorized_templated_elementwise_kernelILi2EZZZNS0_12prelu_kernelERNS_14TensorIteratorEENKUlvE_clEvENKUlvE0_clEvEUlffE_St5arrayIPcLm3EE23TrivialOffsetCalculatorILi2EjESA_ILi1EjENS0_6memory12LoadWithCastILi2EEENSD_13StoreWithCastILi1EEEfJN3c108BFloat16EfEEEviT0_T1_T2_T3_T4_T5_
; %bb.0:
	s_add_u32 flat_scratch_lo, s6, s9
	s_addc_u32 flat_scratch_hi, s7, 0
	s_add_u32 s0, s0, s9
	s_mov_b32 s12, s8
	s_load_dword s8, s[4:5], 0x38
	s_load_dwordx2 s[6:7], s[4:5], 0x18
	s_load_dword s9, s[4:5], 0x0
	s_load_dwordx4 s[16:19], s[4:5], 0x8
	s_addc_u32 s1, s1, 0
	s_not_b32 s10, s12
	s_waitcnt lgkmcnt(0)
	s_add_i32 s8, s8, s10
	s_lshl_b32 s8, s8, 14
	s_sub_i32 s13, s9, s8
	s_cmpk_gt_i32 s13, 0x3fff
	s_mov_b64 s[10:11], -1
	s_mov_b32 s32, 0
	s_cbranch_scc1 .LBB20_3
; %bb.1:
	s_andn2_b64 vcc, exec, s[10:11]
	s_cbranch_vccz .LBB20_4
.LBB20_2:
	s_endpgm
.LBB20_3:
	s_ashr_i32 s9, s8, 31
	s_lshl_b64 s[10:11], s[8:9], 1
	s_add_u32 s10, s18, s10
	s_addc_u32 s11, s19, s11
	v_lshlrev_b32_e32 v1, 2, v0
	v_mov_b32_e32 v2, s11
	v_add_co_u32_e32 v26, vcc, s10, v1
	v_addc_co_u32_e32 v33, vcc, 0, v2, vcc
	s_movk_i32 s20, 0x1000
	v_add_co_u32_e32 v2, vcc, s20, v26
	global_load_dword v12, v1, s[10:11]
	v_addc_co_u32_e32 v3, vcc, 0, v33, vcc
	global_load_dword v1, v1, s[10:11] offset:2048
	s_movk_i32 s14, 0x2000
	v_or_b32_e32 v6, 0x400, v0
	v_add_co_u32_e32 v4, vcc, s14, v26
	v_lshlrev_b32_e32 v7, 2, v6
	v_or_b32_e32 v30, 0x800, v0
	v_addc_co_u32_e32 v5, vcc, 0, v33, vcc
	v_or_b32_e32 v34, 0xc00, v0
	s_movk_i32 s21, 0x3000
	s_lshl_b64 s[8:9], s[8:9], 2
	v_lshlrev_b32_e32 v8, 2, v30
	v_lshlrev_b32_e32 v9, 2, v34
	global_load_dword v16, v7, s[10:11]
	global_load_dword v18, v[2:3], off offset:2048
	global_load_dword v20, v8, s[10:11]
	global_load_dword v22, v[4:5], off offset:2048
	global_load_dword v24, v9, s[10:11]
	v_add_co_u32_e32 v2, vcc, s21, v26
	s_add_u32 s14, s6, s8
	v_addc_co_u32_e32 v3, vcc, 0, v33, vcc
	v_lshlrev_b32_e32 v50, 3, v0
	s_addc_u32 s15, s7, s9
	v_mov_b32_e32 v4, s15
	v_add_co_u32_e32 v40, vcc, s14, v50
	v_addc_co_u32_e32 v41, vcc, 0, v4, vcc
	global_load_dword v42, v[2:3], off offset:2048
	v_add_co_u32_e32 v4, vcc, s20, v40
	global_load_dwordx2 v[2:3], v50, s[14:15]
	s_movk_i32 s23, 0x4000
	v_addc_co_u32_e32 v5, vcc, 0, v41, vcc
	global_load_dwordx2 v[4:5], v[4:5], off
	v_add_co_u32_e32 v8, vcc, s23, v26
	v_addc_co_u32_e32 v9, vcc, 0, v33, vcc
	v_add_co_u32_e32 v10, vcc, s21, v40
	v_lshlrev_b32_e32 v51, 3, v6
	v_addc_co_u32_e32 v11, vcc, 0, v41, vcc
	global_load_dwordx2 v[10:11], v[10:11], off
	s_movk_i32 s22, 0x5000
	global_load_dwordx2 v[6:7], v51, s[14:15]
	v_or_b32_e32 v36, 0x1000, v0
	v_add_co_u32_e32 v28, vcc, s22, v26
	v_or_b32_e32 v37, 0x1400, v0
	v_lshlrev_b32_e32 v31, 2, v36
	v_addc_co_u32_e32 v29, vcc, 0, v33, vcc
	s_movk_i32 s23, 0x6000
	v_lshlrev_b32_e32 v32, 2, v37
	v_lshlrev_b32_e32 v52, 3, v30
	v_or_b32_e32 v38, 0x1800, v0
	v_or_b32_e32 v43, 0x1c00, v0
	v_lshlrev_b32_e32 v53, 3, v34
	v_lshlrev_b32_e32 v39, 2, v38
	;; [unrolled: 1-line block ×5, first 2 shown]
	s_mov_b32 s24, 0xd000
	v_lshlrev_b32_e32 v58, 3, v38
	v_lshlrev_b32_e32 v59, 3, v43
	s_add_u32 s8, s16, s8
	s_addc_u32 s9, s17, s9
	s_waitcnt vmcnt(11)
	v_and_b32_e32 v13, 0xffff0000, v12
	v_lshlrev_b32_e32 v12, 16, v12
	s_waitcnt vmcnt(10)
	v_and_b32_e32 v15, 0xffff0000, v1
	v_lshlrev_b32_e32 v14, 16, v1
	global_load_dword v1, v31, s[10:11]
	global_load_dword v44, v[8:9], off offset:2048
	global_load_dword v46, v32, s[10:11]
	global_load_dword v47, v[28:29], off offset:2048
	v_add_co_u32_e32 v28, vcc, s23, v26
	v_addc_co_u32_e32 v29, vcc, 0, v33, vcc
	v_add_co_u32_e32 v30, vcc, s22, v40
	s_movk_i32 s23, 0x7000
	v_addc_co_u32_e32 v31, vcc, 0, v41, vcc
	v_add_co_u32_e32 v32, vcc, s23, v26
	v_addc_co_u32_e32 v33, vcc, 0, v33, vcc
	global_load_dwordx2 v[8:9], v52, s[14:15]
	s_waitcnt vmcnt(14)
	v_and_b32_e32 v17, 0xffff0000, v16
	global_load_dwordx2 v[30:31], v[30:31], off
	s_nop 0
	global_load_dwordx2 v[34:35], v53, s[14:15]
	global_load_dword v48, v39, s[10:11]
	global_load_dword v49, v[28:29], off offset:2048
	global_load_dword v54, v45, s[10:11]
	global_load_dword v55, v[32:33], off offset:2048
	v_add_co_u32_e32 v28, vcc, s23, v40
	v_addc_co_u32_e32 v29, vcc, 0, v41, vcc
	v_cmp_lt_f32_e32 vcc, 0, v13
	s_mov_b32 s10, 0x9000
	v_lshlrev_b32_e32 v16, 16, v16
	global_load_dwordx2 v[28:29], v[28:29], off
	s_mov_b32 s11, 0xb000
	global_load_dwordx2 v[32:33], v57, s[14:15]
	s_waitcnt vmcnt(16)
	v_pk_mul_f32 v[2:3], v[2:3], v[12:13]
	v_cndmask_b32_e32 v3, v3, v13, vcc
	v_cmp_lt_f32_e32 vcc, 0, v12
	v_cndmask_b32_e32 v2, v2, v12, vcc
	s_waitcnt vmcnt(15)
	v_pk_mul_f32 v[4:5], v[4:5], v[14:15]
	v_cmp_lt_f32_e32 vcc, 0, v15
	v_cndmask_b32_e32 v5, v5, v15, vcc
	v_cmp_lt_f32_e32 vcc, 0, v14
	v_cndmask_b32_e32 v4, v4, v14, vcc
	v_add_co_u32_e32 v14, vcc, s10, v40
	v_addc_co_u32_e32 v15, vcc, 0, v41, vcc
	v_cmp_lt_f32_e32 vcc, 0, v17
	global_load_dwordx2 v[12:13], v56, s[14:15]
	v_and_b32_e32 v19, 0xffff0000, v18
	s_waitcnt vmcnt(14)
	v_pk_mul_f32 v[6:7], v[6:7], v[16:17]
	v_cndmask_b32_e32 v7, v7, v17, vcc
	v_add_co_u32_e32 v36, vcc, s11, v40
	v_addc_co_u32_e32 v37, vcc, 0, v41, vcc
	v_cmp_lt_f32_e32 vcc, 0, v16
	v_cndmask_b32_e32 v6, v6, v16, vcc
	v_add_co_u32_e32 v38, vcc, s24, v40
	v_addc_co_u32_e32 v39, vcc, 0, v41, vcc
	global_load_dwordx2 v[36:37], v[36:37], off
	v_lshlrev_b32_e32 v18, 16, v18
	global_load_dwordx2 v[38:39], v[38:39], off
	v_pk_mul_f32 v[10:11], v[10:11], v[18:19]
	global_load_dwordx2 v[14:15], v[14:15], off
	v_cmp_lt_f32_e32 vcc, 0, v19
	global_load_dwordx2 v[16:17], v58, s[14:15]
	v_cndmask_b32_e32 v11, v11, v19, vcc
	v_cmp_lt_f32_e32 vcc, 0, v18
	v_cndmask_b32_e32 v10, v10, v18, vcc
	global_load_dwordx2 v[18:19], v59, s[14:15]
	s_mov_b32 s14, 0xf000
	v_add_co_u32_e32 v40, vcc, s14, v40
	v_addc_co_u32_e32 v41, vcc, 0, v41, vcc
	global_load_dwordx2 v[40:41], v[40:41], off
	v_and_b32_e32 v21, 0xffff0000, v20
	v_lshlrev_b32_e32 v20, 16, v20
	v_cmp_lt_f32_e32 vcc, 0, v21
	v_and_b32_e32 v23, 0xffff0000, v22
	v_lshlrev_b32_e32 v22, 16, v22
	v_and_b32_e32 v25, 0xffff0000, v24
	v_lshlrev_b32_e32 v24, 16, v24
	;; [unrolled: 2-line block ×3, first 2 shown]
	s_waitcnt vmcnt(19)
	v_and_b32_e32 v43, 0xffff0000, v1
	v_lshlrev_b32_e32 v42, 16, v1
	v_mov_b32_e32 v1, s9
	s_waitcnt vmcnt(17)
	v_and_b32_e32 v45, 0xffff0000, v46
	global_store_dwordx2 v50, v[2:3], s[8:9]
	s_waitcnt vmcnt(14)
	v_pk_mul_f32 v[34:35], v[34:35], v[24:25]
	v_pk_mul_f32 v[8:9], v[8:9], v[20:21]
	v_cndmask_b32_e32 v9, v9, v21, vcc
	v_cmp_lt_f32_e32 vcc, 0, v20
	v_cndmask_b32_e32 v8, v8, v20, vcc
	v_pk_mul_f32 v[30:31], v[30:31], v[22:23]
	v_cmp_lt_f32_e32 vcc, 0, v23
	v_cndmask_b32_e32 v23, v31, v23, vcc
	v_cmp_lt_f32_e32 vcc, 0, v22
	v_cndmask_b32_e32 v22, v30, v22, vcc
	v_cmp_lt_f32_e32 vcc, 0, v25
	v_cndmask_b32_e32 v25, v35, v25, vcc
	v_cmp_lt_f32_e32 vcc, 0, v24
	v_cndmask_b32_e32 v24, v34, v24, vcc
	s_waitcnt vmcnt(9)
	v_pk_mul_f32 v[28:29], v[28:29], v[26:27]
	v_cmp_lt_f32_e32 vcc, 0, v27
	v_cndmask_b32_e32 v27, v29, v27, vcc
	v_cmp_lt_f32_e32 vcc, 0, v26
	v_cndmask_b32_e32 v26, v28, v26, vcc
	v_cmp_lt_f32_e32 vcc, 0, v43
	v_and_b32_e32 v21, 0xffff0000, v44
	v_lshlrev_b32_e32 v20, 16, v44
	v_lshlrev_b32_e32 v44, 16, v46
	v_and_b32_e32 v31, 0xffff0000, v47
	v_lshlrev_b32_e32 v30, 16, v47
	v_and_b32_e32 v47, 0xffff0000, v48
	;; [unrolled: 2-line block ×3, first 2 shown]
	v_lshlrev_b32_e32 v34, 16, v49
	s_waitcnt vmcnt(7)
	v_pk_mul_f32 v[12:13], v[12:13], v[42:43]
	v_cndmask_b32_e32 v13, v13, v43, vcc
	v_cmp_lt_f32_e32 vcc, 0, v42
	v_cndmask_b32_e32 v12, v12, v42, vcc
	v_add_co_u32_e32 v42, vcc, s8, v50
	v_addc_co_u32_e32 v1, vcc, 0, v1, vcc
	v_cmp_lt_f32_e32 vcc, 0, v21
	v_and_b32_e32 v49, 0xffff0000, v54
	v_lshlrev_b32_e32 v48, 16, v54
	v_and_b32_e32 v29, 0xffff0000, v55
	v_lshlrev_b32_e32 v28, 16, v55
	s_waitcnt vmcnt(4)
	v_pk_mul_f32 v[14:15], v[14:15], v[20:21]
	v_cndmask_b32_e32 v15, v15, v21, vcc
	v_cmp_lt_f32_e32 vcc, 0, v20
	v_cndmask_b32_e32 v14, v14, v20, vcc
	v_pk_mul_f32 v[20:21], v[32:33], v[44:45]
	v_cmp_lt_f32_e32 vcc, 0, v45
	v_cndmask_b32_e32 v21, v21, v45, vcc
	v_cmp_lt_f32_e32 vcc, 0, v44
	v_cndmask_b32_e32 v20, v20, v44, vcc
	v_pk_mul_f32 v[32:33], v[36:37], v[30:31]
	v_cmp_lt_f32_e32 vcc, 0, v31
	v_cndmask_b32_e32 v31, v33, v31, vcc
	v_cmp_lt_f32_e32 vcc, 0, v30
	v_cndmask_b32_e32 v30, v32, v30, vcc
	s_waitcnt vmcnt(3)
	v_pk_mul_f32 v[16:17], v[16:17], v[46:47]
	v_cmp_lt_f32_e32 vcc, 0, v47
	v_cndmask_b32_e32 v17, v17, v47, vcc
	v_cmp_lt_f32_e32 vcc, 0, v46
	v_cndmask_b32_e32 v16, v16, v46, vcc
	v_pk_mul_f32 v[32:33], v[38:39], v[34:35]
	v_cmp_lt_f32_e32 vcc, 0, v35
	v_cndmask_b32_e32 v33, v33, v35, vcc
	v_cmp_lt_f32_e32 vcc, 0, v34
	v_cndmask_b32_e32 v32, v32, v34, vcc
	s_waitcnt vmcnt(2)
	v_pk_mul_f32 v[18:19], v[18:19], v[48:49]
	v_cmp_lt_f32_e32 vcc, 0, v49
	v_cndmask_b32_e32 v19, v19, v49, vcc
	v_cmp_lt_f32_e32 vcc, 0, v48
	v_cndmask_b32_e32 v18, v18, v48, vcc
	s_waitcnt vmcnt(1)
	v_pk_mul_f32 v[34:35], v[40:41], v[28:29]
	v_cmp_lt_f32_e32 vcc, 0, v29
	v_cndmask_b32_e32 v29, v35, v29, vcc
	v_cmp_lt_f32_e32 vcc, 0, v28
	v_cndmask_b32_e32 v28, v34, v28, vcc
	v_add_co_u32_e32 v2, vcc, s20, v42
	v_addc_co_u32_e32 v3, vcc, 0, v1, vcc
	global_store_dwordx2 v[2:3], v[4:5], off
	global_store_dwordx2 v51, v[6:7], s[8:9]
	v_add_co_u32_e32 v2, vcc, s21, v42
	v_addc_co_u32_e32 v3, vcc, 0, v1, vcc
	global_store_dwordx2 v[2:3], v[10:11], off
	global_store_dwordx2 v52, v[8:9], s[8:9]
	;; [unrolled: 4-line block ×7, first 2 shown]
	v_add_co_u32_e32 v2, vcc, 0xf000, v42
	v_addc_co_u32_e32 v3, vcc, 0, v1, vcc
	global_store_dwordx2 v[2:3], v[28:29], off
	s_cbranch_execnz .LBB20_2
.LBB20_4:
	s_load_dword s10, s[4:5], 0x24
	s_load_dwordx4 s[20:23], s[4:5], 0x28
	s_add_u32 s8, s4, 56
	s_addc_u32 s9, s5, 0
	v_mov_b32_e32 v31, v0
	s_waitcnt lgkmcnt(0)
	v_lshrrev_b16_e64 v8, 8, s10
	v_mov_b32_e32 v0, s16
	v_mov_b32_e32 v1, s17
	v_mov_b32_e32 v2, s18
	v_mov_b32_e32 v3, s19
	v_mov_b32_e32 v4, s6
	v_mov_b32_e32 v5, s7
	v_mov_b32_e32 v6, s13
	v_mov_b32_e32 v7, s10
	v_mov_b32_e32 v9, s20
	v_mov_b32_e32 v10, s21
	v_mov_b32_e32 v11, s22
	v_mov_b32_e32 v12, s23
	s_getpc_b64 s[4:5]
	s_add_u32 s4, s4, _ZN2at6native25elementwise_kernel_helperILb1EZZZNS0_12prelu_kernelERNS_14TensorIteratorEENKUlvE_clEvENKUlvE0_clEvEUlffE_NS0_6memory8policies11unroll_baseILi512ESt5arrayIPcLm3EE23TrivialOffsetCalculatorILi2EjESD_ILi1EjENS7_12LoadWithCastILi2EEENS7_13StoreWithCastILi1EEELi32ELi1EEEEEvT0_T1_@rel32@lo+4
	s_addc_u32 s5, s5, _ZN2at6native25elementwise_kernel_helperILb1EZZZNS0_12prelu_kernelERNS_14TensorIteratorEENKUlvE_clEvENKUlvE0_clEvEUlffE_NS0_6memory8policies11unroll_baseILi512ESt5arrayIPcLm3EE23TrivialOffsetCalculatorILi2EjESD_ILi1EjENS7_12LoadWithCastILi2EEENS7_13StoreWithCastILi1EEELi32ELi1EEEEEvT0_T1_@rel32@hi+12
	s_swappc_b64 s[30:31], s[4:5]
	s_endpgm
	.section	.rodata,"a",@progbits
	.p2align	6, 0x0
	.amdhsa_kernel _ZN2at6native39vectorized_templated_elementwise_kernelILi2EZZZNS0_12prelu_kernelERNS_14TensorIteratorEENKUlvE_clEvENKUlvE0_clEvEUlffE_St5arrayIPcLm3EE23TrivialOffsetCalculatorILi2EjESA_ILi1EjENS0_6memory12LoadWithCastILi2EEENSD_13StoreWithCastILi1EEEfJN3c108BFloat16EfEEEviT0_T1_T2_T3_T4_T5_
		.amdhsa_group_segment_fixed_size 0
		.amdhsa_private_segment_fixed_size 288
		.amdhsa_kernarg_size 312
		.amdhsa_user_sgpr_count 8
		.amdhsa_user_sgpr_private_segment_buffer 1
		.amdhsa_user_sgpr_dispatch_ptr 0
		.amdhsa_user_sgpr_queue_ptr 0
		.amdhsa_user_sgpr_kernarg_segment_ptr 1
		.amdhsa_user_sgpr_dispatch_id 0
		.amdhsa_user_sgpr_flat_scratch_init 1
		.amdhsa_user_sgpr_kernarg_preload_length 0
		.amdhsa_user_sgpr_kernarg_preload_offset 0
		.amdhsa_user_sgpr_private_segment_size 0
		.amdhsa_uses_dynamic_stack 0
		.amdhsa_system_sgpr_private_segment_wavefront_offset 1
		.amdhsa_system_sgpr_workgroup_id_x 1
		.amdhsa_system_sgpr_workgroup_id_y 0
		.amdhsa_system_sgpr_workgroup_id_z 0
		.amdhsa_system_sgpr_workgroup_info 0
		.amdhsa_system_vgpr_workitem_id 0
		.amdhsa_next_free_vgpr 118
		.amdhsa_next_free_sgpr 98
		.amdhsa_accum_offset 120
		.amdhsa_reserve_vcc 1
		.amdhsa_reserve_flat_scratch 1
		.amdhsa_float_round_mode_32 0
		.amdhsa_float_round_mode_16_64 0
		.amdhsa_float_denorm_mode_32 3
		.amdhsa_float_denorm_mode_16_64 3
		.amdhsa_dx10_clamp 1
		.amdhsa_ieee_mode 1
		.amdhsa_fp16_overflow 0
		.amdhsa_tg_split 0
		.amdhsa_exception_fp_ieee_invalid_op 0
		.amdhsa_exception_fp_denorm_src 0
		.amdhsa_exception_fp_ieee_div_zero 0
		.amdhsa_exception_fp_ieee_overflow 0
		.amdhsa_exception_fp_ieee_underflow 0
		.amdhsa_exception_fp_ieee_inexact 0
		.amdhsa_exception_int_div_zero 0
	.end_amdhsa_kernel
	.section	.text._ZN2at6native39vectorized_templated_elementwise_kernelILi2EZZZNS0_12prelu_kernelERNS_14TensorIteratorEENKUlvE_clEvENKUlvE0_clEvEUlffE_St5arrayIPcLm3EE23TrivialOffsetCalculatorILi2EjESA_ILi1EjENS0_6memory12LoadWithCastILi2EEENSD_13StoreWithCastILi1EEEfJN3c108BFloat16EfEEEviT0_T1_T2_T3_T4_T5_,"axG",@progbits,_ZN2at6native39vectorized_templated_elementwise_kernelILi2EZZZNS0_12prelu_kernelERNS_14TensorIteratorEENKUlvE_clEvENKUlvE0_clEvEUlffE_St5arrayIPcLm3EE23TrivialOffsetCalculatorILi2EjESA_ILi1EjENS0_6memory12LoadWithCastILi2EEENSD_13StoreWithCastILi1EEEfJN3c108BFloat16EfEEEviT0_T1_T2_T3_T4_T5_,comdat
.Lfunc_end20:
	.size	_ZN2at6native39vectorized_templated_elementwise_kernelILi2EZZZNS0_12prelu_kernelERNS_14TensorIteratorEENKUlvE_clEvENKUlvE0_clEvEUlffE_St5arrayIPcLm3EE23TrivialOffsetCalculatorILi2EjESA_ILi1EjENS0_6memory12LoadWithCastILi2EEENSD_13StoreWithCastILi1EEEfJN3c108BFloat16EfEEEviT0_T1_T2_T3_T4_T5_, .Lfunc_end20-_ZN2at6native39vectorized_templated_elementwise_kernelILi2EZZZNS0_12prelu_kernelERNS_14TensorIteratorEENKUlvE_clEvENKUlvE0_clEvEUlffE_St5arrayIPcLm3EE23TrivialOffsetCalculatorILi2EjESA_ILi1EjENS0_6memory12LoadWithCastILi2EEENSD_13StoreWithCastILi1EEEfJN3c108BFloat16EfEEEviT0_T1_T2_T3_T4_T5_
                                        ; -- End function
	.section	.AMDGPU.csdata,"",@progbits
; Kernel info:
; codeLenInByte = 1688
; NumSgprs: 104
; NumVgprs: 118
; NumAgprs: 0
; TotalNumVgprs: 118
; ScratchSize: 288
; MemoryBound: 0
; FloatMode: 240
; IeeeMode: 1
; LDSByteSize: 0 bytes/workgroup (compile time only)
; SGPRBlocks: 12
; VGPRBlocks: 14
; NumSGPRsForWavesPerEU: 104
; NumVGPRsForWavesPerEU: 118
; AccumOffset: 120
; Occupancy: 4
; WaveLimiterHint : 0
; COMPUTE_PGM_RSRC2:SCRATCH_EN: 1
; COMPUTE_PGM_RSRC2:USER_SGPR: 8
; COMPUTE_PGM_RSRC2:TRAP_HANDLER: 0
; COMPUTE_PGM_RSRC2:TGID_X_EN: 1
; COMPUTE_PGM_RSRC2:TGID_Y_EN: 0
; COMPUTE_PGM_RSRC2:TGID_Z_EN: 0
; COMPUTE_PGM_RSRC2:TIDIG_COMP_CNT: 0
; COMPUTE_PGM_RSRC3_GFX90A:ACCUM_OFFSET: 29
; COMPUTE_PGM_RSRC3_GFX90A:TG_SPLIT: 0
	.section	.text._ZN2at6native39vectorized_templated_elementwise_kernelILi8EZZZNS0_12prelu_kernelERNS_14TensorIteratorEENKUlvE_clEvENKUlvE0_clEvEUlffE_St5arrayIPcLm3EE23TrivialOffsetCalculatorILi2EjESA_ILi1EjENS0_6memory12LoadWithCastILi2EEENSD_13StoreWithCastILi1EEEN3c108BFloat16EJSJ_fEEEviT0_T1_T2_T3_T4_T5_,"axG",@progbits,_ZN2at6native39vectorized_templated_elementwise_kernelILi8EZZZNS0_12prelu_kernelERNS_14TensorIteratorEENKUlvE_clEvENKUlvE0_clEvEUlffE_St5arrayIPcLm3EE23TrivialOffsetCalculatorILi2EjESA_ILi1EjENS0_6memory12LoadWithCastILi2EEENSD_13StoreWithCastILi1EEEN3c108BFloat16EJSJ_fEEEviT0_T1_T2_T3_T4_T5_,comdat
	.globl	_ZN2at6native39vectorized_templated_elementwise_kernelILi8EZZZNS0_12prelu_kernelERNS_14TensorIteratorEENKUlvE_clEvENKUlvE0_clEvEUlffE_St5arrayIPcLm3EE23TrivialOffsetCalculatorILi2EjESA_ILi1EjENS0_6memory12LoadWithCastILi2EEENSD_13StoreWithCastILi1EEEN3c108BFloat16EJSJ_fEEEviT0_T1_T2_T3_T4_T5_ ; -- Begin function _ZN2at6native39vectorized_templated_elementwise_kernelILi8EZZZNS0_12prelu_kernelERNS_14TensorIteratorEENKUlvE_clEvENKUlvE0_clEvEUlffE_St5arrayIPcLm3EE23TrivialOffsetCalculatorILi2EjESA_ILi1EjENS0_6memory12LoadWithCastILi2EEENSD_13StoreWithCastILi1EEEN3c108BFloat16EJSJ_fEEEviT0_T1_T2_T3_T4_T5_
	.p2align	8
	.type	_ZN2at6native39vectorized_templated_elementwise_kernelILi8EZZZNS0_12prelu_kernelERNS_14TensorIteratorEENKUlvE_clEvENKUlvE0_clEvEUlffE_St5arrayIPcLm3EE23TrivialOffsetCalculatorILi2EjESA_ILi1EjENS0_6memory12LoadWithCastILi2EEENSD_13StoreWithCastILi1EEEN3c108BFloat16EJSJ_fEEEviT0_T1_T2_T3_T4_T5_,@function
_ZN2at6native39vectorized_templated_elementwise_kernelILi8EZZZNS0_12prelu_kernelERNS_14TensorIteratorEENKUlvE_clEvENKUlvE0_clEvEUlffE_St5arrayIPcLm3EE23TrivialOffsetCalculatorILi2EjESA_ILi1EjENS0_6memory12LoadWithCastILi2EEENSD_13StoreWithCastILi1EEEN3c108BFloat16EJSJ_fEEEviT0_T1_T2_T3_T4_T5_: ; @_ZN2at6native39vectorized_templated_elementwise_kernelILi8EZZZNS0_12prelu_kernelERNS_14TensorIteratorEENKUlvE_clEvENKUlvE0_clEvEUlffE_St5arrayIPcLm3EE23TrivialOffsetCalculatorILi2EjESA_ILi1EjENS0_6memory12LoadWithCastILi2EEENSD_13StoreWithCastILi1EEEN3c108BFloat16EJSJ_fEEEviT0_T1_T2_T3_T4_T5_
; %bb.0:
	s_add_u32 flat_scratch_lo, s6, s9
	s_addc_u32 flat_scratch_hi, s7, 0
	s_add_u32 s0, s0, s9
	s_mov_b32 s12, s8
	s_load_dword s8, s[4:5], 0x38
	s_load_dwordx2 s[6:7], s[4:5], 0x18
	s_load_dword s9, s[4:5], 0x0
	s_load_dwordx4 s[16:19], s[4:5], 0x8
	s_addc_u32 s1, s1, 0
	s_not_b32 s10, s12
	s_waitcnt lgkmcnt(0)
	s_add_i32 s8, s8, s10
	s_lshl_b32 s10, s8, 14
	s_sub_i32 s13, s9, s10
	s_cmpk_gt_i32 s13, 0x3fff
	s_mov_b64 s[8:9], -1
	s_mov_b32 s32, 0
	s_cbranch_scc1 .LBB21_3
; %bb.1:
	s_andn2_b64 vcc, exec, s[8:9]
	s_cbranch_vccz .LBB21_4
.LBB21_2:
	s_endpgm
.LBB21_3:
	s_ashr_i32 s11, s10, 31
	s_lshl_b64 s[8:9], s[10:11], 1
	s_add_u32 s14, s18, s8
	s_addc_u32 s15, s19, s9
	s_lshl_b64 s[10:11], s[10:11], 2
	v_lshlrev_b32_e32 v1, 4, v0
	s_add_u32 s10, s6, s10
	global_load_dwordx4 v[10:13], v1, s[14:15]
	s_addc_u32 s11, s7, s11
	v_lshlrev_b32_e32 v16, 5, v0
	global_load_dwordx4 v[18:21], v16, s[10:11]
	global_load_dwordx4 v[6:9], v16, s[10:11] offset:16
	v_mov_b32_e32 v14, s15
	v_add_co_u32_e32 v38, vcc, s14, v1
	s_movk_i32 s21, 0x2000
	v_addc_co_u32_e32 v39, vcc, 0, v14, vcc
	v_add_co_u32_e32 v14, vcc, s21, v38
	v_addc_co_u32_e32 v15, vcc, 0, v39, vcc
	v_mov_b32_e32 v17, s11
	v_add_co_u32_e32 v22, vcc, s10, v16
	s_movk_i32 s23, 0x4000
	v_addc_co_u32_e32 v23, vcc, 0, v17, vcc
	v_add_co_u32_e32 v32, vcc, s23, v22
	s_mov_b32 s22, 0xc000
	v_addc_co_u32_e32 v33, vcc, 0, v23, vcc
	s_add_u32 s8, s16, s8
	v_add_co_u32_e32 v26, vcc, s22, v22
	v_or_b32_e32 v2, 0x400, v0
	s_addc_u32 s9, s17, s9
	v_addc_co_u32_e32 v27, vcc, 0, v23, vcc
	v_lshlrev_b32_e32 v29, 4, v2
	v_mov_b32_e32 v22, s9
	v_add_co_u32_e32 v31, vcc, s8, v1
	v_lshlrev_b32_e32 v40, 5, v2
	global_load_dwordx4 v[2:5], v29, s[14:15]
	v_addc_co_u32_e32 v30, vcc, 0, v22, vcc
	global_load_dwordx4 v[14:17], v[14:15], off
	s_movk_i32 s20, 0x7fff
	global_load_dwordx4 v[22:25], v[32:33], off
	v_mov_b32_e32 v28, 0x7fc00000
	s_movk_i32 s14, 0x6000
	s_waitcnt vmcnt(5)
	v_and_b32_e32 v37, 0xffff0000, v11
	v_lshlrev_b32_e32 v36, 16, v11
	s_waitcnt vmcnt(4)
	v_bfe_u32 v11, v19, 16, 1
	v_bfe_u32 v42, v21, 16, 1
	v_and_b32_e32 v35, 0xffff0000, v10
	v_lshlrev_b32_e32 v34, 16, v10
	v_bfe_u32 v10, v18, 16, 1
	v_bfe_u32 v41, v20, 16, 1
	v_add3_u32 v42, v21, v42, s20
	v_add3_u32 v11, v19, v11, s20
	v_add3_u32 v41, v20, v41, s20
	v_add3_u32 v10, v18, v10, s20
	v_and_b32_e32 v44, 0xffff0000, v11
	v_and_b32_e32 v11, 0xffff0000, v42
	v_cmp_o_f32_e32 vcc, v21, v21
	v_and_b32_e32 v43, 0xffff0000, v10
	v_and_b32_e32 v10, 0xffff0000, v41
	v_cndmask_b32_e32 v11, v28, v11, vcc
	v_cmp_o_f32_e32 vcc, v20, v20
	v_cndmask_b32_e32 v10, v28, v10, vcc
	v_cmp_o_f32_e32 vcc, v19, v19
	;; [unrolled: 2-line block ×3, first 2 shown]
	v_cndmask_b32_e32 v18, v28, v43, vcc
	v_pk_mul_f32 v[10:11], v[10:11], v[36:37]
	v_cmp_lt_f32_e32 vcc, 0, v37
	v_cndmask_b32_e32 v20, v11, v37, vcc
	v_cmp_lt_f32_e32 vcc, 0, v36
	v_pk_mul_f32 v[18:19], v[18:19], v[34:35]
	v_cndmask_b32_e32 v21, v10, v36, vcc
	v_cmp_lt_f32_e32 vcc, 0, v35
	v_cndmask_b32_e32 v11, v19, v35, vcc
	v_cmp_lt_f32_e32 vcc, 0, v34
	v_cndmask_b32_e32 v10, v18, v34, vcc
	v_bfe_u32 v18, v10, 16, 1
	v_bfe_u32 v19, v11, 16, 1
	v_add3_u32 v18, v10, v18, s20
	v_bfe_u32 v34, v21, 16, 1
	v_add3_u32 v19, v11, v19, s20
	v_lshrrev_b32_e32 v36, 16, v18
	v_mov_b32_e32 v18, 0x7fc0
	v_cmp_o_f32_e32 vcc, v10, v10
	v_bfe_u32 v35, v20, 16, 1
	v_add3_u32 v34, v21, v34, s20
	v_lshrrev_b32_e32 v19, 16, v19
	v_cndmask_b32_e32 v10, v18, v36, vcc
	v_cmp_o_f32_e32 vcc, v11, v11
	v_add3_u32 v35, v20, v35, s20
	v_lshrrev_b32_e32 v34, 16, v34
	v_cndmask_b32_e32 v11, v18, v19, vcc
	v_cmp_o_f32_e32 vcc, v21, v21
	s_waitcnt vmcnt(3)
	v_bfe_u32 v41, v9, 16, 1
	v_lshrrev_b32_e32 v35, 16, v35
	v_cndmask_b32_e32 v19, v18, v34, vcc
	v_cmp_o_f32_e32 vcc, v20, v20
	v_bfe_u32 v21, v8, 16, 1
	v_add3_u32 v41, v9, v41, s20
	v_cndmask_b32_e32 v20, v18, v35, vcc
	v_and_b32_e32 v37, 0xffff0000, v13
	v_lshlrev_b32_e32 v36, 16, v13
	v_bfe_u32 v13, v7, 16, 1
	v_add3_u32 v21, v8, v21, s20
	v_and_b32_e32 v41, 0xffff0000, v41
	v_cmp_o_f32_e32 vcc, v9, v9
	v_and_b32_e32 v35, 0xffff0000, v12
	v_lshlrev_b32_e32 v34, 16, v12
	v_bfe_u32 v12, v6, 16, 1
	v_add3_u32 v13, v7, v13, s20
	v_and_b32_e32 v21, 0xffff0000, v21
	v_cndmask_b32_e32 v9, v28, v41, vcc
	v_cmp_o_f32_e32 vcc, v8, v8
	v_add3_u32 v12, v6, v12, s20
	v_and_b32_e32 v13, 0xffff0000, v13
	v_cndmask_b32_e32 v8, v28, v21, vcc
	v_cmp_o_f32_e32 vcc, v7, v7
	v_and_b32_e32 v12, 0xffff0000, v12
	v_cndmask_b32_e32 v7, v28, v13, vcc
	v_cmp_o_f32_e32 vcc, v6, v6
	v_cndmask_b32_e32 v6, v28, v12, vcc
	v_pk_mul_f32 v[8:9], v[8:9], v[36:37]
	v_cmp_lt_f32_e32 vcc, 0, v37
	v_cndmask_b32_e32 v9, v9, v37, vcc
	v_cmp_lt_f32_e32 vcc, 0, v36
	v_pk_mul_f32 v[6:7], v[6:7], v[34:35]
	v_cndmask_b32_e32 v8, v8, v36, vcc
	v_cmp_lt_f32_e32 vcc, 0, v35
	v_cndmask_b32_e32 v7, v7, v35, vcc
	v_cmp_lt_f32_e32 vcc, 0, v34
	v_cndmask_b32_e32 v6, v6, v34, vcc
	v_bfe_u32 v34, v9, 16, 1
	v_bfe_u32 v12, v6, 16, 1
	v_add3_u32 v36, v9, v34, s20
	global_load_dwordx4 v[32:35], v[32:33], off offset:16
	v_bfe_u32 v13, v7, 16, 1
	v_add3_u32 v12, v6, v12, s20
	v_bfe_u32 v21, v8, 16, 1
	v_add3_u32 v13, v7, v13, s20
	v_lshrrev_b32_e32 v12, 16, v12
	v_cmp_o_f32_e32 vcc, v6, v6
	v_add3_u32 v21, v8, v21, s20
	v_lshrrev_b32_e32 v13, 16, v13
	v_cndmask_b32_e32 v41, v18, v12, vcc
	v_cmp_o_f32_e32 vcc, v7, v7
	v_lshrrev_b32_e32 v21, 16, v21
	v_cndmask_b32_e32 v42, v18, v13, vcc
	v_cmp_o_f32_e32 vcc, v8, v8
	;; [unrolled: 3-line block ×3, first 2 shown]
	v_cndmask_b32_e32 v43, v18, v36, vcc
	v_add_co_u32_e32 v6, vcc, s14, v38
	v_addc_co_u32_e32 v7, vcc, 0, v39, vcc
	s_waitcnt vmcnt(2)
	v_and_b32_e32 v13, 0xffff0000, v15
	v_lshlrev_b32_e32 v12, 16, v15
	s_waitcnt vmcnt(1)
	v_bfe_u32 v15, v23, 16, 1
	v_bfe_u32 v39, v25, 16, 1
	v_and_b32_e32 v37, 0xffff0000, v14
	v_lshlrev_b32_e32 v36, 16, v14
	v_bfe_u32 v14, v22, 16, 1
	v_bfe_u32 v38, v24, 16, 1
	v_add3_u32 v39, v25, v39, s20
	v_add3_u32 v15, v23, v15, s20
	;; [unrolled: 1-line block ×4, first 2 shown]
	v_and_b32_e32 v45, 0xffff0000, v15
	v_and_b32_e32 v15, 0xffff0000, v39
	v_cmp_o_f32_e32 vcc, v25, v25
	v_and_b32_e32 v44, 0xffff0000, v14
	v_and_b32_e32 v14, 0xffff0000, v38
	v_cndmask_b32_e32 v15, v28, v15, vcc
	v_cmp_o_f32_e32 vcc, v24, v24
	v_cndmask_b32_e32 v14, v28, v14, vcc
	v_cmp_o_f32_e32 vcc, v23, v23
	;; [unrolled: 2-line block ×3, first 2 shown]
	v_cndmask_b32_e32 v22, v28, v44, vcc
	v_pk_mul_f32 v[14:15], v[14:15], v[12:13]
	v_cmp_lt_f32_e32 vcc, 0, v13
	v_cndmask_b32_e32 v44, v15, v13, vcc
	v_cmp_lt_f32_e32 vcc, 0, v12
	global_load_dwordx4 v[6:9], v[6:7], off
	v_pk_mul_f32 v[38:39], v[22:23], v[36:37]
	v_cndmask_b32_e32 v45, v14, v12, vcc
	global_load_dwordx4 v[12:15], v40, s[10:11] offset:16
	global_load_dwordx4 v[22:25], v40, s[10:11]
	v_cmp_lt_f32_e32 vcc, 0, v37
	v_cndmask_b32_e32 v37, v39, v37, vcc
	v_cmp_lt_f32_e32 vcc, 0, v36
	v_cndmask_b32_e32 v36, v38, v36, vcc
	v_bfe_u32 v38, v36, 16, 1
	v_bfe_u32 v39, v37, 16, 1
	v_add3_u32 v38, v36, v38, s20
	v_bfe_u32 v40, v45, 16, 1
	v_add3_u32 v39, v37, v39, s20
	v_lshrrev_b32_e32 v38, 16, v38
	v_cmp_o_f32_e32 vcc, v36, v36
	v_bfe_u32 v46, v44, 16, 1
	v_add3_u32 v40, v45, v40, s20
	v_lshrrev_b32_e32 v39, 16, v39
	v_cndmask_b32_e32 v47, v18, v38, vcc
	v_cmp_o_f32_e32 vcc, v37, v37
	v_add3_u32 v46, v44, v46, s20
	v_lshrrev_b32_e32 v40, 16, v40
	v_cndmask_b32_e32 v48, v18, v39, vcc
	v_cmp_o_f32_e32 vcc, v45, v45
	v_lshrrev_b32_e32 v46, 16, v46
	v_cndmask_b32_e32 v40, v18, v40, vcc
	v_cmp_o_f32_e32 vcc, v44, v44
	v_cndmask_b32_e32 v44, v18, v46, vcc
	v_and_b32_e32 v39, 0xffff0000, v17
	v_lshlrev_b32_e32 v38, 16, v17
	s_waitcnt vmcnt(3)
	v_bfe_u32 v17, v33, 16, 1
	v_bfe_u32 v46, v35, 16, 1
	v_and_b32_e32 v37, 0xffff0000, v16
	v_lshlrev_b32_e32 v36, 16, v16
	v_bfe_u32 v16, v32, 16, 1
	v_bfe_u32 v45, v34, 16, 1
	v_add3_u32 v46, v35, v46, s20
	v_add3_u32 v17, v33, v17, s20
	;; [unrolled: 1-line block ×4, first 2 shown]
	v_and_b32_e32 v50, 0xffff0000, v17
	v_and_b32_e32 v17, 0xffff0000, v46
	v_cmp_o_f32_e32 vcc, v35, v35
	v_and_b32_e32 v49, 0xffff0000, v16
	v_and_b32_e32 v16, 0xffff0000, v45
	v_cndmask_b32_e32 v17, v28, v17, vcc
	v_cmp_o_f32_e32 vcc, v34, v34
	v_cndmask_b32_e32 v16, v28, v16, vcc
	v_cmp_o_f32_e32 vcc, v33, v33
	v_cndmask_b32_e32 v33, v28, v50, vcc
	v_cmp_o_f32_e32 vcc, v32, v32
	v_cndmask_b32_e32 v32, v28, v49, vcc
	v_pk_mul_f32 v[16:17], v[16:17], v[38:39]
	v_cmp_lt_f32_e32 vcc, 0, v39
	v_cndmask_b32_e32 v17, v17, v39, vcc
	v_cmp_lt_f32_e32 vcc, 0, v38
	v_pk_mul_f32 v[32:33], v[32:33], v[36:37]
	v_cndmask_b32_e32 v16, v16, v38, vcc
	v_cmp_lt_f32_e32 vcc, 0, v37
	v_cndmask_b32_e32 v33, v33, v37, vcc
	v_cmp_lt_f32_e32 vcc, 0, v36
	v_cndmask_b32_e32 v32, v32, v36, vcc
	v_bfe_u32 v34, v32, 16, 1
	v_bfe_u32 v35, v33, 16, 1
	v_add3_u32 v34, v32, v34, s20
	v_bfe_u32 v36, v16, 16, 1
	v_add3_u32 v35, v33, v35, s20
	v_lshrrev_b32_e32 v34, 16, v34
	v_cmp_o_f32_e32 vcc, v32, v32
	v_bfe_u32 v37, v17, 16, 1
	v_add3_u32 v36, v16, v36, s20
	v_lshrrev_b32_e32 v35, 16, v35
	v_cndmask_b32_e32 v34, v18, v34, vcc
	v_cmp_o_f32_e32 vcc, v33, v33
	v_add3_u32 v37, v17, v37, s20
	v_lshrrev_b32_e32 v36, 16, v36
	v_cndmask_b32_e32 v35, v18, v35, vcc
	v_cmp_o_f32_e32 vcc, v16, v16
	v_and_b32_e32 v33, 0xffff0000, v3
	v_lshlrev_b32_e32 v32, 16, v3
	v_lshrrev_b32_e32 v37, 16, v37
	v_cndmask_b32_e32 v36, v18, v36, vcc
	v_cmp_o_f32_e32 vcc, v17, v17
	s_waitcnt vmcnt(0)
	v_bfe_u32 v3, v23, 16, 1
	v_bfe_u32 v39, v25, 16, 1
	v_and_b32_e32 v17, 0xffff0000, v2
	v_lshlrev_b32_e32 v16, 16, v2
	v_bfe_u32 v2, v22, 16, 1
	v_bfe_u32 v38, v24, 16, 1
	v_add3_u32 v39, v25, v39, s20
	v_add3_u32 v3, v23, v3, s20
	v_cndmask_b32_e32 v37, v18, v37, vcc
	v_add3_u32 v38, v24, v38, s20
	v_add3_u32 v2, v22, v2, s20
	v_and_b32_e32 v46, 0xffff0000, v3
	v_and_b32_e32 v3, 0xffff0000, v39
	v_cmp_o_f32_e32 vcc, v25, v25
	v_and_b32_e32 v45, 0xffff0000, v2
	v_and_b32_e32 v2, 0xffff0000, v38
	v_cndmask_b32_e32 v3, v28, v3, vcc
	v_cmp_o_f32_e32 vcc, v24, v24
	v_cndmask_b32_e32 v2, v28, v2, vcc
	v_cmp_o_f32_e32 vcc, v23, v23
	;; [unrolled: 2-line block ×3, first 2 shown]
	v_cndmask_b32_e32 v22, v28, v45, vcc
	v_pk_mul_f32 v[2:3], v[2:3], v[32:33]
	v_cmp_lt_f32_e32 vcc, 0, v33
	v_cndmask_b32_e32 v3, v3, v33, vcc
	v_cmp_lt_f32_e32 vcc, 0, v32
	v_pk_mul_f32 v[22:23], v[22:23], v[16:17]
	v_cndmask_b32_e32 v2, v2, v32, vcc
	v_cmp_lt_f32_e32 vcc, 0, v17
	v_cndmask_b32_e32 v17, v23, v17, vcc
	v_cmp_lt_f32_e32 vcc, 0, v16
	v_cndmask_b32_e32 v16, v22, v16, vcc
	global_load_dwordx4 v[22:25], v[26:27], off
	v_bfe_u32 v32, v16, 16, 1
	v_bfe_u32 v33, v17, 16, 1
	v_add3_u32 v32, v16, v32, s20
	v_bfe_u32 v38, v2, 16, 1
	v_add3_u32 v33, v17, v33, s20
	v_lshrrev_b32_e32 v32, 16, v32
	v_cmp_o_f32_e32 vcc, v16, v16
	v_add3_u32 v38, v2, v38, s20
	v_lshrrev_b32_e32 v33, 16, v33
	v_cndmask_b32_e32 v32, v18, v32, vcc
	v_cmp_o_f32_e32 vcc, v17, v17
	v_bfe_u32 v39, v3, 16, 1
	v_lshrrev_b32_e32 v38, 16, v38
	v_cndmask_b32_e32 v33, v18, v33, vcc
	v_cmp_o_f32_e32 vcc, v2, v2
	v_add3_u32 v39, v3, v39, s20
	v_cndmask_b32_e32 v38, v18, v38, vcc
	v_cmp_o_f32_e32 vcc, v3, v3
	v_and_b32_e32 v3, 0xffff0000, v5
	v_lshlrev_b32_e32 v2, 16, v5
	v_bfe_u32 v5, v13, 16, 1
	v_bfe_u32 v46, v15, 16, 1
	v_lshrrev_b32_e32 v39, 16, v39
	v_and_b32_e32 v17, 0xffff0000, v4
	v_lshlrev_b32_e32 v16, 16, v4
	v_bfe_u32 v4, v12, 16, 1
	v_bfe_u32 v45, v14, 16, 1
	v_add3_u32 v46, v15, v46, s20
	v_add3_u32 v5, v13, v5, s20
	v_cndmask_b32_e32 v39, v18, v39, vcc
	v_add3_u32 v45, v14, v45, s20
	v_add3_u32 v4, v12, v4, s20
	v_and_b32_e32 v50, 0xffff0000, v5
	v_and_b32_e32 v5, 0xffff0000, v46
	v_cmp_o_f32_e32 vcc, v15, v15
	v_and_b32_e32 v49, 0xffff0000, v4
	v_and_b32_e32 v4, 0xffff0000, v45
	v_cndmask_b32_e32 v5, v28, v5, vcc
	v_cmp_o_f32_e32 vcc, v14, v14
	v_cndmask_b32_e32 v4, v28, v4, vcc
	v_cmp_o_f32_e32 vcc, v13, v13
	;; [unrolled: 2-line block ×3, first 2 shown]
	v_cndmask_b32_e32 v12, v28, v49, vcc
	v_pk_mul_f32 v[4:5], v[4:5], v[2:3]
	v_cmp_lt_f32_e32 vcc, 0, v3
	v_cndmask_b32_e32 v14, v5, v3, vcc
	v_cmp_lt_f32_e32 vcc, 0, v2
	v_cndmask_b32_e32 v15, v4, v2, vcc
	global_load_dwordx4 v[2:5], v[26:27], off offset:16
	v_pk_mul_f32 v[12:13], v[12:13], v[16:17]
	v_cmp_lt_f32_e32 vcc, 0, v17
	v_cndmask_b32_e32 v13, v13, v17, vcc
	v_cmp_lt_f32_e32 vcc, 0, v16
	v_cndmask_b32_e32 v12, v12, v16, vcc
	v_bfe_u32 v16, v12, 16, 1
	v_bfe_u32 v17, v13, 16, 1
	v_add3_u32 v16, v12, v16, s20
	v_bfe_u32 v26, v15, 16, 1
	v_add3_u32 v17, v13, v17, s20
	v_lshrrev_b32_e32 v16, 16, v16
	v_cmp_o_f32_e32 vcc, v12, v12
	v_add3_u32 v26, v15, v26, s20
	v_lshrrev_b32_e32 v17, 16, v17
	v_cndmask_b32_e32 v45, v18, v16, vcc
	v_cmp_o_f32_e32 vcc, v13, v13
	v_bfe_u32 v27, v14, 16, 1
	v_lshrrev_b32_e32 v26, 16, v26
	v_cndmask_b32_e32 v46, v18, v17, vcc
	v_cmp_o_f32_e32 vcc, v15, v15
	v_add3_u32 v27, v14, v27, s20
	v_cndmask_b32_e32 v26, v18, v26, vcc
	v_cmp_o_f32_e32 vcc, v14, v14
	v_and_b32_e32 v15, 0xffff0000, v7
	v_lshlrev_b32_e32 v14, 16, v7
	v_lshrrev_b32_e32 v27, 16, v27
	v_and_b32_e32 v13, 0xffff0000, v6
	v_lshlrev_b32_e32 v12, 16, v6
	v_cndmask_b32_e32 v27, v18, v27, vcc
	s_waitcnt vmcnt(1)
	v_bfe_u32 v7, v23, 16, 1
	v_bfe_u32 v17, v25, 16, 1
	;; [unrolled: 1-line block ×4, first 2 shown]
	v_add3_u32 v17, v25, v17, s20
	v_add3_u32 v7, v23, v7, s20
	;; [unrolled: 1-line block ×4, first 2 shown]
	v_and_b32_e32 v50, 0xffff0000, v7
	v_and_b32_e32 v7, 0xffff0000, v17
	v_cmp_o_f32_e32 vcc, v25, v25
	v_and_b32_e32 v49, 0xffff0000, v6
	v_and_b32_e32 v6, 0xffff0000, v16
	v_cndmask_b32_e32 v7, v28, v7, vcc
	v_cmp_o_f32_e32 vcc, v24, v24
	v_cndmask_b32_e32 v6, v28, v6, vcc
	v_cmp_o_f32_e32 vcc, v23, v23
	;; [unrolled: 2-line block ×3, first 2 shown]
	v_cndmask_b32_e32 v16, v28, v49, vcc
	v_pk_mul_f32 v[6:7], v[6:7], v[14:15]
	v_cmp_lt_f32_e32 vcc, 0, v15
	v_cndmask_b32_e32 v7, v7, v15, vcc
	v_cmp_lt_f32_e32 vcc, 0, v14
	v_pk_mul_f32 v[16:17], v[16:17], v[12:13]
	v_cndmask_b32_e32 v6, v6, v14, vcc
	v_cmp_lt_f32_e32 vcc, 0, v13
	v_cndmask_b32_e32 v13, v17, v13, vcc
	v_cmp_lt_f32_e32 vcc, 0, v12
	v_cndmask_b32_e32 v12, v16, v12, vcc
	v_bfe_u32 v14, v12, 16, 1
	v_bfe_u32 v15, v13, 16, 1
	v_add3_u32 v14, v12, v14, s20
	v_bfe_u32 v16, v6, 16, 1
	v_add3_u32 v15, v13, v15, s20
	v_lshrrev_b32_e32 v14, 16, v14
	v_cmp_o_f32_e32 vcc, v12, v12
	v_bfe_u32 v17, v7, 16, 1
	v_add3_u32 v16, v6, v16, s20
	v_lshrrev_b32_e32 v15, 16, v15
	v_cndmask_b32_e32 v14, v18, v14, vcc
	v_cmp_o_f32_e32 vcc, v13, v13
	v_add3_u32 v17, v7, v17, s20
	v_lshrrev_b32_e32 v16, 16, v16
	v_cndmask_b32_e32 v15, v18, v15, vcc
	v_cmp_o_f32_e32 vcc, v6, v6
	v_lshrrev_b32_e32 v17, 16, v17
	v_cndmask_b32_e32 v16, v18, v16, vcc
	v_cmp_o_f32_e32 vcc, v7, v7
	v_cndmask_b32_e32 v17, v18, v17, vcc
	s_waitcnt vmcnt(0)
	v_bfe_u32 v23, v5, 16, 1
	v_bfe_u32 v22, v4, 16, 1
	v_add3_u32 v23, v5, v23, s20
	v_and_b32_e32 v13, 0xffff0000, v9
	v_lshlrev_b32_e32 v12, 16, v9
	v_bfe_u32 v9, v3, 16, 1
	v_add3_u32 v22, v4, v22, s20
	v_and_b32_e32 v23, 0xffff0000, v23
	v_cmp_o_f32_e32 vcc, v5, v5
	v_and_b32_e32 v7, 0xffff0000, v8
	v_lshlrev_b32_e32 v6, 16, v8
	v_bfe_u32 v8, v2, 16, 1
	v_add3_u32 v9, v3, v9, s20
	v_and_b32_e32 v22, 0xffff0000, v22
	v_cndmask_b32_e32 v5, v28, v23, vcc
	v_cmp_o_f32_e32 vcc, v4, v4
	v_add3_u32 v8, v2, v8, s20
	v_and_b32_e32 v9, 0xffff0000, v9
	v_cndmask_b32_e32 v4, v28, v22, vcc
	v_cmp_o_f32_e32 vcc, v3, v3
	v_and_b32_e32 v8, 0xffff0000, v8
	v_cndmask_b32_e32 v3, v28, v9, vcc
	v_cmp_o_f32_e32 vcc, v2, v2
	v_cndmask_b32_e32 v2, v28, v8, vcc
	v_pk_mul_f32 v[4:5], v[4:5], v[12:13]
	v_cmp_lt_f32_e32 vcc, 0, v13
	v_cndmask_b32_e32 v5, v5, v13, vcc
	v_cmp_lt_f32_e32 vcc, 0, v12
	v_pk_mul_f32 v[2:3], v[2:3], v[6:7]
	v_cndmask_b32_e32 v4, v4, v12, vcc
	v_cmp_lt_f32_e32 vcc, 0, v7
	v_cndmask_b32_e32 v3, v3, v7, vcc
	v_cmp_lt_f32_e32 vcc, 0, v6
	v_cndmask_b32_e32 v2, v2, v6, vcc
	v_bfe_u32 v6, v2, 16, 1
	v_bfe_u32 v7, v3, 16, 1
	v_add3_u32 v6, v2, v6, s20
	v_bfe_u32 v8, v4, 16, 1
	v_add3_u32 v7, v3, v7, s20
	v_lshrrev_b32_e32 v6, 16, v6
	v_cmp_o_f32_e32 vcc, v2, v2
	v_bfe_u32 v9, v5, 16, 1
	v_add3_u32 v8, v4, v8, s20
	v_lshrrev_b32_e32 v7, 16, v7
	v_cndmask_b32_e32 v12, v18, v6, vcc
	v_cmp_o_f32_e32 vcc, v3, v3
	v_add3_u32 v9, v5, v9, s20
	v_lshrrev_b32_e32 v8, 16, v8
	v_cndmask_b32_e32 v13, v18, v7, vcc
	v_cmp_o_f32_e32 vcc, v4, v4
	v_lshrrev_b32_e32 v9, 16, v9
	v_cndmask_b32_e32 v8, v18, v8, vcc
	v_cmp_o_f32_e32 vcc, v5, v5
	s_mov_b32 s10, 0x5040100
	v_cndmask_b32_e32 v9, v18, v9, vcc
	v_perm_b32 v5, v43, v21, s10
	v_perm_b32 v4, v42, v41, s10
	;; [unrolled: 1-line block ×4, first 2 shown]
	v_add_co_u32_e32 v6, vcc, s21, v31
	global_store_dwordx4 v1, v[2:5], s[8:9]
	v_addc_co_u32_e32 v7, vcc, 0, v30, vcc
	v_perm_b32 v5, v37, v36, s10
	v_perm_b32 v4, v35, v34, s10
	v_perm_b32 v3, v44, v40, s10
	v_perm_b32 v2, v48, v47, s10
	global_store_dwordx4 v[6:7], v[2:5], off
	v_add_co_u32_e32 v6, vcc, 0x6000, v31
	v_perm_b32 v5, v27, v26, s10
	v_perm_b32 v4, v46, v45, s10
	;; [unrolled: 1-line block ×4, first 2 shown]
	global_store_dwordx4 v29, v[2:5], s[8:9]
	v_addc_co_u32_e32 v7, vcc, 0, v30, vcc
	v_perm_b32 v5, v9, v8, s10
	v_perm_b32 v4, v13, v12, s10
	;; [unrolled: 1-line block ×4, first 2 shown]
	global_store_dwordx4 v[6:7], v[2:5], off
	s_cbranch_execnz .LBB21_2
.LBB21_4:
	s_load_dword s10, s[4:5], 0x24
	s_load_dwordx4 s[20:23], s[4:5], 0x28
	s_add_u32 s8, s4, 56
	s_addc_u32 s9, s5, 0
	v_mov_b32_e32 v31, v0
	s_waitcnt lgkmcnt(0)
	v_lshrrev_b16_e64 v8, 8, s10
	v_mov_b32_e32 v0, s16
	v_mov_b32_e32 v1, s17
	;; [unrolled: 1-line block ×12, first 2 shown]
	s_getpc_b64 s[4:5]
	s_add_u32 s4, s4, _ZN2at6native25elementwise_kernel_helperILb1EZZZNS0_12prelu_kernelERNS_14TensorIteratorEENKUlvE_clEvENKUlvE0_clEvEUlffE_NS0_6memory8policies11unroll_baseILi512ESt5arrayIPcLm3EE23TrivialOffsetCalculatorILi2EjESD_ILi1EjENS7_12LoadWithCastILi2EEENS7_13StoreWithCastILi1EEELi32ELi1EEEEEvT0_T1_@rel32@lo+4
	s_addc_u32 s5, s5, _ZN2at6native25elementwise_kernel_helperILb1EZZZNS0_12prelu_kernelERNS_14TensorIteratorEENKUlvE_clEvENKUlvE0_clEvEUlffE_NS0_6memory8policies11unroll_baseILi512ESt5arrayIPcLm3EE23TrivialOffsetCalculatorILi2EjESD_ILi1EjENS7_12LoadWithCastILi2EEENS7_13StoreWithCastILi1EEELi32ELi1EEEEEvT0_T1_@rel32@hi+12
	s_swappc_b64 s[30:31], s[4:5]
	s_endpgm
	.section	.rodata,"a",@progbits
	.p2align	6, 0x0
	.amdhsa_kernel _ZN2at6native39vectorized_templated_elementwise_kernelILi8EZZZNS0_12prelu_kernelERNS_14TensorIteratorEENKUlvE_clEvENKUlvE0_clEvEUlffE_St5arrayIPcLm3EE23TrivialOffsetCalculatorILi2EjESA_ILi1EjENS0_6memory12LoadWithCastILi2EEENSD_13StoreWithCastILi1EEEN3c108BFloat16EJSJ_fEEEviT0_T1_T2_T3_T4_T5_
		.amdhsa_group_segment_fixed_size 0
		.amdhsa_private_segment_fixed_size 288
		.amdhsa_kernarg_size 312
		.amdhsa_user_sgpr_count 8
		.amdhsa_user_sgpr_private_segment_buffer 1
		.amdhsa_user_sgpr_dispatch_ptr 0
		.amdhsa_user_sgpr_queue_ptr 0
		.amdhsa_user_sgpr_kernarg_segment_ptr 1
		.amdhsa_user_sgpr_dispatch_id 0
		.amdhsa_user_sgpr_flat_scratch_init 1
		.amdhsa_user_sgpr_kernarg_preload_length 0
		.amdhsa_user_sgpr_kernarg_preload_offset 0
		.amdhsa_user_sgpr_private_segment_size 0
		.amdhsa_uses_dynamic_stack 0
		.amdhsa_system_sgpr_private_segment_wavefront_offset 1
		.amdhsa_system_sgpr_workgroup_id_x 1
		.amdhsa_system_sgpr_workgroup_id_y 0
		.amdhsa_system_sgpr_workgroup_id_z 0
		.amdhsa_system_sgpr_workgroup_info 0
		.amdhsa_system_vgpr_workitem_id 0
		.amdhsa_next_free_vgpr 118
		.amdhsa_next_free_sgpr 98
		.amdhsa_accum_offset 120
		.amdhsa_reserve_vcc 1
		.amdhsa_reserve_flat_scratch 1
		.amdhsa_float_round_mode_32 0
		.amdhsa_float_round_mode_16_64 0
		.amdhsa_float_denorm_mode_32 3
		.amdhsa_float_denorm_mode_16_64 3
		.amdhsa_dx10_clamp 1
		.amdhsa_ieee_mode 1
		.amdhsa_fp16_overflow 0
		.amdhsa_tg_split 0
		.amdhsa_exception_fp_ieee_invalid_op 0
		.amdhsa_exception_fp_denorm_src 0
		.amdhsa_exception_fp_ieee_div_zero 0
		.amdhsa_exception_fp_ieee_overflow 0
		.amdhsa_exception_fp_ieee_underflow 0
		.amdhsa_exception_fp_ieee_inexact 0
		.amdhsa_exception_int_div_zero 0
	.end_amdhsa_kernel
	.section	.text._ZN2at6native39vectorized_templated_elementwise_kernelILi8EZZZNS0_12prelu_kernelERNS_14TensorIteratorEENKUlvE_clEvENKUlvE0_clEvEUlffE_St5arrayIPcLm3EE23TrivialOffsetCalculatorILi2EjESA_ILi1EjENS0_6memory12LoadWithCastILi2EEENSD_13StoreWithCastILi1EEEN3c108BFloat16EJSJ_fEEEviT0_T1_T2_T3_T4_T5_,"axG",@progbits,_ZN2at6native39vectorized_templated_elementwise_kernelILi8EZZZNS0_12prelu_kernelERNS_14TensorIteratorEENKUlvE_clEvENKUlvE0_clEvEUlffE_St5arrayIPcLm3EE23TrivialOffsetCalculatorILi2EjESA_ILi1EjENS0_6memory12LoadWithCastILi2EEENSD_13StoreWithCastILi1EEEN3c108BFloat16EJSJ_fEEEviT0_T1_T2_T3_T4_T5_,comdat
.Lfunc_end21:
	.size	_ZN2at6native39vectorized_templated_elementwise_kernelILi8EZZZNS0_12prelu_kernelERNS_14TensorIteratorEENKUlvE_clEvENKUlvE0_clEvEUlffE_St5arrayIPcLm3EE23TrivialOffsetCalculatorILi2EjESA_ILi1EjENS0_6memory12LoadWithCastILi2EEENSD_13StoreWithCastILi1EEEN3c108BFloat16EJSJ_fEEEviT0_T1_T2_T3_T4_T5_, .Lfunc_end21-_ZN2at6native39vectorized_templated_elementwise_kernelILi8EZZZNS0_12prelu_kernelERNS_14TensorIteratorEENKUlvE_clEvENKUlvE0_clEvEUlffE_St5arrayIPcLm3EE23TrivialOffsetCalculatorILi2EjESA_ILi1EjENS0_6memory12LoadWithCastILi2EEENSD_13StoreWithCastILi1EEEN3c108BFloat16EJSJ_fEEEviT0_T1_T2_T3_T4_T5_
                                        ; -- End function
	.section	.AMDGPU.csdata,"",@progbits
; Kernel info:
; codeLenInByte = 3204
; NumSgprs: 104
; NumVgprs: 118
; NumAgprs: 0
; TotalNumVgprs: 118
; ScratchSize: 288
; MemoryBound: 0
; FloatMode: 240
; IeeeMode: 1
; LDSByteSize: 0 bytes/workgroup (compile time only)
; SGPRBlocks: 12
; VGPRBlocks: 14
; NumSGPRsForWavesPerEU: 104
; NumVGPRsForWavesPerEU: 118
; AccumOffset: 120
; Occupancy: 4
; WaveLimiterHint : 0
; COMPUTE_PGM_RSRC2:SCRATCH_EN: 1
; COMPUTE_PGM_RSRC2:USER_SGPR: 8
; COMPUTE_PGM_RSRC2:TRAP_HANDLER: 0
; COMPUTE_PGM_RSRC2:TGID_X_EN: 1
; COMPUTE_PGM_RSRC2:TGID_Y_EN: 0
; COMPUTE_PGM_RSRC2:TGID_Z_EN: 0
; COMPUTE_PGM_RSRC2:TIDIG_COMP_CNT: 0
; COMPUTE_PGM_RSRC3_GFX90A:ACCUM_OFFSET: 29
; COMPUTE_PGM_RSRC3_GFX90A:TG_SPLIT: 0
	.section	.text._ZN2at6native39vectorized_templated_elementwise_kernelILi4EZZZNS0_12prelu_kernelERNS_14TensorIteratorEENKUlvE_clEvENKUlvE0_clEvEUlffE_St5arrayIPcLm3EE23TrivialOffsetCalculatorILi2EjESA_ILi1EjENS0_6memory12LoadWithCastILi2EEENSD_13StoreWithCastILi1EEEN3c108BFloat16EJSJ_fEEEviT0_T1_T2_T3_T4_T5_,"axG",@progbits,_ZN2at6native39vectorized_templated_elementwise_kernelILi4EZZZNS0_12prelu_kernelERNS_14TensorIteratorEENKUlvE_clEvENKUlvE0_clEvEUlffE_St5arrayIPcLm3EE23TrivialOffsetCalculatorILi2EjESA_ILi1EjENS0_6memory12LoadWithCastILi2EEENSD_13StoreWithCastILi1EEEN3c108BFloat16EJSJ_fEEEviT0_T1_T2_T3_T4_T5_,comdat
	.globl	_ZN2at6native39vectorized_templated_elementwise_kernelILi4EZZZNS0_12prelu_kernelERNS_14TensorIteratorEENKUlvE_clEvENKUlvE0_clEvEUlffE_St5arrayIPcLm3EE23TrivialOffsetCalculatorILi2EjESA_ILi1EjENS0_6memory12LoadWithCastILi2EEENSD_13StoreWithCastILi1EEEN3c108BFloat16EJSJ_fEEEviT0_T1_T2_T3_T4_T5_ ; -- Begin function _ZN2at6native39vectorized_templated_elementwise_kernelILi4EZZZNS0_12prelu_kernelERNS_14TensorIteratorEENKUlvE_clEvENKUlvE0_clEvEUlffE_St5arrayIPcLm3EE23TrivialOffsetCalculatorILi2EjESA_ILi1EjENS0_6memory12LoadWithCastILi2EEENSD_13StoreWithCastILi1EEEN3c108BFloat16EJSJ_fEEEviT0_T1_T2_T3_T4_T5_
	.p2align	8
	.type	_ZN2at6native39vectorized_templated_elementwise_kernelILi4EZZZNS0_12prelu_kernelERNS_14TensorIteratorEENKUlvE_clEvENKUlvE0_clEvEUlffE_St5arrayIPcLm3EE23TrivialOffsetCalculatorILi2EjESA_ILi1EjENS0_6memory12LoadWithCastILi2EEENSD_13StoreWithCastILi1EEEN3c108BFloat16EJSJ_fEEEviT0_T1_T2_T3_T4_T5_,@function
_ZN2at6native39vectorized_templated_elementwise_kernelILi4EZZZNS0_12prelu_kernelERNS_14TensorIteratorEENKUlvE_clEvENKUlvE0_clEvEUlffE_St5arrayIPcLm3EE23TrivialOffsetCalculatorILi2EjESA_ILi1EjENS0_6memory12LoadWithCastILi2EEENSD_13StoreWithCastILi1EEEN3c108BFloat16EJSJ_fEEEviT0_T1_T2_T3_T4_T5_: ; @_ZN2at6native39vectorized_templated_elementwise_kernelILi4EZZZNS0_12prelu_kernelERNS_14TensorIteratorEENKUlvE_clEvENKUlvE0_clEvEUlffE_St5arrayIPcLm3EE23TrivialOffsetCalculatorILi2EjESA_ILi1EjENS0_6memory12LoadWithCastILi2EEENSD_13StoreWithCastILi1EEEN3c108BFloat16EJSJ_fEEEviT0_T1_T2_T3_T4_T5_
; %bb.0:
	s_add_u32 flat_scratch_lo, s6, s9
	s_addc_u32 flat_scratch_hi, s7, 0
	s_add_u32 s0, s0, s9
	s_load_dword s6, s[4:5], 0x38
	s_load_dwordx2 s[54:55], s[4:5], 0x18
	s_load_dword s7, s[4:5], 0x0
	s_load_dwordx4 s[56:59], s[4:5], 0x8
	s_addc_u32 s1, s1, 0
	s_mov_b32 s33, s8
	s_not_b32 s8, s8
	s_waitcnt lgkmcnt(0)
	s_add_i32 s6, s6, s8
	s_lshl_b32 s6, s6, 14
	s_sub_i32 s64, s7, s6
	s_cmpk_gt_i32 s64, 0x3fff
	s_mov_b64 s[8:9], -1
	s_mov_b32 s32, 0
	s_cbranch_scc1 .LBB22_3
; %bb.1:
	s_andn2_b64 vcc, exec, s[8:9]
	s_cbranch_vccz .LBB22_4
.LBB22_2:
	s_endpgm
.LBB22_3:
	s_ashr_i32 s7, s6, 31
	s_lshl_b64 s[60:61], s[6:7], 1
	s_add_u32 s20, s58, s60
	s_addc_u32 s21, s59, s61
	v_lshlrev_b32_e32 v30, 3, v0
	v_mov_b32_e32 v1, s21
	v_add_co_u32_e32 v34, vcc, s20, v30
	v_addc_co_u32_e32 v35, vcc, 0, v1, vcc
	s_movk_i32 s66, 0x1000
	s_lshl_b64 s[6:7], s[6:7], 2
	s_add_u32 s62, s54, s6
	v_add_co_u32_e32 v6, vcc, s66, v34
	v_or_b32_e32 v11, 0x800, v0
	s_addc_u32 s63, s55, s7
	v_lshlrev_b32_e32 v1, 4, v0
	v_addc_co_u32_e32 v7, vcc, 0, v35, vcc
	v_lshlrev_b32_e32 v32, 3, v11
	global_load_dwordx2 v[28:29], v30, s[20:21]
	global_load_dwordx2 v[22:23], v32, s[20:21]
	global_load_dwordx2 v[42:43], v[6:7], off
	v_mov_b32_e32 v6, s63
	v_add_co_u32_e32 v36, vcc, s62, v1
	v_addc_co_u32_e32 v37, vcc, 0, v6, vcc
	s_movk_i32 s6, 0x2000
	v_add_co_u32_e32 v6, vcc, s6, v36
	global_load_dwordx4 v[2:5], v1, s[62:63]
	v_addc_co_u32_e32 v7, vcc, 0, v37, vcc
	global_load_dwordx4 v[38:41], v[6:7], off
	v_or_b32_e32 v10, 0x400, v0
	v_lshlrev_b32_e32 v1, 4, v10
	global_load_dwordx4 v[6:9], v1, s[62:63]
	s_movk_i32 s67, 0x3000
	v_lshlrev_b32_e32 v33, 3, v10
	v_add_co_u32_e32 v10, vcc, s67, v34
	s_movk_i32 s6, 0x6000
	v_lshlrev_b32_e32 v47, 4, v11
	v_addc_co_u32_e32 v11, vcc, 0, v35, vcc
	global_load_dwordx2 v[26:27], v33, s[20:21]
	global_load_dwordx2 v[24:25], v[10:11], off
	v_add_co_u32_e32 v10, vcc, s6, v36
	v_addc_co_u32_e32 v11, vcc, 0, v37, vcc
	global_load_dwordx4 v[18:21], v[10:11], off
	s_mov_b32 s7, 0xa000
	v_add_co_u32_e32 v44, vcc, s7, v36
	v_addc_co_u32_e32 v45, vcc, 0, v37, vcc
	global_load_dwordx4 v[14:17], v47, s[62:63]
	global_load_dwordx4 v[10:13], v[44:45], off
	s_movk_i32 s65, 0x7fff
	v_or_b32_e32 v46, 0xc00, v0
	v_lshlrev_b32_e32 v31, 3, v46
	s_movk_i32 s68, 0x5000
	s_mov_b32 s22, 0xe000
	v_mov_b32_e32 v1, 0x7fc00000
	s_waitcnt vmcnt(10)
	v_lshlrev_b32_e32 v44, 16, v28
	v_and_b32_e32 v45, 0xffff0000, v28
	v_lshlrev_b32_e32 v47, 16, v29
	v_and_b32_e32 v48, 0xffff0000, v29
	s_waitcnt vmcnt(8)
	v_lshlrev_b32_e32 v29, 16, v43
	v_and_b32_e32 v28, 0xffff0000, v43
	v_lshlrev_b32_e32 v53, 16, v42
	v_and_b32_e32 v54, 0xffff0000, v42
	;; [unrolled: 2-line block ×3, first 2 shown]
	v_lshlrev_b32_e32 v65, 16, v23
	s_waitcnt vmcnt(7)
	v_bfe_u32 v50, v3, 16, 1
	v_add3_u32 v43, v3, v50, s65
	v_cmp_o_f32_e64 s[16:17], v3, v3
	s_waitcnt vmcnt(6)
	v_bfe_u32 v3, v38, 16, 1
	v_bfe_u32 v49, v2, 16, 1
	;; [unrolled: 1-line block ×3, first 2 shown]
	v_add3_u32 v3, v38, v3, s65
	v_add3_u32 v42, v2, v49, s65
	;; [unrolled: 1-line block ×3, first 2 shown]
	v_cmp_o_f32_e64 s[14:15], v4, v4
	v_and_b32_e32 v55, 0xffff0000, v3
	v_bfe_u32 v3, v39, 16, 1
	v_bfe_u32 v4, v40, 16, 1
	v_add3_u32 v3, v39, v3, s65
	v_add3_u32 v4, v40, v4, s65
	v_and_b32_e32 v56, 0xffff0000, v3
	v_lshlrev_b32_e32 v3, 4, v46
	v_and_b32_e32 v46, 0xffff0000, v4
	v_bfe_u32 v4, v41, 16, 1
	v_add3_u32 v4, v41, v4, s65
	v_bfe_u32 v52, v5, 16, 1
	v_and_b32_e32 v57, 0xffff0000, v4
	v_add_co_u32_e64 v4, s[18:19], s68, v34
	v_add3_u32 v50, v5, v52, s65
	v_cmp_o_f32_e64 s[12:13], v5, v5
	v_addc_co_u32_e64 v5, s[18:19], 0, v35, s[18:19]
	s_movk_i32 s18, 0x7000
	v_add_co_u32_e64 v34, s[18:19], s18, v34
	s_waitcnt vmcnt(5)
	v_bfe_u32 v58, v6, 16, 1
	v_addc_co_u32_e64 v35, s[18:19], 0, v35, s[18:19]
	v_and_b32_e32 v51, 0xffff0000, v42
	v_and_b32_e32 v52, 0xffff0000, v43
	v_cmp_o_f32_e64 s[10:11], v38, v38
	v_cmp_o_f32_e64 s[8:9], v39, v39
	;; [unrolled: 1-line block ×3, first 2 shown]
	v_cmp_o_f32_e32 vcc, v41, v41
	global_load_dwordx2 v[38:39], v[34:35], off
	global_load_dwordx2 v[40:41], v31, s[20:21]
	global_load_dwordx2 v[42:43], v[4:5], off
	v_add3_u32 v4, v6, v58, s65
	v_add_co_u32_e64 v34, s[18:19], s22, v36
	v_and_b32_e32 v36, 0xffff0000, v4
	v_bfe_u32 v4, v7, 16, 1
	v_add3_u32 v4, v7, v4, s65
	v_addc_co_u32_e64 v35, s[18:19], 0, v37, s[18:19]
	v_and_b32_e32 v37, 0xffff0000, v4
	v_bfe_u32 v4, v8, 16, 1
	v_add3_u32 v4, v8, v4, s65
	v_and_b32_e32 v58, 0xffff0000, v4
	v_bfe_u32 v4, v9, 16, 1
	v_add3_u32 v4, v9, v4, s65
	v_and_b32_e32 v59, 0xffff0000, v4
	s_waitcnt vmcnt(5)
	v_bfe_u32 v4, v18, 16, 1
	v_add3_u32 v4, v18, v4, s65
	v_and_b32_e32 v60, 0xffff0000, v4
	v_bfe_u32 v4, v19, 16, 1
	v_add3_u32 v4, v19, v4, s65
	v_cmp_o_f32_e64 s[24:25], v18, v18
	v_and_b32_e32 v18, 0xffff0000, v4
	v_bfe_u32 v4, v20, 16, 1
	v_add3_u32 v4, v20, v4, s65
	v_cmp_o_f32_e64 s[26:27], v19, v19
	;; [unrolled: 4-line block ×3, first 2 shown]
	v_and_b32_e32 v20, 0xffff0000, v4
	s_waitcnt vmcnt(4)
	v_bfe_u32 v4, v14, 16, 1
	v_add3_u32 v4, v14, v4, s65
	v_cmp_o_f32_e64 s[34:35], v21, v21
	v_and_b32_e32 v21, 0xffff0000, v4
	v_bfe_u32 v4, v15, 16, 1
	v_add3_u32 v4, v15, v4, s65
	v_cmp_o_f32_e64 s[36:37], v14, v14
	v_and_b32_e32 v14, 0xffff0000, v4
	;; [unrolled: 4-line block ×4, first 2 shown]
	s_waitcnt vmcnt(3)
	v_bfe_u32 v4, v10, 16, 1
	v_add3_u32 v4, v10, v4, s65
	v_cmp_o_f32_e64 s[42:43], v17, v17
	v_and_b32_e32 v17, 0xffff0000, v4
	v_bfe_u32 v4, v11, 16, 1
	v_add3_u32 v4, v11, v4, s65
	v_cmp_o_f32_e64 s[44:45], v10, v10
	v_and_b32_e32 v10, 0xffff0000, v4
	;; [unrolled: 4-line block ×3, first 2 shown]
	v_bfe_u32 v4, v13, 16, 1
	v_add3_u32 v4, v13, v4, s65
	v_cmp_o_f32_e64 s[52:53], v2, v2
	v_cmp_o_f32_e64 s[28:29], v6, v6
	;; [unrolled: 1-line block ×3, first 2 shown]
	v_and_b32_e32 v12, 0xffff0000, v4
	global_load_dwordx4 v[2:5], v3, s[62:63]
	v_cndmask_b32_e64 v6, v1, v51, s[52:53]
	v_mul_f32_e32 v6, v6, v44
	v_cmp_lt_f32_e64 s[52:53], 0, v44
	v_cndmask_b32_e64 v44, v6, v44, s[52:53]
	v_cndmask_b32_e64 v6, v1, v52, s[16:17]
	v_mul_f32_e32 v6, v6, v45
	v_cmp_lt_f32_e64 s[16:17], 0, v45
	v_cmp_o_f32_e64 s[22:23], v7, v7
	v_cmp_o_f32_e64 s[18:19], v8, v8
	v_cmp_o_f32_e64 s[20:21], v9, v9
	v_cndmask_b32_e64 v45, v6, v45, s[16:17]
	global_load_dwordx4 v[6:9], v[34:35], off
	v_and_b32_e32 v49, 0xffff0000, v49
	v_cndmask_b32_e64 v34, v1, v49, s[14:15]
	v_cndmask_b32_e64 v49, v1, v55, s[10:11]
	v_mul_f32_e32 v49, v49, v53
	v_cmp_lt_f32_e64 s[10:11], 0, v53
	v_and_b32_e32 v50, 0xffff0000, v50
	v_mul_f32_e32 v34, v34, v47
	v_cmp_lt_f32_e64 s[14:15], 0, v47
	v_cndmask_b32_e64 v49, v49, v53, s[10:11]
	v_cndmask_b32_e32 v53, v1, v57, vcc
	v_cmp_o_f32_e64 s[50:51], v13, v13
	v_lshlrev_b32_e32 v13, 16, v26
	v_cndmask_b32_e64 v34, v34, v47, s[14:15]
	v_cndmask_b32_e64 v47, v1, v50, s[12:13]
	v_mul_f32_e32 v53, v53, v28
	v_cmp_lt_f32_e32 vcc, 0, v28
	v_cndmask_b32_e64 v36, v1, v36, s[28:29]
	v_and_b32_e32 v26, 0xffff0000, v26
	v_mul_f32_e32 v47, v47, v48
	v_cmp_lt_f32_e64 s[12:13], 0, v48
	v_cndmask_b32_e32 v28, v53, v28, vcc
	v_mul_f32_e32 v36, v36, v13
	v_cmp_lt_f32_e32 vcc, 0, v13
	v_cndmask_b32_e64 v37, v1, v37, s[22:23]
	v_cndmask_b32_e64 v47, v47, v48, s[12:13]
	v_cndmask_b32_e32 v13, v36, v13, vcc
	v_mul_f32_e32 v37, v37, v26
	v_cmp_lt_f32_e32 vcc, 0, v26
	v_cndmask_b32_e64 v46, v1, v46, s[6:7]
	v_cndmask_b32_e32 v26, v37, v26, vcc
	v_mul_f32_e32 v46, v46, v29
	v_cmp_lt_f32_e64 s[6:7], 0, v29
	v_cndmask_b32_e64 v29, v46, v29, s[6:7]
	v_cndmask_b32_e64 v51, v1, v56, s[8:9]
	v_mul_f32_e32 v51, v51, v54
	v_cmp_lt_f32_e64 s[8:9], 0, v54
	v_lshlrev_b32_e32 v61, 16, v27
	v_cndmask_b32_e64 v51, v51, v54, s[8:9]
	v_cndmask_b32_e64 v54, v1, v58, s[18:19]
	v_and_b32_e32 v27, 0xffff0000, v27
	v_cndmask_b32_e64 v55, v1, v59, s[20:21]
	v_lshlrev_b32_e32 v62, 16, v24
	v_cndmask_b32_e64 v56, v1, v60, s[24:25]
	v_and_b32_e32 v24, 0xffff0000, v24
	v_cndmask_b32_e64 v18, v1, v18, s[26:27]
	v_lshlrev_b32_e32 v63, 16, v25
	v_cndmask_b32_e64 v19, v1, v19, s[30:31]
	v_mul_f32_e32 v18, v18, v24
	v_and_b32_e32 v25, 0xffff0000, v25
	v_cndmask_b32_e64 v20, v1, v20, s[34:35]
	v_mul_f32_e32 v19, v19, v63
	v_cndmask_b32_e64 v21, v1, v21, s[36:37]
	v_mul_f32_e32 v20, v20, v25
	v_cndmask_b32_e64 v14, v1, v14, s[38:39]
	v_mul_f32_e32 v21, v21, v64
	v_cndmask_b32_e64 v15, v1, v15, s[40:41]
	v_mul_f32_e32 v14, v14, v22
	v_and_b32_e32 v23, 0xffff0000, v23
	v_cndmask_b32_e64 v16, v1, v16, s[42:43]
	v_mul_f32_e32 v15, v15, v65
	s_waitcnt vmcnt(2)
	v_lshlrev_b32_e32 v66, 16, v42
	v_cndmask_b32_e64 v17, v1, v17, s[44:45]
	v_mul_f32_e32 v16, v16, v23
	v_and_b32_e32 v42, 0xffff0000, v42
	v_cndmask_b32_e64 v10, v1, v10, s[46:47]
	v_mul_f32_e32 v17, v17, v66
	v_lshlrev_b32_e32 v67, 16, v43
	s_waitcnt vmcnt(1)
	v_bfe_u32 v35, v2, 16, 1
	v_add3_u32 v35, v2, v35, s65
	v_bfe_u32 v48, v3, 16, 1
	v_and_b32_e32 v35, 0xffff0000, v35
	v_add3_u32 v48, v3, v48, s65
	v_bfe_u32 v50, v4, 16, 1
	v_cmp_o_f32_e32 vcc, v2, v2
	v_and_b32_e32 v48, 0xffff0000, v48
	v_add3_u32 v50, v4, v50, s65
	v_bfe_u32 v52, v5, 16, 1
	v_cndmask_b32_e32 v2, v1, v35, vcc
	v_cmp_o_f32_e32 vcc, v3, v3
	v_and_b32_e32 v50, 0xffff0000, v50
	v_add3_u32 v52, v5, v52, s65
	s_waitcnt vmcnt(0)
	v_bfe_u32 v46, v6, 16, 1
	v_cndmask_b32_e32 v3, v1, v48, vcc
	v_cmp_o_f32_e32 vcc, v4, v4
	v_and_b32_e32 v52, 0xffff0000, v52
	v_add3_u32 v46, v6, v46, s65
	v_bfe_u32 v53, v7, 16, 1
	v_cndmask_b32_e32 v4, v1, v50, vcc
	v_cmp_o_f32_e32 vcc, v5, v5
	v_and_b32_e32 v46, 0xffff0000, v46
	v_add3_u32 v53, v7, v53, s65
	;; [unrolled: 5-line block ×4, first 2 shown]
	v_cndmask_b32_e32 v7, v1, v53, vcc
	v_cmp_o_f32_e32 vcc, v8, v8
	v_and_b32_e32 v37, 0xffff0000, v37
	v_cndmask_b32_e32 v8, v1, v36, vcc
	v_cmp_o_f32_e32 vcc, v9, v9
	v_cndmask_b32_e32 v9, v1, v37, vcc
	v_mul_f32_e32 v35, v54, v61
	v_cmp_lt_f32_e32 vcc, 0, v61
	v_cndmask_b32_e32 v35, v35, v61, vcc
	v_mul_f32_e32 v36, v55, v27
	v_cmp_lt_f32_e32 vcc, 0, v27
	;; [unrolled: 3-line block ×3, first 2 shown]
	v_cndmask_b32_e32 v36, v36, v62, vcc
	v_cmp_lt_f32_e32 vcc, 0, v24
	v_cndmask_b32_e32 v18, v18, v24, vcc
	v_cmp_lt_f32_e32 vcc, 0, v63
	v_cndmask_b32_e32 v19, v19, v63, vcc
	v_cmp_lt_f32_e32 vcc, 0, v25
	v_cndmask_b32_e32 v20, v20, v25, vcc
	v_cmp_lt_f32_e32 vcc, 0, v64
	v_cndmask_b32_e32 v21, v21, v64, vcc
	v_cmp_lt_f32_e32 vcc, 0, v22
	v_cndmask_b32_e32 v14, v14, v22, vcc
	v_cmp_lt_f32_e32 vcc, 0, v65
	v_cndmask_b32_e32 v15, v15, v65, vcc
	v_cmp_lt_f32_e32 vcc, 0, v23
	v_cndmask_b32_e32 v16, v16, v23, vcc
	v_cmp_lt_f32_e32 vcc, 0, v66
	v_cndmask_b32_e64 v11, v1, v11, s[48:49]
	v_cndmask_b32_e32 v17, v17, v66, vcc
	v_mul_f32_e32 v10, v10, v42
	v_cmp_lt_f32_e32 vcc, 0, v42
	v_and_b32_e32 v43, 0xffff0000, v43
	v_cndmask_b32_e64 v12, v1, v12, s[50:51]
	v_cndmask_b32_e32 v10, v10, v42, vcc
	v_mul_f32_e32 v11, v11, v67
	v_cmp_lt_f32_e32 vcc, 0, v67
	v_lshlrev_b32_e32 v68, 16, v40
	v_cndmask_b32_e32 v11, v11, v67, vcc
	v_mul_f32_e32 v12, v12, v43
	v_cmp_lt_f32_e32 vcc, 0, v43
	v_and_b32_e32 v40, 0xffff0000, v40
	v_cndmask_b32_e32 v12, v12, v43, vcc
	v_mul_f32_e32 v2, v2, v68
	v_cmp_lt_f32_e32 vcc, 0, v68
	v_lshlrev_b32_e32 v69, 16, v41
	v_cndmask_b32_e32 v22, v2, v68, vcc
	v_mul_f32_e32 v2, v3, v40
	v_cmp_lt_f32_e32 vcc, 0, v40
	v_and_b32_e32 v41, 0xffff0000, v41
	;; [unrolled: 8-line block ×4, first 2 shown]
	v_cndmask_b32_e32 v7, v2, v38, vcc
	v_mul_f32_e32 v2, v8, v71
	v_cmp_lt_f32_e32 vcc, 0, v71
	s_add_u32 s6, s56, s60
	v_cndmask_b32_e32 v8, v2, v71, vcc
	v_mul_f32_e32 v2, v9, v39
	v_cmp_lt_f32_e32 vcc, 0, v39
	s_addc_u32 s7, s57, s61
	v_cndmask_b32_e32 v9, v2, v39, vcc
	v_bfe_u32 v5, v47, 16, 1
	v_mov_b32_e32 v37, s7
	v_add_co_u32_e32 v38, vcc, s6, v30
	v_bfe_u32 v4, v34, 16, 1
	v_add3_u32 v5, v47, v5, s65
	v_addc_co_u32_e32 v37, vcc, 0, v37, vcc
	v_bfe_u32 v3, v45, 16, 1
	v_add3_u32 v4, v34, v4, s65
	v_and_b32_e32 v5, 0xffff0000, v5
	v_cmp_o_f32_e32 vcc, v47, v47
	v_bfe_u32 v2, v44, 16, 1
	v_add3_u32 v3, v45, v3, s65
	v_lshrrev_b32_e32 v4, 16, v4
	v_cndmask_b32_e32 v5, v1, v5, vcc
	v_mov_b32_e32 v39, 0x7fc0
	v_cmp_o_f32_e32 vcc, v34, v34
	v_add3_u32 v2, v44, v2, s65
	v_and_b32_e32 v3, 0xffff0000, v3
	v_cndmask_b32_e32 v4, v39, v4, vcc
	v_cmp_o_f32_e32 vcc, v45, v45
	v_lshrrev_b32_e32 v2, 16, v2
	v_cndmask_b32_e32 v3, v1, v3, vcc
	v_cmp_o_f32_e32 vcc, v44, v44
	v_cndmask_b32_e32 v2, v39, v2, vcc
	v_or_b32_e32 v2, v3, v2
	v_or3_b32 v3, 0, v4, v5
	v_bfe_u32 v5, v28, 16, 1
	v_or3_b32 v2, v2, 0, 0
	v_bfe_u32 v4, v29, 16, 1
	v_add3_u32 v5, v28, v5, s65
	global_store_dwordx2 v30, v[2:3], s[6:7]
	v_bfe_u32 v3, v51, 16, 1
	v_add3_u32 v4, v29, v4, s65
	v_and_b32_e32 v5, 0xffff0000, v5
	v_cmp_o_f32_e32 vcc, v28, v28
	v_bfe_u32 v2, v49, 16, 1
	v_add3_u32 v3, v51, v3, s65
	v_lshrrev_b32_e32 v4, 16, v4
	v_cndmask_b32_e32 v5, v1, v5, vcc
	v_cmp_o_f32_e32 vcc, v29, v29
	v_add3_u32 v2, v49, v2, s65
	v_and_b32_e32 v3, 0xffff0000, v3
	v_cndmask_b32_e32 v4, v39, v4, vcc
	v_cmp_o_f32_e32 vcc, v51, v51
	v_lshrrev_b32_e32 v2, 16, v2
	v_cndmask_b32_e32 v3, v1, v3, vcc
	v_cmp_o_f32_e32 vcc, v49, v49
	v_cndmask_b32_e32 v2, v39, v2, vcc
	v_or_b32_e32 v2, v3, v2
	v_or3_b32 v3, 0, v4, v5
	v_add_co_u32_e32 v4, vcc, s66, v38
	v_or3_b32 v2, v2, 0, 0
	v_addc_co_u32_e32 v5, vcc, 0, v37, vcc
	global_store_dwordx2 v[4:5], v[2:3], off
	v_bfe_u32 v5, v27, 16, 1
	v_bfe_u32 v4, v35, 16, 1
	v_add3_u32 v5, v27, v5, s65
	v_bfe_u32 v3, v26, 16, 1
	v_add3_u32 v4, v35, v4, s65
	v_and_b32_e32 v5, 0xffff0000, v5
	v_cmp_o_f32_e32 vcc, v27, v27
	v_bfe_u32 v2, v13, 16, 1
	v_add3_u32 v3, v26, v3, s65
	v_lshrrev_b32_e32 v4, 16, v4
	v_cndmask_b32_e32 v5, v1, v5, vcc
	v_cmp_o_f32_e32 vcc, v35, v35
	v_add3_u32 v2, v13, v2, s65
	v_and_b32_e32 v3, 0xffff0000, v3
	v_cndmask_b32_e32 v4, v39, v4, vcc
	v_cmp_o_f32_e32 vcc, v26, v26
	v_lshrrev_b32_e32 v2, 16, v2
	v_cndmask_b32_e32 v3, v1, v3, vcc
	v_cmp_o_f32_e32 vcc, v13, v13
	v_cndmask_b32_e32 v2, v39, v2, vcc
	v_or_b32_e32 v2, v3, v2
	v_or3_b32 v3, 0, v4, v5
	v_bfe_u32 v5, v20, 16, 1
	v_or3_b32 v2, v2, 0, 0
	v_bfe_u32 v4, v19, 16, 1
	v_add3_u32 v5, v20, v5, s65
	global_store_dwordx2 v33, v[2:3], s[6:7]
	v_bfe_u32 v3, v18, 16, 1
	v_add3_u32 v4, v19, v4, s65
	v_and_b32_e32 v5, 0xffff0000, v5
	v_cmp_o_f32_e32 vcc, v20, v20
	v_bfe_u32 v2, v36, 16, 1
	v_add3_u32 v3, v18, v3, s65
	v_lshrrev_b32_e32 v4, 16, v4
	v_cndmask_b32_e32 v5, v1, v5, vcc
	v_cmp_o_f32_e32 vcc, v19, v19
	v_add3_u32 v2, v36, v2, s65
	v_and_b32_e32 v3, 0xffff0000, v3
	v_cndmask_b32_e32 v4, v39, v4, vcc
	v_cmp_o_f32_e32 vcc, v18, v18
	v_lshrrev_b32_e32 v2, 16, v2
	v_cndmask_b32_e32 v3, v1, v3, vcc
	v_cmp_o_f32_e32 vcc, v36, v36
	v_cndmask_b32_e32 v2, v39, v2, vcc
	v_or_b32_e32 v2, v3, v2
	v_or3_b32 v3, 0, v4, v5
	v_add_co_u32_e32 v4, vcc, s67, v38
	v_or3_b32 v2, v2, 0, 0
	v_addc_co_u32_e32 v5, vcc, 0, v37, vcc
	global_store_dwordx2 v[4:5], v[2:3], off
	v_bfe_u32 v5, v16, 16, 1
	v_bfe_u32 v4, v15, 16, 1
	v_add3_u32 v5, v16, v5, s65
	v_bfe_u32 v3, v14, 16, 1
	v_add3_u32 v4, v15, v4, s65
	v_and_b32_e32 v5, 0xffff0000, v5
	v_cmp_o_f32_e32 vcc, v16, v16
	v_bfe_u32 v2, v21, 16, 1
	v_add3_u32 v3, v14, v3, s65
	v_lshrrev_b32_e32 v4, 16, v4
	v_cndmask_b32_e32 v5, v1, v5, vcc
	;; [unrolled: 50-line block ×3, first 2 shown]
	v_cmp_o_f32_e32 vcc, v24, v24
	v_add3_u32 v2, v22, v2, s65
	v_and_b32_e32 v3, 0xffff0000, v3
	v_cndmask_b32_e32 v4, v39, v4, vcc
	v_cmp_o_f32_e32 vcc, v23, v23
	v_lshrrev_b32_e32 v2, 16, v2
	v_cndmask_b32_e32 v3, v1, v3, vcc
	v_cmp_o_f32_e32 vcc, v22, v22
	v_cndmask_b32_e32 v2, v39, v2, vcc
	v_or_b32_e32 v2, v3, v2
	v_or3_b32 v3, 0, v4, v5
	v_bfe_u32 v5, v9, 16, 1
	v_or3_b32 v2, v2, 0, 0
	v_bfe_u32 v4, v8, 16, 1
	v_add3_u32 v5, v9, v5, s65
	global_store_dwordx2 v31, v[2:3], s[6:7]
	v_bfe_u32 v3, v7, 16, 1
	v_add3_u32 v4, v8, v4, s65
	v_and_b32_e32 v5, 0xffff0000, v5
	v_cmp_o_f32_e32 vcc, v9, v9
	v_bfe_u32 v2, v6, 16, 1
	v_add3_u32 v3, v7, v3, s65
	v_lshrrev_b32_e32 v4, 16, v4
	v_cndmask_b32_e32 v5, v1, v5, vcc
	v_cmp_o_f32_e32 vcc, v8, v8
	v_add3_u32 v2, v6, v2, s65
	v_and_b32_e32 v3, 0xffff0000, v3
	v_cndmask_b32_e32 v4, v39, v4, vcc
	v_cmp_o_f32_e32 vcc, v7, v7
	v_lshrrev_b32_e32 v2, 16, v2
	v_cndmask_b32_e32 v1, v1, v3, vcc
	v_cmp_o_f32_e32 vcc, v6, v6
	v_cndmask_b32_e32 v2, v39, v2, vcc
	v_or_b32_e32 v1, v1, v2
	v_or3_b32 v3, 0, v4, v5
	v_add_co_u32_e32 v4, vcc, 0x7000, v38
	v_or3_b32 v2, v1, 0, 0
	v_addc_co_u32_e32 v5, vcc, 0, v37, vcc
	global_store_dwordx2 v[4:5], v[2:3], off
	s_cbranch_execnz .LBB22_2
.LBB22_4:
	s_load_dword s6, s[4:5], 0x24
	s_load_dwordx4 s[16:19], s[4:5], 0x28
	s_add_u32 s8, s4, 56
	s_addc_u32 s9, s5, 0
	s_mov_b32 s12, s33
	s_waitcnt lgkmcnt(0)
	v_lshrrev_b16_e64 v8, 8, s6
	v_mov_b32_e32 v31, v0
	v_mov_b32_e32 v0, s56
	;; [unrolled: 1-line block ×13, first 2 shown]
	s_getpc_b64 s[4:5]
	s_add_u32 s4, s4, _ZN2at6native25elementwise_kernel_helperILb1EZZZNS0_12prelu_kernelERNS_14TensorIteratorEENKUlvE_clEvENKUlvE0_clEvEUlffE_NS0_6memory8policies11unroll_baseILi512ESt5arrayIPcLm3EE23TrivialOffsetCalculatorILi2EjESD_ILi1EjENS7_12LoadWithCastILi2EEENS7_13StoreWithCastILi1EEELi32ELi1EEEEEvT0_T1_@rel32@lo+4
	s_addc_u32 s5, s5, _ZN2at6native25elementwise_kernel_helperILb1EZZZNS0_12prelu_kernelERNS_14TensorIteratorEENKUlvE_clEvENKUlvE0_clEvEUlffE_NS0_6memory8policies11unroll_baseILi512ESt5arrayIPcLm3EE23TrivialOffsetCalculatorILi2EjESD_ILi1EjENS7_12LoadWithCastILi2EEENS7_13StoreWithCastILi1EEELi32ELi1EEEEEvT0_T1_@rel32@hi+12
	s_swappc_b64 s[30:31], s[4:5]
	s_endpgm
	.section	.rodata,"a",@progbits
	.p2align	6, 0x0
	.amdhsa_kernel _ZN2at6native39vectorized_templated_elementwise_kernelILi4EZZZNS0_12prelu_kernelERNS_14TensorIteratorEENKUlvE_clEvENKUlvE0_clEvEUlffE_St5arrayIPcLm3EE23TrivialOffsetCalculatorILi2EjESA_ILi1EjENS0_6memory12LoadWithCastILi2EEENSD_13StoreWithCastILi1EEEN3c108BFloat16EJSJ_fEEEviT0_T1_T2_T3_T4_T5_
		.amdhsa_group_segment_fixed_size 0
		.amdhsa_private_segment_fixed_size 288
		.amdhsa_kernarg_size 312
		.amdhsa_user_sgpr_count 8
		.amdhsa_user_sgpr_private_segment_buffer 1
		.amdhsa_user_sgpr_dispatch_ptr 0
		.amdhsa_user_sgpr_queue_ptr 0
		.amdhsa_user_sgpr_kernarg_segment_ptr 1
		.amdhsa_user_sgpr_dispatch_id 0
		.amdhsa_user_sgpr_flat_scratch_init 1
		.amdhsa_user_sgpr_kernarg_preload_length 0
		.amdhsa_user_sgpr_kernarg_preload_offset 0
		.amdhsa_user_sgpr_private_segment_size 0
		.amdhsa_uses_dynamic_stack 0
		.amdhsa_system_sgpr_private_segment_wavefront_offset 1
		.amdhsa_system_sgpr_workgroup_id_x 1
		.amdhsa_system_sgpr_workgroup_id_y 0
		.amdhsa_system_sgpr_workgroup_id_z 0
		.amdhsa_system_sgpr_workgroup_info 0
		.amdhsa_system_vgpr_workitem_id 0
		.amdhsa_next_free_vgpr 118
		.amdhsa_next_free_sgpr 98
		.amdhsa_accum_offset 120
		.amdhsa_reserve_vcc 1
		.amdhsa_reserve_flat_scratch 1
		.amdhsa_float_round_mode_32 0
		.amdhsa_float_round_mode_16_64 0
		.amdhsa_float_denorm_mode_32 3
		.amdhsa_float_denorm_mode_16_64 3
		.amdhsa_dx10_clamp 1
		.amdhsa_ieee_mode 1
		.amdhsa_fp16_overflow 0
		.amdhsa_tg_split 0
		.amdhsa_exception_fp_ieee_invalid_op 0
		.amdhsa_exception_fp_denorm_src 0
		.amdhsa_exception_fp_ieee_div_zero 0
		.amdhsa_exception_fp_ieee_overflow 0
		.amdhsa_exception_fp_ieee_underflow 0
		.amdhsa_exception_fp_ieee_inexact 0
		.amdhsa_exception_int_div_zero 0
	.end_amdhsa_kernel
	.section	.text._ZN2at6native39vectorized_templated_elementwise_kernelILi4EZZZNS0_12prelu_kernelERNS_14TensorIteratorEENKUlvE_clEvENKUlvE0_clEvEUlffE_St5arrayIPcLm3EE23TrivialOffsetCalculatorILi2EjESA_ILi1EjENS0_6memory12LoadWithCastILi2EEENSD_13StoreWithCastILi1EEEN3c108BFloat16EJSJ_fEEEviT0_T1_T2_T3_T4_T5_,"axG",@progbits,_ZN2at6native39vectorized_templated_elementwise_kernelILi4EZZZNS0_12prelu_kernelERNS_14TensorIteratorEENKUlvE_clEvENKUlvE0_clEvEUlffE_St5arrayIPcLm3EE23TrivialOffsetCalculatorILi2EjESA_ILi1EjENS0_6memory12LoadWithCastILi2EEENSD_13StoreWithCastILi1EEEN3c108BFloat16EJSJ_fEEEviT0_T1_T2_T3_T4_T5_,comdat
.Lfunc_end22:
	.size	_ZN2at6native39vectorized_templated_elementwise_kernelILi4EZZZNS0_12prelu_kernelERNS_14TensorIteratorEENKUlvE_clEvENKUlvE0_clEvEUlffE_St5arrayIPcLm3EE23TrivialOffsetCalculatorILi2EjESA_ILi1EjENS0_6memory12LoadWithCastILi2EEENSD_13StoreWithCastILi1EEEN3c108BFloat16EJSJ_fEEEviT0_T1_T2_T3_T4_T5_, .Lfunc_end22-_ZN2at6native39vectorized_templated_elementwise_kernelILi4EZZZNS0_12prelu_kernelERNS_14TensorIteratorEENKUlvE_clEvENKUlvE0_clEvEUlffE_St5arrayIPcLm3EE23TrivialOffsetCalculatorILi2EjESA_ILi1EjENS0_6memory12LoadWithCastILi2EEENSD_13StoreWithCastILi1EEEN3c108BFloat16EJSJ_fEEEviT0_T1_T2_T3_T4_T5_
                                        ; -- End function
	.section	.AMDGPU.csdata,"",@progbits
; Kernel info:
; codeLenInByte = 3732
; NumSgprs: 104
; NumVgprs: 118
; NumAgprs: 0
; TotalNumVgprs: 118
; ScratchSize: 288
; MemoryBound: 0
; FloatMode: 240
; IeeeMode: 1
; LDSByteSize: 0 bytes/workgroup (compile time only)
; SGPRBlocks: 12
; VGPRBlocks: 14
; NumSGPRsForWavesPerEU: 104
; NumVGPRsForWavesPerEU: 118
; AccumOffset: 120
; Occupancy: 4
; WaveLimiterHint : 0
; COMPUTE_PGM_RSRC2:SCRATCH_EN: 1
; COMPUTE_PGM_RSRC2:USER_SGPR: 8
; COMPUTE_PGM_RSRC2:TRAP_HANDLER: 0
; COMPUTE_PGM_RSRC2:TGID_X_EN: 1
; COMPUTE_PGM_RSRC2:TGID_Y_EN: 0
; COMPUTE_PGM_RSRC2:TGID_Z_EN: 0
; COMPUTE_PGM_RSRC2:TIDIG_COMP_CNT: 0
; COMPUTE_PGM_RSRC3_GFX90A:ACCUM_OFFSET: 29
; COMPUTE_PGM_RSRC3_GFX90A:TG_SPLIT: 0
	.section	.text._ZN2at6native39vectorized_templated_elementwise_kernelILi2EZZZNS0_12prelu_kernelERNS_14TensorIteratorEENKUlvE_clEvENKUlvE0_clEvEUlffE_St5arrayIPcLm3EE23TrivialOffsetCalculatorILi2EjESA_ILi1EjENS0_6memory12LoadWithCastILi2EEENSD_13StoreWithCastILi1EEEN3c108BFloat16EJSJ_fEEEviT0_T1_T2_T3_T4_T5_,"axG",@progbits,_ZN2at6native39vectorized_templated_elementwise_kernelILi2EZZZNS0_12prelu_kernelERNS_14TensorIteratorEENKUlvE_clEvENKUlvE0_clEvEUlffE_St5arrayIPcLm3EE23TrivialOffsetCalculatorILi2EjESA_ILi1EjENS0_6memory12LoadWithCastILi2EEENSD_13StoreWithCastILi1EEEN3c108BFloat16EJSJ_fEEEviT0_T1_T2_T3_T4_T5_,comdat
	.globl	_ZN2at6native39vectorized_templated_elementwise_kernelILi2EZZZNS0_12prelu_kernelERNS_14TensorIteratorEENKUlvE_clEvENKUlvE0_clEvEUlffE_St5arrayIPcLm3EE23TrivialOffsetCalculatorILi2EjESA_ILi1EjENS0_6memory12LoadWithCastILi2EEENSD_13StoreWithCastILi1EEEN3c108BFloat16EJSJ_fEEEviT0_T1_T2_T3_T4_T5_ ; -- Begin function _ZN2at6native39vectorized_templated_elementwise_kernelILi2EZZZNS0_12prelu_kernelERNS_14TensorIteratorEENKUlvE_clEvENKUlvE0_clEvEUlffE_St5arrayIPcLm3EE23TrivialOffsetCalculatorILi2EjESA_ILi1EjENS0_6memory12LoadWithCastILi2EEENSD_13StoreWithCastILi1EEEN3c108BFloat16EJSJ_fEEEviT0_T1_T2_T3_T4_T5_
	.p2align	8
	.type	_ZN2at6native39vectorized_templated_elementwise_kernelILi2EZZZNS0_12prelu_kernelERNS_14TensorIteratorEENKUlvE_clEvENKUlvE0_clEvEUlffE_St5arrayIPcLm3EE23TrivialOffsetCalculatorILi2EjESA_ILi1EjENS0_6memory12LoadWithCastILi2EEENSD_13StoreWithCastILi1EEEN3c108BFloat16EJSJ_fEEEviT0_T1_T2_T3_T4_T5_,@function
_ZN2at6native39vectorized_templated_elementwise_kernelILi2EZZZNS0_12prelu_kernelERNS_14TensorIteratorEENKUlvE_clEvENKUlvE0_clEvEUlffE_St5arrayIPcLm3EE23TrivialOffsetCalculatorILi2EjESA_ILi1EjENS0_6memory12LoadWithCastILi2EEENSD_13StoreWithCastILi1EEEN3c108BFloat16EJSJ_fEEEviT0_T1_T2_T3_T4_T5_: ; @_ZN2at6native39vectorized_templated_elementwise_kernelILi2EZZZNS0_12prelu_kernelERNS_14TensorIteratorEENKUlvE_clEvENKUlvE0_clEvEUlffE_St5arrayIPcLm3EE23TrivialOffsetCalculatorILi2EjESA_ILi1EjENS0_6memory12LoadWithCastILi2EEENSD_13StoreWithCastILi1EEEN3c108BFloat16EJSJ_fEEEviT0_T1_T2_T3_T4_T5_
; %bb.0:
	s_add_u32 flat_scratch_lo, s6, s9
	s_addc_u32 flat_scratch_hi, s7, 0
	s_add_u32 s0, s0, s9
	s_load_dword s6, s[4:5], 0x38
	s_load_dwordx2 s[72:73], s[4:5], 0x18
	s_load_dword s7, s[4:5], 0x0
	s_load_dwordx4 s[68:71], s[4:5], 0x8
	s_addc_u32 s1, s1, 0
	s_mov_b32 s33, s8
	s_not_b32 s8, s8
	s_waitcnt lgkmcnt(0)
	s_add_i32 s6, s6, s8
	s_lshl_b32 s6, s6, 14
	s_sub_i32 s76, s7, s6
	s_cmpk_gt_i32 s76, 0x3fff
	s_mov_b64 s[8:9], -1
	s_mov_b32 s32, 0
	s_cbranch_scc1 .LBB23_3
; %bb.1:
	s_andn2_b64 vcc, exec, s[8:9]
	s_cbranch_vccz .LBB23_4
.LBB23_2:
	s_endpgm
.LBB23_3:
	s_ashr_i32 s7, s6, 31
	s_lshl_b64 s[74:75], s[6:7], 1
	s_add_u32 s66, s70, s74
	s_addc_u32 s67, s71, s75
	s_lshl_b64 s[6:7], s[6:7], 2
	s_add_u32 s18, s72, s6
	s_addc_u32 s19, s73, s7
	v_lshlrev_b32_e32 v1, 3, v0
	global_load_dwordx2 v[18:19], v1, s[18:19]
	v_or_b32_e32 v6, 0x400, v0
	v_lshlrev_b32_e32 v2, 3, v6
	global_load_dwordx2 v[20:21], v2, s[18:19]
	v_mov_b32_e32 v3, s19
	v_add_co_u32_e32 v40, vcc, s18, v1
	s_movk_i32 s80, 0x1000
	v_addc_co_u32_e32 v41, vcc, 0, v3, vcc
	v_add_co_u32_e32 v2, vcc, s80, v40
	v_addc_co_u32_e32 v3, vcc, 0, v41, vcc
	s_movk_i32 s79, 0x3000
	v_add_co_u32_e32 v4, vcc, s79, v40
	v_addc_co_u32_e32 v5, vcc, 0, v41, vcc
	global_load_dwordx2 v[2:3], v[2:3], off
	v_or_b32_e32 v7, 0x800, v0
	global_load_dwordx2 v[22:23], v[4:5], off
	v_lshlrev_b32_e32 v4, 3, v7
	global_load_dwordx2 v[24:25], v4, s[18:19]
	v_lshlrev_b32_e32 v16, 2, v0
	v_mov_b32_e32 v4, s67
	v_add_co_u32_e32 v46, vcc, s66, v16
	s_movk_i32 s78, 0x5000
	v_addc_co_u32_e32 v47, vcc, 0, v4, vcc
	v_add_co_u32_e32 v4, vcc, s78, v40
	v_or_b32_e32 v32, 0x1000, v0
	v_addc_co_u32_e32 v5, vcc, 0, v41, vcc
	v_lshlrev_b32_e32 v17, 2, v6
	v_lshlrev_b32_e32 v13, 2, v32
	global_load_dword v42, v16, s[66:67]
	global_load_dword v43, v16, s[66:67] offset:2048
	global_load_dword v44, v17, s[66:67]
	global_load_dword v45, v13, s[66:67]
	global_load_dwordx2 v[26:27], v[4:5], off
	v_add_co_u32_e32 v4, vcc, s80, v46
	s_movk_i32 s81, 0x2000
	v_or_b32_e32 v8, 0xc00, v0
	v_addc_co_u32_e32 v5, vcc, 0, v47, vcc
	v_lshlrev_b32_e32 v14, 2, v8
	v_lshlrev_b32_e32 v12, 3, v8
	v_add_co_u32_e32 v8, vcc, s81, v46
	v_addc_co_u32_e32 v9, vcc, 0, v47, vcc
	v_add_co_u32_e32 v6, vcc, s79, v46
	v_or_b32_e32 v34, 0x1400, v0
	v_or_b32_e32 v36, 0x1800, v0
	s_movk_i32 s84, 0x7000
	v_lshlrev_b32_e32 v15, 2, v7
	v_addc_co_u32_e32 v7, vcc, 0, v47, vcc
	s_movk_i32 s77, 0x7fff
	v_lshlrev_b32_e32 v11, 2, v34
	v_lshlrev_b32_e32 v10, 2, v36
	global_load_dword v48, v15, s[66:67]
	global_load_dword v49, v14, s[66:67]
	;; [unrolled: 1-line block ×3, first 2 shown]
	global_load_dwordx2 v[28:29], v12, s[18:19]
	global_load_dword v51, v10, s[66:67]
	v_add_co_u32_e32 v30, vcc, s84, v40
	v_addc_co_u32_e32 v31, vcc, 0, v41, vcc
	global_load_dwordx2 v[30:31], v[30:31], off
	s_mov_b32 s8, 0x9000
	s_mov_b32 s12, 0xb000
	;; [unrolled: 1-line block ×3, first 2 shown]
	v_or_b32_e32 v38, 0x1c00, v0
	v_lshlrev_b32_e32 v1, 2, v38
	s_mov_b32 s20, 0xf000
	s_movk_i32 s83, 0x4000
	s_movk_i32 s82, 0x6000
	s_waitcnt vmcnt(15)
	v_bfe_u32 v12, v18, 16, 1
	v_add3_u32 v12, v18, v12, s77
	v_cmp_o_f32_e64 s[6:7], v18, v18
	v_bfe_u32 v18, v19, 16, 1
	v_add3_u32 v18, v19, v18, s77
	v_and_b32_e32 v53, 0xffff0000, v18
	v_lshlrev_b32_e32 v18, 3, v32
	global_load_dwordx2 v[32:33], v18, s[18:19]
	v_add_co_u32_e32 v18, vcc, s8, v40
	v_cmp_o_f32_e64 s[10:11], v19, v19
	s_waitcnt vmcnt(15)
	v_bfe_u32 v35, v20, 16, 1
	v_addc_co_u32_e32 v19, vcc, 0, v41, vcc
	global_load_dwordx2 v[18:19], v[18:19], off
	v_add3_u32 v35, v20, v35, s77
	v_cmp_o_f32_e32 vcc, v20, v20
	v_bfe_u32 v20, v21, 16, 1
	v_add3_u32 v20, v21, v20, s77
	v_and_b32_e32 v55, 0xffff0000, v20
	v_lshlrev_b32_e32 v20, 3, v34
	v_and_b32_e32 v54, 0xffff0000, v35
	global_load_dwordx2 v[34:35], v20, s[18:19]
	v_add_co_u32_e64 v20, s[12:13], s12, v40
	v_cmp_o_f32_e64 s[8:9], v21, v21
	v_addc_co_u32_e64 v21, s[12:13], 0, v41, s[12:13]
	s_waitcnt vmcnt(15)
	v_bfe_u32 v37, v22, 16, 1
	global_load_dwordx2 v[20:21], v[20:21], off
	v_add3_u32 v37, v22, v37, s77
	v_cmp_o_f32_e64 s[12:13], v22, v22
	v_bfe_u32 v22, v23, 16, 1
	v_add3_u32 v22, v23, v22, s77
	v_and_b32_e32 v57, 0xffff0000, v22
	v_lshlrev_b32_e32 v22, 3, v36
	v_and_b32_e32 v56, 0xffff0000, v37
	global_load_dwordx2 v[36:37], v22, s[18:19]
	v_add_co_u32_e64 v22, s[16:17], s16, v40
	v_cmp_o_f32_e64 s[14:15], v23, v23
	v_addc_co_u32_e64 v23, s[16:17], 0, v41, s[16:17]
	s_waitcnt vmcnt(16)
	v_bfe_u32 v39, v24, 16, 1
	global_load_dwordx2 v[22:23], v[22:23], off
	v_add3_u32 v39, v24, v39, s77
	v_cmp_o_f32_e64 s[16:17], v24, v24
	v_bfe_u32 v24, v25, 16, 1
	v_add3_u32 v24, v25, v24, s77
	v_and_b32_e32 v59, 0xffff0000, v24
	v_lshlrev_b32_e32 v24, 3, v38
	v_and_b32_e32 v58, 0xffff0000, v39
	global_load_dwordx2 v[38:39], v24, s[18:19]
	v_add_co_u32_e64 v24, s[20:21], s20, v40
	v_cmp_o_f32_e64 s[18:19], v25, v25
	v_addc_co_u32_e64 v25, s[20:21], 0, v41, s[20:21]
	global_load_dwordx2 v[24:25], v[24:25], off
	s_waitcnt vmcnt(14)
	v_bfe_u32 v60, v26, 16, 1
	v_add3_u32 v40, v26, v60, s77
	v_cmp_o_f32_e64 s[36:37], v26, v26
	v_bfe_u32 v26, v27, 16, 1
	v_add3_u32 v26, v27, v26, s77
	v_cmp_o_f32_e64 s[30:31], v27, v27
	s_waitcnt vmcnt(10)
	v_bfe_u32 v27, v28, 16, 1
	v_add3_u32 v27, v28, v27, s77
	v_cmp_o_f32_e64 s[26:27], v28, v28
	v_bfe_u32 v28, v29, 16, 1
	v_add3_u32 v28, v29, v28, s77
	v_cmp_o_f32_e64 s[22:23], v29, v29
	;; [unrolled: 7-line block ×3, first 2 shown]
	v_and_b32_e32 v52, 0xffff0000, v12
	v_mov_b32_e32 v12, 0x7fc00000
	v_and_b32_e32 v40, 0xffff0000, v40
	v_and_b32_e32 v26, 0xffff0000, v26
	v_cndmask_b32_e64 v40, v12, v40, s[36:37]
	v_and_b32_e32 v27, 0xffff0000, v27
	v_cndmask_b32_e64 v26, v12, v26, s[30:31]
	;; [unrolled: 2-line block ×3, first 2 shown]
	v_and_b32_e32 v29, 0xffff0000, v29
	s_waitcnt vmcnt(7)
	v_bfe_u32 v31, v32, 16, 1
	v_add3_u32 v31, v32, v31, s77
	v_cmp_o_f32_e64 s[28:29], v32, v32
	v_bfe_u32 v32, v33, 16, 1
	v_add3_u32 v32, v33, v32, s77
	v_cmp_o_f32_e64 s[34:35], v33, v33
	v_cndmask_b32_e64 v28, v12, v28, s[22:23]
	s_waitcnt vmcnt(6)
	v_bfe_u32 v33, v18, 16, 1
	v_add3_u32 v33, v18, v33, s77
	v_cmp_o_f32_e64 s[38:39], v18, v18
	v_bfe_u32 v18, v19, 16, 1
	v_add3_u32 v18, v19, v18, s77
	v_and_b32_e32 v41, 0xffff0000, v18
	v_cmp_o_f32_e64 s[40:41], v19, v19
	v_and_b32_e32 v30, 0xffff0000, v30
	s_waitcnt vmcnt(5)
	v_bfe_u32 v18, v34, 16, 1
	v_add3_u32 v18, v34, v18, s77
	v_and_b32_e32 v60, 0xffff0000, v18
	v_bfe_u32 v18, v35, 16, 1
	v_add3_u32 v18, v35, v18, s77
	v_cmp_o_f32_e64 s[42:43], v34, v34
	v_and_b32_e32 v34, 0xffff0000, v18
	s_waitcnt vmcnt(4)
	v_bfe_u32 v18, v20, 16, 1
	v_add3_u32 v18, v20, v18, s77
	v_cmp_o_f32_e64 s[44:45], v35, v35
	v_and_b32_e32 v35, 0xffff0000, v18
	v_bfe_u32 v18, v21, 16, 1
	v_add3_u32 v18, v21, v18, s77
	v_cmp_o_f32_e64 s[46:47], v20, v20
	v_and_b32_e32 v20, 0xffff0000, v18
	s_waitcnt vmcnt(3)
	v_bfe_u32 v18, v36, 16, 1
	v_add3_u32 v18, v36, v18, s77
	v_cmp_o_f32_e64 s[48:49], v21, v21
	;; [unrolled: 9-line block ×5, first 2 shown]
	v_and_b32_e32 v39, 0xffff0000, v18
	v_bfe_u32 v18, v25, 16, 1
	v_add3_u32 v18, v25, v18, s77
	v_cmp_o_f32_e64 s[64:65], v25, v25
	global_load_dword v25, v1, s[66:67]
	global_load_dword v61, v[4:5], off offset:2048
	s_nop 0
	global_load_dword v8, v[8:9], off offset:2048
	v_cmp_o_f32_e64 s[62:63], v24, v24
	global_load_dword v9, v[6:7], off offset:2048
	v_and_b32_e32 v24, 0xffff0000, v18
	v_add_co_u32_e64 v18, s[66:67], s83, v46
	v_addc_co_u32_e64 v19, s[66:67], 0, v47, s[66:67]
	v_add_co_u32_e64 v4, s[66:67], s78, v46
	v_addc_co_u32_e64 v5, s[66:67], 0, v47, s[66:67]
	global_load_dword v18, v[18:19], off offset:2048
	s_nop 0
	global_load_dword v19, v[4:5], off offset:2048
	v_add_co_u32_e64 v6, s[66:67], s82, v46
	v_addc_co_u32_e64 v7, s[66:67], 0, v47, s[66:67]
	global_load_dword v6, v[6:7], off offset:2048
	v_add_co_u32_e64 v4, s[66:67], s84, v46
	v_addc_co_u32_e64 v5, s[66:67], 0, v47, s[66:67]
	global_load_dword v4, v[4:5], off offset:2048
	v_and_b32_e32 v7, 0xffff0000, v42
	v_lshlrev_b32_e32 v42, 16, v42
	v_cndmask_b32_e64 v46, v12, v52, s[6:7]
	v_cndmask_b32_e64 v47, v12, v53, s[10:11]
	v_mul_f32_e32 v46, v46, v42
	v_cmp_lt_f32_e64 s[6:7], 0, v42
	v_cndmask_b32_e64 v42, v46, v42, s[6:7]
	v_mul_f32_e32 v47, v47, v7
	v_cmp_lt_f32_e64 s[6:7], 0, v7
	v_bfe_u32 v46, v2, 16, 1
	v_cndmask_b32_e64 v7, v47, v7, s[6:7]
	v_bfe_u32 v47, v3, 16, 1
	v_add3_u32 v46, v2, v46, s77
	v_add3_u32 v47, v3, v47, s77
	v_cmp_o_f32_e64 s[6:7], v3, v3
	v_lshlrev_b32_e32 v3, 16, v44
	v_cndmask_b32_e32 v53, v12, v54, vcc
	v_and_b32_e32 v46, 0xffff0000, v46
	v_cmp_o_f32_e64 s[10:11], v2, v2
	v_and_b32_e32 v2, 0xffff0000, v44
	v_mul_f32_e32 v53, v53, v3
	v_cmp_lt_f32_e32 vcc, 0, v3
	v_cndmask_b32_e64 v54, v12, v55, s[8:9]
	v_and_b32_e32 v5, 0xffff0000, v43
	v_lshlrev_b32_e32 v43, 16, v43
	v_cndmask_b32_e64 v46, v12, v46, s[10:11]
	v_cndmask_b32_e32 v3, v53, v3, vcc
	v_mul_f32_e32 v54, v54, v2
	v_cmp_lt_f32_e32 vcc, 0, v2
	v_cndmask_b32_e64 v55, v12, v56, s[12:13]
	v_and_b32_e32 v47, 0xffff0000, v47
	v_mul_f32_e32 v46, v46, v43
	v_cmp_lt_f32_e64 s[10:11], 0, v43
	v_cndmask_b32_e32 v2, v54, v2, vcc
	v_cndmask_b32_e64 v56, v12, v57, s[14:15]
	v_cndmask_b32_e64 v43, v46, v43, s[10:11]
	v_and_b32_e32 v46, 0xffff0000, v48
	v_lshlrev_b32_e32 v48, 16, v48
	v_cndmask_b32_e64 v47, v12, v47, s[6:7]
	v_cndmask_b32_e64 v57, v12, v58, s[16:17]
	v_mul_f32_e32 v47, v47, v5
	v_cmp_lt_f32_e64 s[6:7], 0, v5
	v_mul_f32_e32 v57, v57, v48
	v_cndmask_b32_e64 v58, v12, v59, s[18:19]
	v_cndmask_b32_e64 v5, v47, v5, s[6:7]
	v_mul_f32_e32 v58, v58, v46
	v_and_b32_e32 v53, 0xffff0000, v49
	v_lshlrev_b32_e32 v49, 16, v49
	v_mul_f32_e32 v27, v27, v49
	v_mul_f32_e32 v28, v28, v53
	v_cndmask_b32_e64 v29, v12, v29, s[20:21]
	v_and_b32_e32 v31, 0xffff0000, v31
	v_cndmask_b32_e64 v30, v12, v30, s[24:25]
	v_and_b32_e32 v32, 0xffff0000, v32
	;; [unrolled: 2-line block ×3, first 2 shown]
	s_waitcnt vmcnt(6)
	v_lshlrev_b32_e32 v52, 16, v61
	v_and_b32_e32 v44, 0xffff0000, v61
	v_mul_f32_e32 v55, v55, v52
	v_cmp_lt_f32_e32 vcc, 0, v52
	v_cndmask_b32_e32 v52, v55, v52, vcc
	v_mul_f32_e32 v56, v56, v44
	v_cmp_lt_f32_e32 vcc, 0, v44
	v_cndmask_b32_e32 v44, v56, v44, vcc
	v_cmp_lt_f32_e32 vcc, 0, v48
	s_waitcnt vmcnt(5)
	v_and_b32_e32 v47, 0xffff0000, v8
	v_lshlrev_b32_e32 v8, 16, v8
	v_cndmask_b32_e32 v48, v57, v48, vcc
	v_cmp_lt_f32_e32 vcc, 0, v46
	v_cndmask_b32_e32 v46, v58, v46, vcc
	v_mul_f32_e32 v40, v40, v8
	v_cmp_lt_f32_e32 vcc, 0, v8
	v_cndmask_b32_e32 v8, v40, v8, vcc
	v_mul_f32_e32 v26, v26, v47
	v_cmp_lt_f32_e32 vcc, 0, v47
	v_cndmask_b32_e32 v26, v26, v47, vcc
	v_cmp_lt_f32_e32 vcc, 0, v49
	s_waitcnt vmcnt(4)
	v_and_b32_e32 v54, 0xffff0000, v9
	v_lshlrev_b32_e32 v9, 16, v9
	v_cndmask_b32_e32 v27, v27, v49, vcc
	v_cmp_lt_f32_e32 vcc, 0, v53
	v_cndmask_b32_e32 v28, v28, v53, vcc
	v_mul_f32_e32 v29, v29, v9
	v_cmp_lt_f32_e32 vcc, 0, v9
	v_and_b32_e32 v55, 0xffff0000, v45
	v_lshlrev_b32_e32 v45, 16, v45
	v_cndmask_b32_e32 v9, v29, v9, vcc
	v_mul_f32_e32 v29, v30, v54
	v_cmp_lt_f32_e32 vcc, 0, v54
	v_cndmask_b32_e64 v32, v12, v32, s[34:35]
	v_cndmask_b32_e32 v29, v29, v54, vcc
	v_mul_f32_e32 v30, v31, v45
	v_cmp_lt_f32_e32 vcc, 0, v45
	s_waitcnt vmcnt(3)
	v_and_b32_e32 v56, 0xffff0000, v18
	v_lshlrev_b32_e32 v18, 16, v18
	v_cndmask_b32_e64 v33, v12, v33, s[38:39]
	v_cndmask_b32_e32 v30, v30, v45, vcc
	v_mul_f32_e32 v31, v32, v55
	v_cmp_lt_f32_e32 vcc, 0, v55
	v_cndmask_b32_e64 v41, v12, v41, s[40:41]
	v_cndmask_b32_e32 v31, v31, v55, vcc
	v_mul_f32_e32 v32, v33, v18
	v_cmp_lt_f32_e32 vcc, 0, v18
	v_and_b32_e32 v57, 0xffff0000, v50
	v_lshlrev_b32_e32 v50, 16, v50
	v_cndmask_b32_e64 v59, v12, v60, s[42:43]
	v_cndmask_b32_e32 v18, v32, v18, vcc
	v_mul_f32_e32 v32, v41, v56
	v_cmp_lt_f32_e32 vcc, 0, v56
	v_cndmask_b32_e64 v34, v12, v34, s[44:45]
	v_cndmask_b32_e32 v32, v32, v56, vcc
	v_mul_f32_e32 v33, v59, v50
	v_cmp_lt_f32_e32 vcc, 0, v50
	s_waitcnt vmcnt(2)
	v_and_b32_e32 v58, 0xffff0000, v19
	v_lshlrev_b32_e32 v19, 16, v19
	v_cndmask_b32_e64 v35, v12, v35, s[46:47]
	v_cndmask_b32_e32 v33, v33, v50, vcc
	v_mul_f32_e32 v34, v34, v57
	v_cmp_lt_f32_e32 vcc, 0, v57
	v_cndmask_b32_e64 v20, v12, v20, s[48:49]
	v_cndmask_b32_e32 v34, v34, v57, vcc
	v_mul_f32_e32 v35, v35, v19
	v_cmp_lt_f32_e32 vcc, 0, v19
	v_and_b32_e32 v40, 0xffff0000, v51
	v_lshlrev_b32_e32 v51, 16, v51
	v_cndmask_b32_e64 v21, v12, v21, s[50:51]
	;; [unrolled: 21-line block ×3, first 2 shown]
	v_cndmask_b32_e32 v6, v36, v6, vcc
	v_mul_f32_e32 v22, v22, v47
	v_cmp_lt_f32_e32 vcc, 0, v47
	v_cndmask_b32_e64 v38, v12, v38, s[60:61]
	v_cndmask_b32_e32 v22, v22, v47, vcc
	v_mul_f32_e32 v23, v23, v25
	v_cmp_lt_f32_e32 vcc, 0, v25
	s_waitcnt vmcnt(0)
	v_and_b32_e32 v53, 0xffff0000, v4
	v_lshlrev_b32_e32 v4, 16, v4
	v_cndmask_b32_e64 v39, v12, v39, s[62:63]
	v_cndmask_b32_e32 v23, v23, v25, vcc
	v_mul_f32_e32 v25, v38, v49
	v_cmp_lt_f32_e32 vcc, 0, v49
	v_cndmask_b32_e64 v24, v12, v24, s[64:65]
	v_cndmask_b32_e32 v25, v25, v49, vcc
	v_mul_f32_e32 v36, v39, v4
	v_cmp_lt_f32_e32 vcc, 0, v4
	s_add_u32 s6, s68, s74
	v_cndmask_b32_e32 v4, v36, v4, vcc
	v_mul_f32_e32 v24, v24, v53
	v_cmp_lt_f32_e32 vcc, 0, v53
	s_addc_u32 s7, s69, s75
	v_cndmask_b32_e32 v24, v24, v53, vcc
	v_bfe_u32 v37, v7, 16, 1
	v_mov_b32_e32 v38, s7
	v_add_co_u32_e32 v39, vcc, s6, v16
	v_bfe_u32 v36, v42, 16, 1
	v_add3_u32 v37, v7, v37, s77
	v_addc_co_u32_e32 v38, vcc, 0, v38, vcc
	v_add3_u32 v36, v42, v36, s77
	v_and_b32_e32 v37, 0xffff0000, v37
	v_cmp_o_f32_e32 vcc, v7, v7
	v_lshrrev_b32_e32 v36, 16, v36
	v_cndmask_b32_e32 v7, v12, v37, vcc
	v_mov_b32_e32 v37, 0x7fc0
	v_cmp_o_f32_e32 vcc, v42, v42
	v_cndmask_b32_e32 v36, v37, v36, vcc
	v_or_b32_e32 v7, v7, v36
	v_bfe_u32 v36, v5, 16, 1
	global_store_dword v16, v7, s[6:7]
	v_bfe_u32 v7, v43, 16, 1
	v_add3_u32 v36, v5, v36, s77
	v_add3_u32 v7, v43, v7, s77
	v_and_b32_e32 v36, 0xffff0000, v36
	v_cmp_o_f32_e32 vcc, v5, v5
	v_lshrrev_b32_e32 v7, 16, v7
	v_cndmask_b32_e32 v5, v12, v36, vcc
	v_cmp_o_f32_e32 vcc, v43, v43
	v_cndmask_b32_e32 v7, v37, v7, vcc
	v_or_b32_e32 v5, v5, v7
	v_bfe_u32 v7, v2, 16, 1
	global_store_dword v16, v5, s[6:7] offset:2048
	v_bfe_u32 v5, v3, 16, 1
	v_add3_u32 v7, v2, v7, s77
	v_add3_u32 v5, v3, v5, s77
	v_and_b32_e32 v7, 0xffff0000, v7
	v_cmp_o_f32_e32 vcc, v2, v2
	v_lshrrev_b32_e32 v5, 16, v5
	v_cndmask_b32_e32 v2, v12, v7, vcc
	v_cmp_o_f32_e32 vcc, v3, v3
	v_cndmask_b32_e32 v3, v37, v5, vcc
	v_or_b32_e32 v2, v2, v3
	v_bfe_u32 v3, v44, 16, 1
	global_store_dword v17, v2, s[6:7]
	v_bfe_u32 v2, v52, 16, 1
	v_add3_u32 v3, v44, v3, s77
	v_add3_u32 v2, v52, v2, s77
	v_and_b32_e32 v3, 0xffff0000, v3
	v_cmp_o_f32_e32 vcc, v44, v44
	v_lshrrev_b32_e32 v2, 16, v2
	v_cndmask_b32_e32 v3, v12, v3, vcc
	v_cmp_o_f32_e32 vcc, v52, v52
	v_cndmask_b32_e32 v2, v37, v2, vcc
	v_or_b32_e32 v5, v3, v2
	v_add_co_u32_e32 v2, vcc, s80, v39
	v_addc_co_u32_e32 v3, vcc, 0, v38, vcc
	global_store_dword v[2:3], v5, off offset:2048
	v_bfe_u32 v3, v46, 16, 1
	v_bfe_u32 v2, v48, 16, 1
	v_add3_u32 v3, v46, v3, s77
	v_add3_u32 v2, v48, v2, s77
	v_and_b32_e32 v3, 0xffff0000, v3
	v_cmp_o_f32_e32 vcc, v46, v46
	v_lshrrev_b32_e32 v2, 16, v2
	v_cndmask_b32_e32 v3, v12, v3, vcc
	v_cmp_o_f32_e32 vcc, v48, v48
	v_cndmask_b32_e32 v2, v37, v2, vcc
	v_or_b32_e32 v2, v3, v2
	v_bfe_u32 v3, v26, 16, 1
	global_store_dword v15, v2, s[6:7]
	v_bfe_u32 v2, v8, 16, 1
	v_add3_u32 v3, v26, v3, s77
	v_add3_u32 v2, v8, v2, s77
	v_and_b32_e32 v3, 0xffff0000, v3
	v_cmp_o_f32_e32 vcc, v26, v26
	v_lshrrev_b32_e32 v2, 16, v2
	v_cndmask_b32_e32 v3, v12, v3, vcc
	v_cmp_o_f32_e32 vcc, v8, v8
	v_cndmask_b32_e32 v2, v37, v2, vcc
	v_or_b32_e32 v5, v3, v2
	v_add_co_u32_e32 v2, vcc, s81, v39
	v_addc_co_u32_e32 v3, vcc, 0, v38, vcc
	global_store_dword v[2:3], v5, off offset:2048
	v_bfe_u32 v3, v28, 16, 1
	;; [unrolled: 26-line block ×6, first 2 shown]
	v_bfe_u32 v2, v23, 16, 1
	v_add3_u32 v3, v25, v3, s77
	v_add3_u32 v2, v23, v2, s77
	v_and_b32_e32 v3, 0xffff0000, v3
	v_cmp_o_f32_e32 vcc, v25, v25
	v_lshrrev_b32_e32 v2, 16, v2
	v_cndmask_b32_e32 v3, v12, v3, vcc
	v_cmp_o_f32_e32 vcc, v23, v23
	v_cndmask_b32_e32 v2, v37, v2, vcc
	v_or_b32_e32 v2, v3, v2
	global_store_dword v1, v2, s[6:7]
	v_bfe_u32 v2, v24, 16, 1
	v_bfe_u32 v1, v4, 16, 1
	v_add3_u32 v2, v24, v2, s77
	v_add3_u32 v1, v4, v1, s77
	v_and_b32_e32 v2, 0xffff0000, v2
	v_cmp_o_f32_e32 vcc, v24, v24
	v_lshrrev_b32_e32 v1, 16, v1
	v_cndmask_b32_e32 v2, v12, v2, vcc
	v_cmp_o_f32_e32 vcc, v4, v4
	v_cndmask_b32_e32 v1, v37, v1, vcc
	v_or_b32_e32 v1, v2, v1
	v_add_co_u32_e32 v2, vcc, 0x7000, v39
	v_addc_co_u32_e32 v3, vcc, 0, v38, vcc
	global_store_dword v[2:3], v1, off offset:2048
	s_cbranch_execnz .LBB23_2
.LBB23_4:
	s_load_dword s6, s[4:5], 0x24
	s_load_dwordx4 s[16:19], s[4:5], 0x28
	s_add_u32 s8, s4, 56
	s_addc_u32 s9, s5, 0
	s_mov_b32 s12, s33
	s_waitcnt lgkmcnt(0)
	v_lshrrev_b16_e64 v8, 8, s6
	v_mov_b32_e32 v31, v0
	v_mov_b32_e32 v0, s68
	;; [unrolled: 1-line block ×13, first 2 shown]
	s_getpc_b64 s[4:5]
	s_add_u32 s4, s4, _ZN2at6native25elementwise_kernel_helperILb1EZZZNS0_12prelu_kernelERNS_14TensorIteratorEENKUlvE_clEvENKUlvE0_clEvEUlffE_NS0_6memory8policies11unroll_baseILi512ESt5arrayIPcLm3EE23TrivialOffsetCalculatorILi2EjESD_ILi1EjENS7_12LoadWithCastILi2EEENS7_13StoreWithCastILi1EEELi32ELi1EEEEEvT0_T1_@rel32@lo+4
	s_addc_u32 s5, s5, _ZN2at6native25elementwise_kernel_helperILb1EZZZNS0_12prelu_kernelERNS_14TensorIteratorEENKUlvE_clEvENKUlvE0_clEvEUlffE_NS0_6memory8policies11unroll_baseILi512ESt5arrayIPcLm3EE23TrivialOffsetCalculatorILi2EjESD_ILi1EjENS7_12LoadWithCastILi2EEENS7_13StoreWithCastILi1EEELi32ELi1EEEEEvT0_T1_@rel32@hi+12
	s_swappc_b64 s[30:31], s[4:5]
	s_endpgm
	.section	.rodata,"a",@progbits
	.p2align	6, 0x0
	.amdhsa_kernel _ZN2at6native39vectorized_templated_elementwise_kernelILi2EZZZNS0_12prelu_kernelERNS_14TensorIteratorEENKUlvE_clEvENKUlvE0_clEvEUlffE_St5arrayIPcLm3EE23TrivialOffsetCalculatorILi2EjESA_ILi1EjENS0_6memory12LoadWithCastILi2EEENSD_13StoreWithCastILi1EEEN3c108BFloat16EJSJ_fEEEviT0_T1_T2_T3_T4_T5_
		.amdhsa_group_segment_fixed_size 0
		.amdhsa_private_segment_fixed_size 288
		.amdhsa_kernarg_size 312
		.amdhsa_user_sgpr_count 8
		.amdhsa_user_sgpr_private_segment_buffer 1
		.amdhsa_user_sgpr_dispatch_ptr 0
		.amdhsa_user_sgpr_queue_ptr 0
		.amdhsa_user_sgpr_kernarg_segment_ptr 1
		.amdhsa_user_sgpr_dispatch_id 0
		.amdhsa_user_sgpr_flat_scratch_init 1
		.amdhsa_user_sgpr_kernarg_preload_length 0
		.amdhsa_user_sgpr_kernarg_preload_offset 0
		.amdhsa_user_sgpr_private_segment_size 0
		.amdhsa_uses_dynamic_stack 0
		.amdhsa_system_sgpr_private_segment_wavefront_offset 1
		.amdhsa_system_sgpr_workgroup_id_x 1
		.amdhsa_system_sgpr_workgroup_id_y 0
		.amdhsa_system_sgpr_workgroup_id_z 0
		.amdhsa_system_sgpr_workgroup_info 0
		.amdhsa_system_vgpr_workitem_id 0
		.amdhsa_next_free_vgpr 118
		.amdhsa_next_free_sgpr 98
		.amdhsa_accum_offset 120
		.amdhsa_reserve_vcc 1
		.amdhsa_reserve_flat_scratch 1
		.amdhsa_float_round_mode_32 0
		.amdhsa_float_round_mode_16_64 0
		.amdhsa_float_denorm_mode_32 3
		.amdhsa_float_denorm_mode_16_64 3
		.amdhsa_dx10_clamp 1
		.amdhsa_ieee_mode 1
		.amdhsa_fp16_overflow 0
		.amdhsa_tg_split 0
		.amdhsa_exception_fp_ieee_invalid_op 0
		.amdhsa_exception_fp_denorm_src 0
		.amdhsa_exception_fp_ieee_div_zero 0
		.amdhsa_exception_fp_ieee_overflow 0
		.amdhsa_exception_fp_ieee_underflow 0
		.amdhsa_exception_fp_ieee_inexact 0
		.amdhsa_exception_int_div_zero 0
	.end_amdhsa_kernel
	.section	.text._ZN2at6native39vectorized_templated_elementwise_kernelILi2EZZZNS0_12prelu_kernelERNS_14TensorIteratorEENKUlvE_clEvENKUlvE0_clEvEUlffE_St5arrayIPcLm3EE23TrivialOffsetCalculatorILi2EjESA_ILi1EjENS0_6memory12LoadWithCastILi2EEENSD_13StoreWithCastILi1EEEN3c108BFloat16EJSJ_fEEEviT0_T1_T2_T3_T4_T5_,"axG",@progbits,_ZN2at6native39vectorized_templated_elementwise_kernelILi2EZZZNS0_12prelu_kernelERNS_14TensorIteratorEENKUlvE_clEvENKUlvE0_clEvEUlffE_St5arrayIPcLm3EE23TrivialOffsetCalculatorILi2EjESA_ILi1EjENS0_6memory12LoadWithCastILi2EEENSD_13StoreWithCastILi1EEEN3c108BFloat16EJSJ_fEEEviT0_T1_T2_T3_T4_T5_,comdat
.Lfunc_end23:
	.size	_ZN2at6native39vectorized_templated_elementwise_kernelILi2EZZZNS0_12prelu_kernelERNS_14TensorIteratorEENKUlvE_clEvENKUlvE0_clEvEUlffE_St5arrayIPcLm3EE23TrivialOffsetCalculatorILi2EjESA_ILi1EjENS0_6memory12LoadWithCastILi2EEENSD_13StoreWithCastILi1EEEN3c108BFloat16EJSJ_fEEEviT0_T1_T2_T3_T4_T5_, .Lfunc_end23-_ZN2at6native39vectorized_templated_elementwise_kernelILi2EZZZNS0_12prelu_kernelERNS_14TensorIteratorEENKUlvE_clEvENKUlvE0_clEvEUlffE_St5arrayIPcLm3EE23TrivialOffsetCalculatorILi2EjESA_ILi1EjENS0_6memory12LoadWithCastILi2EEENSD_13StoreWithCastILi1EEEN3c108BFloat16EJSJ_fEEEviT0_T1_T2_T3_T4_T5_
                                        ; -- End function
	.section	.AMDGPU.csdata,"",@progbits
; Kernel info:
; codeLenInByte = 4116
; NumSgprs: 104
; NumVgprs: 118
; NumAgprs: 0
; TotalNumVgprs: 118
; ScratchSize: 288
; MemoryBound: 0
; FloatMode: 240
; IeeeMode: 1
; LDSByteSize: 0 bytes/workgroup (compile time only)
; SGPRBlocks: 12
; VGPRBlocks: 14
; NumSGPRsForWavesPerEU: 104
; NumVGPRsForWavesPerEU: 118
; AccumOffset: 120
; Occupancy: 4
; WaveLimiterHint : 0
; COMPUTE_PGM_RSRC2:SCRATCH_EN: 1
; COMPUTE_PGM_RSRC2:USER_SGPR: 8
; COMPUTE_PGM_RSRC2:TRAP_HANDLER: 0
; COMPUTE_PGM_RSRC2:TGID_X_EN: 1
; COMPUTE_PGM_RSRC2:TGID_Y_EN: 0
; COMPUTE_PGM_RSRC2:TGID_Z_EN: 0
; COMPUTE_PGM_RSRC2:TIDIG_COMP_CNT: 0
; COMPUTE_PGM_RSRC3_GFX90A:ACCUM_OFFSET: 29
; COMPUTE_PGM_RSRC3_GFX90A:TG_SPLIT: 0
	.section	.text._ZN2at6native39vectorized_templated_elementwise_kernelILi8EZZZNS0_12prelu_kernelERNS_14TensorIteratorEENKUlvE_clEvENKUlvE0_clEvEUlffE_St5arrayIPcLm3EE23TrivialOffsetCalculatorILi2EjESA_ILi1EjENS0_6memory12LoadWithCastILi2EEENSD_13StoreWithCastILi1EEEfJfN3c104HalfEEEEviT0_T1_T2_T3_T4_T5_,"axG",@progbits,_ZN2at6native39vectorized_templated_elementwise_kernelILi8EZZZNS0_12prelu_kernelERNS_14TensorIteratorEENKUlvE_clEvENKUlvE0_clEvEUlffE_St5arrayIPcLm3EE23TrivialOffsetCalculatorILi2EjESA_ILi1EjENS0_6memory12LoadWithCastILi2EEENSD_13StoreWithCastILi1EEEfJfN3c104HalfEEEEviT0_T1_T2_T3_T4_T5_,comdat
	.globl	_ZN2at6native39vectorized_templated_elementwise_kernelILi8EZZZNS0_12prelu_kernelERNS_14TensorIteratorEENKUlvE_clEvENKUlvE0_clEvEUlffE_St5arrayIPcLm3EE23TrivialOffsetCalculatorILi2EjESA_ILi1EjENS0_6memory12LoadWithCastILi2EEENSD_13StoreWithCastILi1EEEfJfN3c104HalfEEEEviT0_T1_T2_T3_T4_T5_ ; -- Begin function _ZN2at6native39vectorized_templated_elementwise_kernelILi8EZZZNS0_12prelu_kernelERNS_14TensorIteratorEENKUlvE_clEvENKUlvE0_clEvEUlffE_St5arrayIPcLm3EE23TrivialOffsetCalculatorILi2EjESA_ILi1EjENS0_6memory12LoadWithCastILi2EEENSD_13StoreWithCastILi1EEEfJfN3c104HalfEEEEviT0_T1_T2_T3_T4_T5_
	.p2align	8
	.type	_ZN2at6native39vectorized_templated_elementwise_kernelILi8EZZZNS0_12prelu_kernelERNS_14TensorIteratorEENKUlvE_clEvENKUlvE0_clEvEUlffE_St5arrayIPcLm3EE23TrivialOffsetCalculatorILi2EjESA_ILi1EjENS0_6memory12LoadWithCastILi2EEENSD_13StoreWithCastILi1EEEfJfN3c104HalfEEEEviT0_T1_T2_T3_T4_T5_,@function
_ZN2at6native39vectorized_templated_elementwise_kernelILi8EZZZNS0_12prelu_kernelERNS_14TensorIteratorEENKUlvE_clEvENKUlvE0_clEvEUlffE_St5arrayIPcLm3EE23TrivialOffsetCalculatorILi2EjESA_ILi1EjENS0_6memory12LoadWithCastILi2EEENSD_13StoreWithCastILi1EEEfJfN3c104HalfEEEEviT0_T1_T2_T3_T4_T5_: ; @_ZN2at6native39vectorized_templated_elementwise_kernelILi8EZZZNS0_12prelu_kernelERNS_14TensorIteratorEENKUlvE_clEvENKUlvE0_clEvEUlffE_St5arrayIPcLm3EE23TrivialOffsetCalculatorILi2EjESA_ILi1EjENS0_6memory12LoadWithCastILi2EEENSD_13StoreWithCastILi1EEEfJfN3c104HalfEEEEviT0_T1_T2_T3_T4_T5_
; %bb.0:
	s_add_u32 flat_scratch_lo, s6, s9
	s_addc_u32 flat_scratch_hi, s7, 0
	s_add_u32 s0, s0, s9
	s_load_dword s6, s[4:5], 0x38
	s_load_dwordx2 s[10:11], s[4:5], 0x18
	s_load_dword s7, s[4:5], 0x0
	s_load_dwordx4 s[16:19], s[4:5], 0x8
	s_addc_u32 s1, s1, 0
	s_mov_b32 s12, s8
	s_not_b32 s8, s8
	s_waitcnt lgkmcnt(0)
	s_add_i32 s6, s6, s8
	s_lshl_b32 s6, s6, 14
	s_sub_i32 s13, s7, s6
	s_cmpk_gt_i32 s13, 0x3fff
	s_mov_b64 s[8:9], -1
	s_mov_b32 s32, 0
	s_cbranch_scc1 .LBB24_3
; %bb.1:
	s_andn2_b64 vcc, exec, s[8:9]
	s_cbranch_vccz .LBB24_4
.LBB24_2:
	s_endpgm
.LBB24_3:
	s_ashr_i32 s7, s6, 31
	s_lshl_b64 s[14:15], s[6:7], 2
	s_add_u32 s8, s18, s14
	s_addc_u32 s9, s19, s15
	s_lshl_b64 s[6:7], s[6:7], 1
	s_add_u32 s6, s10, s6
	s_addc_u32 s7, s11, s7
	v_lshlrev_b32_e32 v1, 4, v0
	global_load_dwordx4 v[2:5], v1, s[6:7]
	v_lshlrev_b32_e32 v58, 5, v0
	global_load_dwordx4 v[6:9], v58, s[8:9]
	global_load_dwordx4 v[10:13], v58, s[8:9] offset:16
	v_mov_b32_e32 v14, s7
	v_add_co_u32_e32 v1, vcc, s6, v1
	s_movk_i32 s21, 0x2000
	v_addc_co_u32_e32 v48, vcc, 0, v14, vcc
	v_add_co_u32_e32 v14, vcc, s21, v1
	v_addc_co_u32_e32 v15, vcc, 0, v48, vcc
	v_mov_b32_e32 v18, s9
	global_load_dwordx4 v[14:17], v[14:15], off
	v_add_co_u32_e32 v34, vcc, s8, v58
	s_movk_i32 s20, 0x4000
	v_addc_co_u32_e32 v36, vcc, 0, v18, vcc
	v_add_co_u32_e32 v18, vcc, s20, v34
	v_addc_co_u32_e32 v19, vcc, 0, v36, vcc
	global_load_dwordx4 v[18:21], v[18:19], off
	v_add_co_u32_e32 v22, vcc, 0x4000, v34
	v_or_b32_e32 v30, 0x400, v0
	v_addc_co_u32_e32 v23, vcc, 0, v36, vcc
	global_load_dwordx4 v[22:25], v[22:23], off offset:16
	v_lshlrev_b32_e32 v26, 4, v30
	global_load_dwordx4 v[26:29], v26, s[6:7]
	s_mov_b32 s21, 0xc000
	v_lshlrev_b32_e32 v59, 5, v30
	v_add_co_u32_e32 v46, vcc, 0xc000, v34
	global_load_dwordx4 v[30:33], v59, s[8:9]
	v_add_co_u32_e64 v34, s[6:7], s21, v34
	s_movk_i32 s22, 0x6000
	v_addc_co_u32_e64 v35, s[6:7], 0, v36, s[6:7]
	v_addc_co_u32_e32 v47, vcc, 0, v36, vcc
	global_load_dwordx4 v[34:37], v[34:35], off
	s_nop 0
	global_load_dwordx4 v[38:41], v59, s[8:9] offset:16
	global_load_dwordx4 v[42:45], v[46:47], off offset:16
	v_add_co_u32_e32 v46, vcc, s22, v1
	v_addc_co_u32_e32 v47, vcc, 0, v48, vcc
	global_load_dwordx4 v[46:49], v[46:47], off
	s_add_u32 s14, s16, s14
	s_addc_u32 s15, s17, s15
	v_mov_b32_e32 v60, s15
	s_waitcnt vmcnt(11)
	v_cvt_f32_f16_e32 v50, v2
	v_cvt_f32_f16_sdwa v51, v2 dst_sel:DWORD dst_unused:UNUSED_PAD src0_sel:WORD_1
	v_cvt_f32_f16_e32 v52, v3
	v_cvt_f32_f16_sdwa v53, v3 dst_sel:DWORD dst_unused:UNUSED_PAD src0_sel:WORD_1
	s_waitcnt vmcnt(10)
	v_cmp_lt_f32_e32 vcc, 0, v7
	v_pk_mul_f32 v[2:3], v[6:7], v[50:51]
	v_cndmask_b32_e32 v3, v3, v7, vcc
	v_cmp_lt_f32_e32 vcc, 0, v6
	v_cvt_f32_f16_e32 v54, v4
	v_cvt_f32_f16_sdwa v55, v4 dst_sel:DWORD dst_unused:UNUSED_PAD src0_sel:WORD_1
	v_cndmask_b32_e32 v2, v2, v6, vcc
	v_add_co_u32_e32 v1, vcc, s14, v58
	v_addc_co_u32_e32 v50, vcc, 0, v60, vcc
	v_cvt_f32_f16_e32 v56, v5
	v_cvt_f32_f16_sdwa v57, v5 dst_sel:DWORD dst_unused:UNUSED_PAD src0_sel:WORD_1
	v_pk_mul_f32 v[4:5], v[8:9], v[52:53]
	v_cmp_lt_f32_e32 vcc, 0, v9
	v_cndmask_b32_e32 v5, v5, v9, vcc
	v_cmp_lt_f32_e32 vcc, 0, v8
	s_waitcnt vmcnt(9)
	v_pk_mul_f32 v[6:7], v[10:11], v[54:55]
	v_cndmask_b32_e32 v4, v4, v8, vcc
	v_cmp_lt_f32_e32 vcc, 0, v11
	v_cndmask_b32_e32 v7, v7, v11, vcc
	v_cmp_lt_f32_e32 vcc, 0, v10
	v_cndmask_b32_e32 v6, v6, v10, vcc
	v_pk_mul_f32 v[8:9], v[12:13], v[56:57]
	s_waitcnt vmcnt(8)
	v_cvt_f32_f16_e32 v10, v14
	v_cvt_f32_f16_sdwa v11, v14 dst_sel:DWORD dst_unused:UNUSED_PAD src0_sel:WORD_1
	v_cmp_lt_f32_e32 vcc, 0, v13
	v_cndmask_b32_e32 v9, v9, v13, vcc
	v_cmp_lt_f32_e32 vcc, 0, v12
	v_cndmask_b32_e32 v8, v8, v12, vcc
	v_cvt_f32_f16_e32 v12, v15
	v_cvt_f32_f16_sdwa v13, v15 dst_sel:DWORD dst_unused:UNUSED_PAD src0_sel:WORD_1
	s_waitcnt vmcnt(7)
	v_pk_mul_f32 v[10:11], v[18:19], v[10:11]
	v_cmp_lt_f32_e32 vcc, 0, v19
	v_cvt_f32_f16_e32 v14, v16
	v_cvt_f32_f16_sdwa v15, v16 dst_sel:DWORD dst_unused:UNUSED_PAD src0_sel:WORD_1
	v_cndmask_b32_e32 v11, v11, v19, vcc
	v_cmp_lt_f32_e32 vcc, 0, v18
	v_cndmask_b32_e32 v10, v10, v18, vcc
	v_pk_mul_f32 v[12:13], v[20:21], v[12:13]
	v_cmp_lt_f32_e32 vcc, 0, v21
	v_cvt_f32_f16_e32 v16, v17
	v_cvt_f32_f16_sdwa v17, v17 dst_sel:DWORD dst_unused:UNUSED_PAD src0_sel:WORD_1
	v_cndmask_b32_e32 v13, v13, v21, vcc
	v_cmp_lt_f32_e32 vcc, 0, v20
	v_cndmask_b32_e32 v12, v12, v20, vcc
	s_waitcnt vmcnt(6)
	v_pk_mul_f32 v[14:15], v[22:23], v[14:15]
	v_cmp_lt_f32_e32 vcc, 0, v23
	s_waitcnt vmcnt(5)
	v_cvt_f32_f16_e32 v18, v26
	v_cvt_f32_f16_sdwa v19, v26 dst_sel:DWORD dst_unused:UNUSED_PAD src0_sel:WORD_1
	v_cndmask_b32_e32 v15, v15, v23, vcc
	v_cmp_lt_f32_e32 vcc, 0, v22
	v_cndmask_b32_e32 v14, v14, v22, vcc
	v_pk_mul_f32 v[16:17], v[24:25], v[16:17]
	v_cmp_lt_f32_e32 vcc, 0, v25
	v_cvt_f32_f16_e32 v20, v27
	v_cvt_f32_f16_sdwa v21, v27 dst_sel:DWORD dst_unused:UNUSED_PAD src0_sel:WORD_1
	v_cndmask_b32_e32 v17, v17, v25, vcc
	v_cmp_lt_f32_e32 vcc, 0, v24
	v_cndmask_b32_e32 v16, v16, v24, vcc
	s_waitcnt vmcnt(4)
	v_pk_mul_f32 v[18:19], v[30:31], v[18:19]
	v_cmp_lt_f32_e32 vcc, 0, v31
	v_cvt_f32_f16_e32 v22, v28
	v_cvt_f32_f16_sdwa v23, v28 dst_sel:DWORD dst_unused:UNUSED_PAD src0_sel:WORD_1
	v_cndmask_b32_e32 v19, v19, v31, vcc
	v_cmp_lt_f32_e32 vcc, 0, v30
	v_cndmask_b32_e32 v18, v18, v30, vcc
	v_pk_mul_f32 v[20:21], v[32:33], v[20:21]
	v_cmp_lt_f32_e32 vcc, 0, v33
	v_cvt_f32_f16_e32 v24, v29
	v_cvt_f32_f16_sdwa v25, v29 dst_sel:DWORD dst_unused:UNUSED_PAD src0_sel:WORD_1
	v_cndmask_b32_e32 v21, v21, v33, vcc
	v_cmp_lt_f32_e32 vcc, 0, v32
	v_cndmask_b32_e32 v20, v20, v32, vcc
	s_waitcnt vmcnt(2)
	v_pk_mul_f32 v[22:23], v[38:39], v[22:23]
	v_cmp_lt_f32_e32 vcc, 0, v39
	s_waitcnt vmcnt(0)
	v_cvt_f32_f16_e32 v26, v46
	v_cvt_f32_f16_sdwa v27, v46 dst_sel:DWORD dst_unused:UNUSED_PAD src0_sel:WORD_1
	v_cndmask_b32_e32 v23, v23, v39, vcc
	v_cmp_lt_f32_e32 vcc, 0, v38
	v_cndmask_b32_e32 v22, v22, v38, vcc
	v_pk_mul_f32 v[24:25], v[40:41], v[24:25]
	v_cmp_lt_f32_e32 vcc, 0, v41
	v_cvt_f32_f16_e32 v28, v47
	v_cvt_f32_f16_sdwa v29, v47 dst_sel:DWORD dst_unused:UNUSED_PAD src0_sel:WORD_1
	v_cndmask_b32_e32 v25, v25, v41, vcc
	v_cmp_lt_f32_e32 vcc, 0, v40
	v_cndmask_b32_e32 v24, v24, v40, vcc
	v_pk_mul_f32 v[26:27], v[34:35], v[26:27]
	v_cmp_lt_f32_e32 vcc, 0, v35
	v_cvt_f32_f16_e32 v30, v48
	v_cvt_f32_f16_sdwa v31, v48 dst_sel:DWORD dst_unused:UNUSED_PAD src0_sel:WORD_1
	v_cndmask_b32_e32 v27, v27, v35, vcc
	v_cmp_lt_f32_e32 vcc, 0, v34
	v_cndmask_b32_e32 v26, v26, v34, vcc
	v_pk_mul_f32 v[28:29], v[36:37], v[28:29]
	v_cmp_lt_f32_e32 vcc, 0, v37
	v_cvt_f32_f16_e32 v32, v49
	v_cvt_f32_f16_sdwa v33, v49 dst_sel:DWORD dst_unused:UNUSED_PAD src0_sel:WORD_1
	v_cndmask_b32_e32 v29, v29, v37, vcc
	v_cmp_lt_f32_e32 vcc, 0, v36
	v_cndmask_b32_e32 v28, v28, v36, vcc
	v_pk_mul_f32 v[30:31], v[42:43], v[30:31]
	v_cmp_lt_f32_e32 vcc, 0, v43
	v_cndmask_b32_e32 v31, v31, v43, vcc
	v_cmp_lt_f32_e32 vcc, 0, v42
	v_cndmask_b32_e32 v30, v30, v42, vcc
	v_pk_mul_f32 v[32:33], v[44:45], v[32:33]
	v_cmp_lt_f32_e32 vcc, 0, v45
	v_cndmask_b32_e32 v33, v33, v45, vcc
	v_cmp_lt_f32_e32 vcc, 0, v44
	v_cndmask_b32_e32 v32, v32, v44, vcc
	global_store_dwordx4 v58, v[2:5], s[14:15]
	global_store_dwordx4 v58, v[6:9], s[14:15] offset:16
	v_add_co_u32_e32 v2, vcc, s20, v1
	v_addc_co_u32_e32 v3, vcc, 0, v50, vcc
	global_store_dwordx4 v[2:3], v[10:13], off
	global_store_dwordx4 v[2:3], v[14:17], off offset:16
	global_store_dwordx4 v59, v[18:21], s[14:15]
	global_store_dwordx4 v59, v[22:25], s[14:15] offset:16
	v_add_co_u32_e32 v2, vcc, 0xc000, v1
	v_addc_co_u32_e32 v3, vcc, 0, v50, vcc
	global_store_dwordx4 v[2:3], v[26:29], off
	global_store_dwordx4 v[2:3], v[30:33], off offset:16
	s_cbranch_execnz .LBB24_2
.LBB24_4:
	s_load_dword s6, s[4:5], 0x24
	s_load_dwordx4 s[20:23], s[4:5], 0x28
	s_add_u32 s8, s4, 56
	s_addc_u32 s9, s5, 0
	v_mov_b32_e32 v31, v0
	s_waitcnt lgkmcnt(0)
	v_lshrrev_b16_e64 v8, 8, s6
	v_mov_b32_e32 v0, s16
	v_mov_b32_e32 v1, s17
	;; [unrolled: 1-line block ×12, first 2 shown]
	s_getpc_b64 s[4:5]
	s_add_u32 s4, s4, _ZN2at6native25elementwise_kernel_helperILb1EZZZNS0_12prelu_kernelERNS_14TensorIteratorEENKUlvE_clEvENKUlvE0_clEvEUlffE_NS0_6memory8policies11unroll_baseILi512ESt5arrayIPcLm3EE23TrivialOffsetCalculatorILi2EjESD_ILi1EjENS7_12LoadWithCastILi2EEENS7_13StoreWithCastILi1EEELi32ELi1EEEEEvT0_T1_@rel32@lo+4
	s_addc_u32 s5, s5, _ZN2at6native25elementwise_kernel_helperILb1EZZZNS0_12prelu_kernelERNS_14TensorIteratorEENKUlvE_clEvENKUlvE0_clEvEUlffE_NS0_6memory8policies11unroll_baseILi512ESt5arrayIPcLm3EE23TrivialOffsetCalculatorILi2EjESD_ILi1EjENS7_12LoadWithCastILi2EEENS7_13StoreWithCastILi1EEELi32ELi1EEEEEvT0_T1_@rel32@hi+12
	s_swappc_b64 s[30:31], s[4:5]
	s_endpgm
	.section	.rodata,"a",@progbits
	.p2align	6, 0x0
	.amdhsa_kernel _ZN2at6native39vectorized_templated_elementwise_kernelILi8EZZZNS0_12prelu_kernelERNS_14TensorIteratorEENKUlvE_clEvENKUlvE0_clEvEUlffE_St5arrayIPcLm3EE23TrivialOffsetCalculatorILi2EjESA_ILi1EjENS0_6memory12LoadWithCastILi2EEENSD_13StoreWithCastILi1EEEfJfN3c104HalfEEEEviT0_T1_T2_T3_T4_T5_
		.amdhsa_group_segment_fixed_size 0
		.amdhsa_private_segment_fixed_size 288
		.amdhsa_kernarg_size 312
		.amdhsa_user_sgpr_count 8
		.amdhsa_user_sgpr_private_segment_buffer 1
		.amdhsa_user_sgpr_dispatch_ptr 0
		.amdhsa_user_sgpr_queue_ptr 0
		.amdhsa_user_sgpr_kernarg_segment_ptr 1
		.amdhsa_user_sgpr_dispatch_id 0
		.amdhsa_user_sgpr_flat_scratch_init 1
		.amdhsa_user_sgpr_kernarg_preload_length 0
		.amdhsa_user_sgpr_kernarg_preload_offset 0
		.amdhsa_user_sgpr_private_segment_size 0
		.amdhsa_uses_dynamic_stack 0
		.amdhsa_system_sgpr_private_segment_wavefront_offset 1
		.amdhsa_system_sgpr_workgroup_id_x 1
		.amdhsa_system_sgpr_workgroup_id_y 0
		.amdhsa_system_sgpr_workgroup_id_z 0
		.amdhsa_system_sgpr_workgroup_info 0
		.amdhsa_system_vgpr_workitem_id 0
		.amdhsa_next_free_vgpr 118
		.amdhsa_next_free_sgpr 98
		.amdhsa_accum_offset 120
		.amdhsa_reserve_vcc 1
		.amdhsa_reserve_flat_scratch 1
		.amdhsa_float_round_mode_32 0
		.amdhsa_float_round_mode_16_64 0
		.amdhsa_float_denorm_mode_32 3
		.amdhsa_float_denorm_mode_16_64 3
		.amdhsa_dx10_clamp 1
		.amdhsa_ieee_mode 1
		.amdhsa_fp16_overflow 0
		.amdhsa_tg_split 0
		.amdhsa_exception_fp_ieee_invalid_op 0
		.amdhsa_exception_fp_denorm_src 0
		.amdhsa_exception_fp_ieee_div_zero 0
		.amdhsa_exception_fp_ieee_overflow 0
		.amdhsa_exception_fp_ieee_underflow 0
		.amdhsa_exception_fp_ieee_inexact 0
		.amdhsa_exception_int_div_zero 0
	.end_amdhsa_kernel
	.section	.text._ZN2at6native39vectorized_templated_elementwise_kernelILi8EZZZNS0_12prelu_kernelERNS_14TensorIteratorEENKUlvE_clEvENKUlvE0_clEvEUlffE_St5arrayIPcLm3EE23TrivialOffsetCalculatorILi2EjESA_ILi1EjENS0_6memory12LoadWithCastILi2EEENSD_13StoreWithCastILi1EEEfJfN3c104HalfEEEEviT0_T1_T2_T3_T4_T5_,"axG",@progbits,_ZN2at6native39vectorized_templated_elementwise_kernelILi8EZZZNS0_12prelu_kernelERNS_14TensorIteratorEENKUlvE_clEvENKUlvE0_clEvEUlffE_St5arrayIPcLm3EE23TrivialOffsetCalculatorILi2EjESA_ILi1EjENS0_6memory12LoadWithCastILi2EEENSD_13StoreWithCastILi1EEEfJfN3c104HalfEEEEviT0_T1_T2_T3_T4_T5_,comdat
.Lfunc_end24:
	.size	_ZN2at6native39vectorized_templated_elementwise_kernelILi8EZZZNS0_12prelu_kernelERNS_14TensorIteratorEENKUlvE_clEvENKUlvE0_clEvEUlffE_St5arrayIPcLm3EE23TrivialOffsetCalculatorILi2EjESA_ILi1EjENS0_6memory12LoadWithCastILi2EEENSD_13StoreWithCastILi1EEEfJfN3c104HalfEEEEviT0_T1_T2_T3_T4_T5_, .Lfunc_end24-_ZN2at6native39vectorized_templated_elementwise_kernelILi8EZZZNS0_12prelu_kernelERNS_14TensorIteratorEENKUlvE_clEvENKUlvE0_clEvEUlffE_St5arrayIPcLm3EE23TrivialOffsetCalculatorILi2EjESA_ILi1EjENS0_6memory12LoadWithCastILi2EEENSD_13StoreWithCastILi1EEEfJfN3c104HalfEEEEviT0_T1_T2_T3_T4_T5_
                                        ; -- End function
	.section	.AMDGPU.csdata,"",@progbits
; Kernel info:
; codeLenInByte = 1200
; NumSgprs: 104
; NumVgprs: 118
; NumAgprs: 0
; TotalNumVgprs: 118
; ScratchSize: 288
; MemoryBound: 0
; FloatMode: 240
; IeeeMode: 1
; LDSByteSize: 0 bytes/workgroup (compile time only)
; SGPRBlocks: 12
; VGPRBlocks: 14
; NumSGPRsForWavesPerEU: 104
; NumVGPRsForWavesPerEU: 118
; AccumOffset: 120
; Occupancy: 4
; WaveLimiterHint : 0
; COMPUTE_PGM_RSRC2:SCRATCH_EN: 1
; COMPUTE_PGM_RSRC2:USER_SGPR: 8
; COMPUTE_PGM_RSRC2:TRAP_HANDLER: 0
; COMPUTE_PGM_RSRC2:TGID_X_EN: 1
; COMPUTE_PGM_RSRC2:TGID_Y_EN: 0
; COMPUTE_PGM_RSRC2:TGID_Z_EN: 0
; COMPUTE_PGM_RSRC2:TIDIG_COMP_CNT: 0
; COMPUTE_PGM_RSRC3_GFX90A:ACCUM_OFFSET: 29
; COMPUTE_PGM_RSRC3_GFX90A:TG_SPLIT: 0
	.section	.text._ZN2at6native39vectorized_templated_elementwise_kernelILi4EZZZNS0_12prelu_kernelERNS_14TensorIteratorEENKUlvE_clEvENKUlvE0_clEvEUlffE_St5arrayIPcLm3EE23TrivialOffsetCalculatorILi2EjESA_ILi1EjENS0_6memory12LoadWithCastILi2EEENSD_13StoreWithCastILi1EEEfJfN3c104HalfEEEEviT0_T1_T2_T3_T4_T5_,"axG",@progbits,_ZN2at6native39vectorized_templated_elementwise_kernelILi4EZZZNS0_12prelu_kernelERNS_14TensorIteratorEENKUlvE_clEvENKUlvE0_clEvEUlffE_St5arrayIPcLm3EE23TrivialOffsetCalculatorILi2EjESA_ILi1EjENS0_6memory12LoadWithCastILi2EEENSD_13StoreWithCastILi1EEEfJfN3c104HalfEEEEviT0_T1_T2_T3_T4_T5_,comdat
	.globl	_ZN2at6native39vectorized_templated_elementwise_kernelILi4EZZZNS0_12prelu_kernelERNS_14TensorIteratorEENKUlvE_clEvENKUlvE0_clEvEUlffE_St5arrayIPcLm3EE23TrivialOffsetCalculatorILi2EjESA_ILi1EjENS0_6memory12LoadWithCastILi2EEENSD_13StoreWithCastILi1EEEfJfN3c104HalfEEEEviT0_T1_T2_T3_T4_T5_ ; -- Begin function _ZN2at6native39vectorized_templated_elementwise_kernelILi4EZZZNS0_12prelu_kernelERNS_14TensorIteratorEENKUlvE_clEvENKUlvE0_clEvEUlffE_St5arrayIPcLm3EE23TrivialOffsetCalculatorILi2EjESA_ILi1EjENS0_6memory12LoadWithCastILi2EEENSD_13StoreWithCastILi1EEEfJfN3c104HalfEEEEviT0_T1_T2_T3_T4_T5_
	.p2align	8
	.type	_ZN2at6native39vectorized_templated_elementwise_kernelILi4EZZZNS0_12prelu_kernelERNS_14TensorIteratorEENKUlvE_clEvENKUlvE0_clEvEUlffE_St5arrayIPcLm3EE23TrivialOffsetCalculatorILi2EjESA_ILi1EjENS0_6memory12LoadWithCastILi2EEENSD_13StoreWithCastILi1EEEfJfN3c104HalfEEEEviT0_T1_T2_T3_T4_T5_,@function
_ZN2at6native39vectorized_templated_elementwise_kernelILi4EZZZNS0_12prelu_kernelERNS_14TensorIteratorEENKUlvE_clEvENKUlvE0_clEvEUlffE_St5arrayIPcLm3EE23TrivialOffsetCalculatorILi2EjESA_ILi1EjENS0_6memory12LoadWithCastILi2EEENSD_13StoreWithCastILi1EEEfJfN3c104HalfEEEEviT0_T1_T2_T3_T4_T5_: ; @_ZN2at6native39vectorized_templated_elementwise_kernelILi4EZZZNS0_12prelu_kernelERNS_14TensorIteratorEENKUlvE_clEvENKUlvE0_clEvEUlffE_St5arrayIPcLm3EE23TrivialOffsetCalculatorILi2EjESA_ILi1EjENS0_6memory12LoadWithCastILi2EEENSD_13StoreWithCastILi1EEEfJfN3c104HalfEEEEviT0_T1_T2_T3_T4_T5_
; %bb.0:
	s_add_u32 flat_scratch_lo, s6, s9
	s_addc_u32 flat_scratch_hi, s7, 0
	s_add_u32 s0, s0, s9
	s_mov_b32 s12, s8
	s_load_dword s8, s[4:5], 0x38
	s_load_dwordx2 s[6:7], s[4:5], 0x18
	s_load_dword s9, s[4:5], 0x0
	s_load_dwordx4 s[16:19], s[4:5], 0x8
	s_addc_u32 s1, s1, 0
	s_not_b32 s10, s12
	s_waitcnt lgkmcnt(0)
	s_add_i32 s8, s8, s10
	s_lshl_b32 s14, s8, 14
	s_sub_i32 s13, s9, s14
	s_cmpk_gt_i32 s13, 0x3fff
	s_mov_b64 s[8:9], -1
	s_mov_b32 s32, 0
	s_cbranch_scc1 .LBB25_3
; %bb.1:
	s_andn2_b64 vcc, exec, s[8:9]
	s_cbranch_vccz .LBB25_4
.LBB25_2:
	s_endpgm
.LBB25_3:
	s_ashr_i32 s15, s14, 31
	s_lshl_b64 s[10:11], s[14:15], 2
	s_add_u32 s8, s18, s10
	s_addc_u32 s9, s19, s11
	s_lshl_b64 s[14:15], s[14:15], 1
	s_add_u32 s14, s6, s14
	s_addc_u32 s15, s7, s15
	v_lshlrev_b32_e32 v2, 3, v0
	v_mov_b32_e32 v3, s15
	v_add_co_u32_e32 v48, vcc, s14, v2
	v_or_b32_e32 v10, 0x400, v0
	v_or_b32_e32 v18, 0x800, v0
	;; [unrolled: 1-line block ×3, first 2 shown]
	v_addc_co_u32_e32 v49, vcc, 0, v3, vcc
	s_movk_i32 s20, 0x1000
	v_lshlrev_b32_e32 v11, 3, v10
	v_lshlrev_b32_e32 v22, 3, v18
	;; [unrolled: 1-line block ×3, first 2 shown]
	global_load_dwordx2 v[26:27], v2, s[14:15]
	global_load_dwordx2 v[34:35], v11, s[14:15]
	;; [unrolled: 1-line block ×4, first 2 shown]
	v_add_co_u32_e32 v2, vcc, s20, v48
	v_lshlrev_b32_e32 v1, 4, v0
	v_addc_co_u32_e32 v3, vcc, 0, v49, vcc
	v_mov_b32_e32 v6, s9
	v_add_co_u32_e32 v50, vcc, s8, v1
	v_addc_co_u32_e32 v51, vcc, 0, v6, vcc
	s_movk_i32 s20, 0x2000
	v_add_co_u32_e32 v6, vcc, s20, v50
	v_addc_co_u32_e32 v7, vcc, 0, v51, vcc
	s_movk_i32 s22, 0x3000
	v_add_co_u32_e32 v14, vcc, s22, v48
	v_addc_co_u32_e32 v15, vcc, 0, v49, vcc
	global_load_dwordx2 v[30:31], v[2:3], off
	global_load_dwordx2 v[36:37], v[14:15], off
	v_lshlrev_b32_e32 v52, 4, v10
	global_load_dwordx4 v[2:5], v1, s[8:9]
	global_load_dwordx4 v[10:13], v52, s[8:9]
	s_movk_i32 s21, 0x6000
	global_load_dwordx4 v[6:9], v[6:7], off
	v_add_co_u32_e32 v14, vcc, s21, v50
	v_addc_co_u32_e32 v15, vcc, 0, v51, vcc
	global_load_dwordx4 v[14:17], v[14:15], off
	s_mov_b32 s23, 0xa000
	v_lshlrev_b32_e32 v53, 4, v18
	v_lshlrev_b32_e32 v54, 4, v19
	global_load_dwordx4 v[18:21], v53, s[8:9]
	v_add_co_u32_e32 v22, vcc, s23, v50
	s_movk_i32 s24, 0x5000
	v_addc_co_u32_e32 v23, vcc, 0, v51, vcc
	global_load_dwordx4 v[22:25], v[22:23], off
	v_add_co_u32_e32 v28, vcc, s24, v48
	v_addc_co_u32_e32 v29, vcc, 0, v49, vcc
	global_load_dwordx2 v[42:43], v[28:29], off
	s_add_u32 s10, s16, s10
	s_addc_u32 s11, s17, s11
	v_mov_b32_e32 v32, s11
	v_add_co_u32_e32 v55, vcc, s10, v1
	v_addc_co_u32_e32 v56, vcc, 0, v32, vcc
	s_waitcnt vmcnt(12)
	v_cvt_f32_f16_e32 v28, v26
	v_cvt_f32_f16_sdwa v29, v26 dst_sel:DWORD dst_unused:UNUSED_PAD src0_sel:WORD_1
	v_cvt_f32_f16_e32 v26, v27
	v_cvt_f32_f16_sdwa v27, v27 dst_sel:DWORD dst_unused:UNUSED_PAD src0_sel:WORD_1
	s_waitcnt vmcnt(8)
	v_cvt_f32_f16_e32 v32, v30
	v_cvt_f32_f16_sdwa v33, v30 dst_sel:DWORD dst_unused:UNUSED_PAD src0_sel:WORD_1
	v_cvt_f32_f16_e32 v46, v31
	s_waitcnt vmcnt(6)
	v_pk_mul_f32 v[28:29], v[2:3], v[28:29]
	v_cmp_lt_f32_e32 vcc, 0, v3
	v_cndmask_b32_e32 v3, v29, v3, vcc
	v_cmp_lt_f32_e32 vcc, 0, v2
	v_pk_mul_f32 v[26:27], v[4:5], v[26:27]
	v_cndmask_b32_e32 v2, v28, v2, vcc
	v_cmp_lt_f32_e32 vcc, 0, v5
	v_cndmask_b32_e32 v5, v27, v5, vcc
	v_cmp_lt_f32_e32 vcc, 0, v4
	v_cndmask_b32_e32 v4, v26, v4, vcc
	global_load_dwordx4 v[26:29], v54, s[8:9]
	s_waitcnt vmcnt(5)
	v_pk_mul_f32 v[44:45], v[6:7], v[32:33]
	v_cmp_lt_f32_e32 vcc, 0, v7
	s_movk_i32 s8, 0x7000
	v_cndmask_b32_e32 v7, v45, v7, vcc
	v_add_co_u32_e32 v30, vcc, s8, v48
	v_cvt_f32_f16_sdwa v47, v31 dst_sel:DWORD dst_unused:UNUSED_PAD src0_sel:WORD_1
	v_addc_co_u32_e32 v31, vcc, 0, v49, vcc
	global_load_dwordx2 v[48:49], v[30:31], off
	s_mov_b32 s8, 0xe000
	v_add_co_u32_e32 v30, vcc, s8, v50
	v_addc_co_u32_e32 v31, vcc, 0, v51, vcc
	global_load_dwordx4 v[30:33], v[30:31], off
	v_cmp_lt_f32_e32 vcc, 0, v6
	v_cndmask_b32_e32 v6, v44, v6, vcc
	v_pk_mul_f32 v[44:45], v[8:9], v[46:47]
	v_cvt_f32_f16_e32 v46, v34
	v_cvt_f32_f16_sdwa v47, v34 dst_sel:DWORD dst_unused:UNUSED_PAD src0_sel:WORD_1
	v_cmp_lt_f32_e32 vcc, 0, v9
	v_cndmask_b32_e32 v9, v45, v9, vcc
	v_cmp_lt_f32_e32 vcc, 0, v8
	v_cndmask_b32_e32 v8, v44, v8, vcc
	v_pk_mul_f32 v[44:45], v[10:11], v[46:47]
	v_cvt_f32_f16_e32 v34, v35
	v_cvt_f32_f16_sdwa v35, v35 dst_sel:DWORD dst_unused:UNUSED_PAD src0_sel:WORD_1
	v_cmp_lt_f32_e32 vcc, 0, v11
	v_cndmask_b32_e32 v11, v45, v11, vcc
	v_cmp_lt_f32_e32 vcc, 0, v10
	v_cndmask_b32_e32 v10, v44, v10, vcc
	v_cvt_f32_f16_e32 v44, v36
	v_cvt_f32_f16_sdwa v45, v36 dst_sel:DWORD dst_unused:UNUSED_PAD src0_sel:WORD_1
	v_pk_mul_f32 v[34:35], v[12:13], v[34:35]
	v_cmp_lt_f32_e32 vcc, 0, v13
	v_cvt_f32_f16_e32 v36, v37
	v_cvt_f32_f16_sdwa v37, v37 dst_sel:DWORD dst_unused:UNUSED_PAD src0_sel:WORD_1
	v_cndmask_b32_e32 v13, v35, v13, vcc
	v_cmp_lt_f32_e32 vcc, 0, v12
	v_cndmask_b32_e32 v12, v34, v12, vcc
	s_waitcnt vmcnt(6)
	v_pk_mul_f32 v[34:35], v[14:15], v[44:45]
	v_cmp_lt_f32_e32 vcc, 0, v15
	v_cndmask_b32_e32 v15, v35, v15, vcc
	v_cmp_lt_f32_e32 vcc, 0, v14
	v_cndmask_b32_e32 v14, v34, v14, vcc
	v_pk_mul_f32 v[34:35], v[16:17], v[36:37]
	v_cvt_f32_f16_e32 v36, v38
	v_cvt_f32_f16_sdwa v37, v38 dst_sel:DWORD dst_unused:UNUSED_PAD src0_sel:WORD_1
	v_cmp_lt_f32_e32 vcc, 0, v17
	v_cndmask_b32_e32 v17, v35, v17, vcc
	v_cmp_lt_f32_e32 vcc, 0, v16
	v_cndmask_b32_e32 v16, v34, v16, vcc
	s_waitcnt vmcnt(5)
	v_pk_mul_f32 v[34:35], v[18:19], v[36:37]
	v_cvt_f32_f16_e32 v36, v39
	v_cvt_f32_f16_sdwa v37, v39 dst_sel:DWORD dst_unused:UNUSED_PAD src0_sel:WORD_1
	v_cmp_lt_f32_e32 vcc, 0, v19
	v_cndmask_b32_e32 v19, v35, v19, vcc
	v_cmp_lt_f32_e32 vcc, 0, v18
	v_cndmask_b32_e32 v18, v34, v18, vcc
	v_pk_mul_f32 v[34:35], v[20:21], v[36:37]
	s_waitcnt vmcnt(3)
	v_cvt_f32_f16_e32 v36, v42
	v_cvt_f32_f16_sdwa v37, v42 dst_sel:DWORD dst_unused:UNUSED_PAD src0_sel:WORD_1
	v_cmp_lt_f32_e32 vcc, 0, v21
	v_cndmask_b32_e32 v21, v35, v21, vcc
	v_cmp_lt_f32_e32 vcc, 0, v20
	v_cndmask_b32_e32 v20, v34, v20, vcc
	v_pk_mul_f32 v[34:35], v[22:23], v[36:37]
	v_cvt_f32_f16_e32 v36, v43
	v_cvt_f32_f16_sdwa v37, v43 dst_sel:DWORD dst_unused:UNUSED_PAD src0_sel:WORD_1
	v_cmp_lt_f32_e32 vcc, 0, v23
	v_cndmask_b32_e32 v23, v35, v23, vcc
	v_cmp_lt_f32_e32 vcc, 0, v22
	v_cndmask_b32_e32 v22, v34, v22, vcc
	v_pk_mul_f32 v[34:35], v[24:25], v[36:37]
	v_cvt_f32_f16_e32 v36, v40
	v_cvt_f32_f16_sdwa v37, v40 dst_sel:DWORD dst_unused:UNUSED_PAD src0_sel:WORD_1
	v_cmp_lt_f32_e32 vcc, 0, v25
	v_cndmask_b32_e32 v25, v35, v25, vcc
	v_cmp_lt_f32_e32 vcc, 0, v24
	v_cndmask_b32_e32 v24, v34, v24, vcc
	s_waitcnt vmcnt(2)
	v_pk_mul_f32 v[34:35], v[26:27], v[36:37]
	v_cvt_f32_f16_e32 v36, v41
	v_cvt_f32_f16_sdwa v37, v41 dst_sel:DWORD dst_unused:UNUSED_PAD src0_sel:WORD_1
	v_cmp_lt_f32_e32 vcc, 0, v27
	v_cndmask_b32_e32 v27, v35, v27, vcc
	v_cmp_lt_f32_e32 vcc, 0, v26
	v_cndmask_b32_e32 v26, v34, v26, vcc
	v_pk_mul_f32 v[34:35], v[28:29], v[36:37]
	s_waitcnt vmcnt(1)
	v_cvt_f32_f16_e32 v36, v48
	v_cvt_f32_f16_sdwa v37, v48 dst_sel:DWORD dst_unused:UNUSED_PAD src0_sel:WORD_1
	v_cmp_lt_f32_e32 vcc, 0, v29
	v_cndmask_b32_e32 v29, v35, v29, vcc
	v_cmp_lt_f32_e32 vcc, 0, v28
	v_cndmask_b32_e32 v28, v34, v28, vcc
	s_waitcnt vmcnt(0)
	v_pk_mul_f32 v[34:35], v[30:31], v[36:37]
	v_cvt_f32_f16_e32 v36, v49
	v_cvt_f32_f16_sdwa v37, v49 dst_sel:DWORD dst_unused:UNUSED_PAD src0_sel:WORD_1
	v_cmp_lt_f32_e32 vcc, 0, v31
	v_cndmask_b32_e32 v31, v35, v31, vcc
	v_cmp_lt_f32_e32 vcc, 0, v30
	v_cndmask_b32_e32 v30, v34, v30, vcc
	v_pk_mul_f32 v[34:35], v[32:33], v[36:37]
	v_cmp_lt_f32_e32 vcc, 0, v33
	v_cndmask_b32_e32 v33, v35, v33, vcc
	v_cmp_lt_f32_e32 vcc, 0, v32
	v_cndmask_b32_e32 v32, v34, v32, vcc
	global_store_dwordx4 v1, v[2:5], s[10:11]
	s_nop 0
	v_add_co_u32_e32 v2, vcc, s20, v55
	v_addc_co_u32_e32 v3, vcc, 0, v56, vcc
	global_store_dwordx4 v[2:3], v[6:9], off
	global_store_dwordx4 v52, v[10:13], s[10:11]
	v_add_co_u32_e32 v2, vcc, s21, v55
	v_addc_co_u32_e32 v3, vcc, 0, v56, vcc
	global_store_dwordx4 v[2:3], v[14:17], off
	global_store_dwordx4 v53, v[18:21], s[10:11]
	;; [unrolled: 4-line block ×3, first 2 shown]
	v_add_co_u32_e32 v2, vcc, 0xe000, v55
	v_addc_co_u32_e32 v3, vcc, 0, v56, vcc
	global_store_dwordx4 v[2:3], v[30:33], off
	s_cbranch_execnz .LBB25_2
.LBB25_4:
	s_load_dword s10, s[4:5], 0x24
	s_load_dwordx4 s[20:23], s[4:5], 0x28
	s_add_u32 s8, s4, 56
	s_addc_u32 s9, s5, 0
	v_mov_b32_e32 v31, v0
	s_waitcnt lgkmcnt(0)
	v_lshrrev_b16_e64 v8, 8, s10
	v_mov_b32_e32 v0, s16
	v_mov_b32_e32 v1, s17
	;; [unrolled: 1-line block ×12, first 2 shown]
	s_getpc_b64 s[4:5]
	s_add_u32 s4, s4, _ZN2at6native25elementwise_kernel_helperILb1EZZZNS0_12prelu_kernelERNS_14TensorIteratorEENKUlvE_clEvENKUlvE0_clEvEUlffE_NS0_6memory8policies11unroll_baseILi512ESt5arrayIPcLm3EE23TrivialOffsetCalculatorILi2EjESD_ILi1EjENS7_12LoadWithCastILi2EEENS7_13StoreWithCastILi1EEELi32ELi1EEEEEvT0_T1_@rel32@lo+4
	s_addc_u32 s5, s5, _ZN2at6native25elementwise_kernel_helperILb1EZZZNS0_12prelu_kernelERNS_14TensorIteratorEENKUlvE_clEvENKUlvE0_clEvEUlffE_NS0_6memory8policies11unroll_baseILi512ESt5arrayIPcLm3EE23TrivialOffsetCalculatorILi2EjESD_ILi1EjENS7_12LoadWithCastILi2EEENS7_13StoreWithCastILi1EEELi32ELi1EEEEEvT0_T1_@rel32@hi+12
	s_swappc_b64 s[30:31], s[4:5]
	s_endpgm
	.section	.rodata,"a",@progbits
	.p2align	6, 0x0
	.amdhsa_kernel _ZN2at6native39vectorized_templated_elementwise_kernelILi4EZZZNS0_12prelu_kernelERNS_14TensorIteratorEENKUlvE_clEvENKUlvE0_clEvEUlffE_St5arrayIPcLm3EE23TrivialOffsetCalculatorILi2EjESA_ILi1EjENS0_6memory12LoadWithCastILi2EEENSD_13StoreWithCastILi1EEEfJfN3c104HalfEEEEviT0_T1_T2_T3_T4_T5_
		.amdhsa_group_segment_fixed_size 0
		.amdhsa_private_segment_fixed_size 288
		.amdhsa_kernarg_size 312
		.amdhsa_user_sgpr_count 8
		.amdhsa_user_sgpr_private_segment_buffer 1
		.amdhsa_user_sgpr_dispatch_ptr 0
		.amdhsa_user_sgpr_queue_ptr 0
		.amdhsa_user_sgpr_kernarg_segment_ptr 1
		.amdhsa_user_sgpr_dispatch_id 0
		.amdhsa_user_sgpr_flat_scratch_init 1
		.amdhsa_user_sgpr_kernarg_preload_length 0
		.amdhsa_user_sgpr_kernarg_preload_offset 0
		.amdhsa_user_sgpr_private_segment_size 0
		.amdhsa_uses_dynamic_stack 0
		.amdhsa_system_sgpr_private_segment_wavefront_offset 1
		.amdhsa_system_sgpr_workgroup_id_x 1
		.amdhsa_system_sgpr_workgroup_id_y 0
		.amdhsa_system_sgpr_workgroup_id_z 0
		.amdhsa_system_sgpr_workgroup_info 0
		.amdhsa_system_vgpr_workitem_id 0
		.amdhsa_next_free_vgpr 118
		.amdhsa_next_free_sgpr 98
		.amdhsa_accum_offset 120
		.amdhsa_reserve_vcc 1
		.amdhsa_reserve_flat_scratch 1
		.amdhsa_float_round_mode_32 0
		.amdhsa_float_round_mode_16_64 0
		.amdhsa_float_denorm_mode_32 3
		.amdhsa_float_denorm_mode_16_64 3
		.amdhsa_dx10_clamp 1
		.amdhsa_ieee_mode 1
		.amdhsa_fp16_overflow 0
		.amdhsa_tg_split 0
		.amdhsa_exception_fp_ieee_invalid_op 0
		.amdhsa_exception_fp_denorm_src 0
		.amdhsa_exception_fp_ieee_div_zero 0
		.amdhsa_exception_fp_ieee_overflow 0
		.amdhsa_exception_fp_ieee_underflow 0
		.amdhsa_exception_fp_ieee_inexact 0
		.amdhsa_exception_int_div_zero 0
	.end_amdhsa_kernel
	.section	.text._ZN2at6native39vectorized_templated_elementwise_kernelILi4EZZZNS0_12prelu_kernelERNS_14TensorIteratorEENKUlvE_clEvENKUlvE0_clEvEUlffE_St5arrayIPcLm3EE23TrivialOffsetCalculatorILi2EjESA_ILi1EjENS0_6memory12LoadWithCastILi2EEENSD_13StoreWithCastILi1EEEfJfN3c104HalfEEEEviT0_T1_T2_T3_T4_T5_,"axG",@progbits,_ZN2at6native39vectorized_templated_elementwise_kernelILi4EZZZNS0_12prelu_kernelERNS_14TensorIteratorEENKUlvE_clEvENKUlvE0_clEvEUlffE_St5arrayIPcLm3EE23TrivialOffsetCalculatorILi2EjESA_ILi1EjENS0_6memory12LoadWithCastILi2EEENSD_13StoreWithCastILi1EEEfJfN3c104HalfEEEEviT0_T1_T2_T3_T4_T5_,comdat
.Lfunc_end25:
	.size	_ZN2at6native39vectorized_templated_elementwise_kernelILi4EZZZNS0_12prelu_kernelERNS_14TensorIteratorEENKUlvE_clEvENKUlvE0_clEvEUlffE_St5arrayIPcLm3EE23TrivialOffsetCalculatorILi2EjESA_ILi1EjENS0_6memory12LoadWithCastILi2EEENSD_13StoreWithCastILi1EEEfJfN3c104HalfEEEEviT0_T1_T2_T3_T4_T5_, .Lfunc_end25-_ZN2at6native39vectorized_templated_elementwise_kernelILi4EZZZNS0_12prelu_kernelERNS_14TensorIteratorEENKUlvE_clEvENKUlvE0_clEvEUlffE_St5arrayIPcLm3EE23TrivialOffsetCalculatorILi2EjESA_ILi1EjENS0_6memory12LoadWithCastILi2EEENSD_13StoreWithCastILi1EEEfJfN3c104HalfEEEEviT0_T1_T2_T3_T4_T5_
                                        ; -- End function
	.section	.AMDGPU.csdata,"",@progbits
; Kernel info:
; codeLenInByte = 1304
; NumSgprs: 104
; NumVgprs: 118
; NumAgprs: 0
; TotalNumVgprs: 118
; ScratchSize: 288
; MemoryBound: 0
; FloatMode: 240
; IeeeMode: 1
; LDSByteSize: 0 bytes/workgroup (compile time only)
; SGPRBlocks: 12
; VGPRBlocks: 14
; NumSGPRsForWavesPerEU: 104
; NumVGPRsForWavesPerEU: 118
; AccumOffset: 120
; Occupancy: 4
; WaveLimiterHint : 0
; COMPUTE_PGM_RSRC2:SCRATCH_EN: 1
; COMPUTE_PGM_RSRC2:USER_SGPR: 8
; COMPUTE_PGM_RSRC2:TRAP_HANDLER: 0
; COMPUTE_PGM_RSRC2:TGID_X_EN: 1
; COMPUTE_PGM_RSRC2:TGID_Y_EN: 0
; COMPUTE_PGM_RSRC2:TGID_Z_EN: 0
; COMPUTE_PGM_RSRC2:TIDIG_COMP_CNT: 0
; COMPUTE_PGM_RSRC3_GFX90A:ACCUM_OFFSET: 29
; COMPUTE_PGM_RSRC3_GFX90A:TG_SPLIT: 0
	.section	.text._ZN2at6native39vectorized_templated_elementwise_kernelILi2EZZZNS0_12prelu_kernelERNS_14TensorIteratorEENKUlvE_clEvENKUlvE0_clEvEUlffE_St5arrayIPcLm3EE23TrivialOffsetCalculatorILi2EjESA_ILi1EjENS0_6memory12LoadWithCastILi2EEENSD_13StoreWithCastILi1EEEfJfN3c104HalfEEEEviT0_T1_T2_T3_T4_T5_,"axG",@progbits,_ZN2at6native39vectorized_templated_elementwise_kernelILi2EZZZNS0_12prelu_kernelERNS_14TensorIteratorEENKUlvE_clEvENKUlvE0_clEvEUlffE_St5arrayIPcLm3EE23TrivialOffsetCalculatorILi2EjESA_ILi1EjENS0_6memory12LoadWithCastILi2EEENSD_13StoreWithCastILi1EEEfJfN3c104HalfEEEEviT0_T1_T2_T3_T4_T5_,comdat
	.globl	_ZN2at6native39vectorized_templated_elementwise_kernelILi2EZZZNS0_12prelu_kernelERNS_14TensorIteratorEENKUlvE_clEvENKUlvE0_clEvEUlffE_St5arrayIPcLm3EE23TrivialOffsetCalculatorILi2EjESA_ILi1EjENS0_6memory12LoadWithCastILi2EEENSD_13StoreWithCastILi1EEEfJfN3c104HalfEEEEviT0_T1_T2_T3_T4_T5_ ; -- Begin function _ZN2at6native39vectorized_templated_elementwise_kernelILi2EZZZNS0_12prelu_kernelERNS_14TensorIteratorEENKUlvE_clEvENKUlvE0_clEvEUlffE_St5arrayIPcLm3EE23TrivialOffsetCalculatorILi2EjESA_ILi1EjENS0_6memory12LoadWithCastILi2EEENSD_13StoreWithCastILi1EEEfJfN3c104HalfEEEEviT0_T1_T2_T3_T4_T5_
	.p2align	8
	.type	_ZN2at6native39vectorized_templated_elementwise_kernelILi2EZZZNS0_12prelu_kernelERNS_14TensorIteratorEENKUlvE_clEvENKUlvE0_clEvEUlffE_St5arrayIPcLm3EE23TrivialOffsetCalculatorILi2EjESA_ILi1EjENS0_6memory12LoadWithCastILi2EEENSD_13StoreWithCastILi1EEEfJfN3c104HalfEEEEviT0_T1_T2_T3_T4_T5_,@function
_ZN2at6native39vectorized_templated_elementwise_kernelILi2EZZZNS0_12prelu_kernelERNS_14TensorIteratorEENKUlvE_clEvENKUlvE0_clEvEUlffE_St5arrayIPcLm3EE23TrivialOffsetCalculatorILi2EjESA_ILi1EjENS0_6memory12LoadWithCastILi2EEENSD_13StoreWithCastILi1EEEfJfN3c104HalfEEEEviT0_T1_T2_T3_T4_T5_: ; @_ZN2at6native39vectorized_templated_elementwise_kernelILi2EZZZNS0_12prelu_kernelERNS_14TensorIteratorEENKUlvE_clEvENKUlvE0_clEvEUlffE_St5arrayIPcLm3EE23TrivialOffsetCalculatorILi2EjESA_ILi1EjENS0_6memory12LoadWithCastILi2EEENSD_13StoreWithCastILi1EEEfJfN3c104HalfEEEEviT0_T1_T2_T3_T4_T5_
; %bb.0:
	s_add_u32 flat_scratch_lo, s6, s9
	s_addc_u32 flat_scratch_hi, s7, 0
	s_add_u32 s0, s0, s9
	s_mov_b32 s12, s8
	s_load_dword s8, s[4:5], 0x38
	s_load_dwordx2 s[6:7], s[4:5], 0x18
	s_load_dword s9, s[4:5], 0x0
	s_load_dwordx4 s[16:19], s[4:5], 0x8
	s_addc_u32 s1, s1, 0
	s_not_b32 s10, s12
	s_waitcnt lgkmcnt(0)
	s_add_i32 s8, s8, s10
	s_lshl_b32 s14, s8, 14
	s_sub_i32 s13, s9, s14
	s_cmpk_gt_i32 s13, 0x3fff
	s_mov_b64 s[8:9], -1
	s_mov_b32 s32, 0
	s_cbranch_scc1 .LBB26_3
; %bb.1:
	s_andn2_b64 vcc, exec, s[8:9]
	s_cbranch_vccz .LBB26_4
.LBB26_2:
	s_endpgm
.LBB26_3:
	s_ashr_i32 s15, s14, 31
	s_lshl_b64 s[8:9], s[14:15], 2
	s_add_u32 s10, s18, s8
	s_addc_u32 s11, s19, s9
	s_lshl_b64 s[14:15], s[14:15], 1
	v_lshlrev_b32_e32 v1, 3, v0
	s_add_u32 s14, s6, s14
	v_mov_b32_e32 v2, s11
	v_add_co_u32_e32 v38, vcc, s10, v1
	v_or_b32_e32 v4, 0x400, v0
	s_addc_u32 s15, s7, s15
	v_lshlrev_b32_e32 v5, 2, v0
	v_addc_co_u32_e32 v39, vcc, 0, v2, vcc
	v_lshlrev_b32_e32 v2, 2, v4
	global_load_dword v15, v5, s[14:15]
	global_load_dword v17, v5, s[14:15] offset:2048
	global_load_dword v19, v2, s[14:15]
	s_movk_i32 s20, 0x1000
	v_add_co_u32_e32 v2, vcc, s20, v38
	v_addc_co_u32_e32 v3, vcc, 0, v39, vcc
	global_load_dwordx2 v[6:7], v1, s[10:11]
	global_load_dwordx2 v[8:9], v[2:3], off
	v_lshlrev_b32_e32 v40, 3, v4
	global_load_dwordx2 v[10:11], v40, s[10:11]
	v_mov_b32_e32 v2, s15
	v_add_co_u32_e32 v41, vcc, s14, v5
	v_addc_co_u32_e32 v42, vcc, 0, v2, vcc
	v_add_co_u32_e32 v2, vcc, s20, v41
	v_addc_co_u32_e32 v3, vcc, 0, v42, vcc
	global_load_dword v20, v[2:3], off offset:2048
	s_movk_i32 s21, 0x3000
	v_add_co_u32_e32 v2, vcc, s21, v38
	v_or_b32_e32 v4, 0x800, v0
	v_or_b32_e32 v5, 0xc00, v0
	;; [unrolled: 1-line block ×3, first 2 shown]
	s_add_u32 s8, s16, s8
	v_addc_co_u32_e32 v3, vcc, 0, v39, vcc
	global_load_dwordx2 v[2:3], v[2:3], off
	v_or_b32_e32 v12, 0x1000, v0
	v_or_b32_e32 v13, 0x1400, v0
	v_lshlrev_b32_e32 v43, 3, v4
	v_lshlrev_b32_e32 v47, 3, v14
	;; [unrolled: 1-line block ×5, first 2 shown]
	s_addc_u32 s9, s17, s9
	v_lshlrev_b32_e32 v44, 3, v5
	v_lshlrev_b32_e32 v45, 3, v12
	;; [unrolled: 1-line block ×3, first 2 shown]
	global_load_dword v25, v4, s[14:15]
	v_lshlrev_b32_e32 v21, 2, v12
	v_lshlrev_b32_e32 v22, 2, v13
	global_load_dwordx2 v[4:5], v43, s[10:11]
	global_load_dwordx2 v[12:13], v44, s[10:11]
	global_load_dword v50, v18, s[14:15]
	global_load_dword v51, v21, s[14:15]
	;; [unrolled: 1-line block ×4, first 2 shown]
	v_mov_b32_e32 v14, s9
	v_add_co_u32_e32 v54, vcc, s8, v1
	v_addc_co_u32_e32 v55, vcc, 0, v14, vcc
	v_or_b32_e32 v16, 0x1c00, v0
	v_lshlrev_b32_e32 v48, 3, v16
	v_lshlrev_b32_e32 v49, 2, v16
	s_movk_i32 s23, 0x2000
	s_movk_i32 s22, 0x5000
	;; [unrolled: 1-line block ×3, first 2 shown]
	s_mov_b32 s25, 0x9000
	s_movk_i32 s27, 0x6000
	s_mov_b32 s26, 0xd000
	s_waitcnt vmcnt(14)
	v_cvt_f32_f16_e32 v14, v15
	v_cvt_f32_f16_sdwa v15, v15 dst_sel:DWORD dst_unused:UNUSED_PAD src0_sel:WORD_1
	s_waitcnt vmcnt(13)
	v_cvt_f32_f16_e32 v16, v17
	v_cvt_f32_f16_sdwa v17, v17 dst_sel:DWORD dst_unused:UNUSED_PAD src0_sel:WORD_1
	;; [unrolled: 3-line block ×3, first 2 shown]
	s_waitcnt vmcnt(11)
	v_pk_mul_f32 v[14:15], v[6:7], v[14:15]
	v_cmp_lt_f32_e32 vcc, 0, v7
	v_cndmask_b32_e32 v7, v15, v7, vcc
	v_cmp_lt_f32_e32 vcc, 0, v6
	s_waitcnt vmcnt(10)
	v_pk_mul_f32 v[16:17], v[8:9], v[16:17]
	v_cndmask_b32_e32 v6, v14, v6, vcc
	v_cmp_lt_f32_e32 vcc, 0, v9
	v_cndmask_b32_e32 v9, v17, v9, vcc
	v_cmp_lt_f32_e32 vcc, 0, v8
	v_cndmask_b32_e32 v8, v16, v8, vcc
	s_waitcnt vmcnt(9)
	v_pk_mul_f32 v[14:15], v[10:11], v[18:19]
	v_cmp_lt_f32_e32 vcc, 0, v11
	v_cndmask_b32_e32 v11, v15, v11, vcc
	v_add_co_u32_e32 v16, vcc, s23, v41
	v_addc_co_u32_e32 v17, vcc, 0, v42, vcc
	global_load_dword v56, v[16:17], off offset:2048
	v_add_co_u32_e32 v16, vcc, s22, v38
	v_addc_co_u32_e32 v17, vcc, 0, v39, vcc
	global_load_dwordx2 v[16:17], v[16:17], off
	v_cmp_lt_f32_e32 vcc, 0, v10
	v_cndmask_b32_e32 v10, v14, v10, vcc
	v_add_co_u32_e32 v18, vcc, s21, v41
	v_addc_co_u32_e32 v19, vcc, 0, v42, vcc
	global_load_dword v57, v[18:19], off offset:2048
	v_add_co_u32_e32 v18, vcc, s24, v38
	v_addc_co_u32_e32 v19, vcc, 0, v39, vcc
	global_load_dwordx2 v[18:19], v[18:19], off
	s_movk_i32 s23, 0x4000
	v_add_co_u32_e32 v22, vcc, s23, v41
	v_addc_co_u32_e32 v23, vcc, 0, v42, vcc
	s_waitcnt vmcnt(12)
	v_cvt_f32_f16_e32 v14, v20
	v_cvt_f32_f16_sdwa v15, v20 dst_sel:DWORD dst_unused:UNUSED_PAD src0_sel:WORD_1
	global_load_dwordx2 v[20:21], v45, s[10:11]
	global_load_dwordx2 v[26:27], v46, s[10:11]
	global_load_dword v58, v[22:23], off offset:2048
	v_add_co_u32_e32 v22, vcc, s25, v38
	v_addc_co_u32_e32 v23, vcc, 0, v39, vcc
	global_load_dwordx2 v[22:23], v[22:23], off
	v_add_co_u32_e32 v28, vcc, s22, v41
	v_addc_co_u32_e32 v29, vcc, 0, v42, vcc
	global_load_dword v59, v[28:29], off offset:2048
	s_mov_b32 s23, 0xb000
	v_add_co_u32_e32 v28, vcc, s23, v38
	v_addc_co_u32_e32 v29, vcc, 0, v39, vcc
	global_load_dwordx2 v[30:31], v[28:29], off
	global_load_dwordx2 v[32:33], v47, s[10:11]
	v_add_co_u32_e32 v28, vcc, s27, v41
	v_addc_co_u32_e32 v29, vcc, 0, v42, vcc
	global_load_dword v60, v[28:29], off offset:2048
	v_add_co_u32_e32 v28, vcc, s26, v38
	v_addc_co_u32_e32 v29, vcc, 0, v39, vcc
	global_load_dwordx2 v[34:35], v[28:29], off
	global_load_dwordx2 v[36:37], v48, s[10:11]
	global_load_dword v61, v49, s[14:15]
	v_add_co_u32_e32 v28, vcc, s24, v41
	v_addc_co_u32_e32 v29, vcc, 0, v42, vcc
	global_load_dword v41, v[28:29], off offset:2048
	s_mov_b32 s10, 0xf000
	v_add_co_u32_e32 v28, vcc, s10, v38
	v_addc_co_u32_e32 v29, vcc, 0, v39, vcc
	global_load_dwordx2 v[28:29], v[28:29], off
	s_waitcnt vmcnt(23)
	v_cvt_f32_f16_e32 v24, v25
	v_cvt_f32_f16_sdwa v25, v25 dst_sel:DWORD dst_unused:UNUSED_PAD src0_sel:WORD_1
	v_pk_mul_f32 v[14:15], v[2:3], v[14:15]
	v_cmp_lt_f32_e32 vcc, 0, v3
	v_cndmask_b32_e32 v3, v15, v3, vcc
	v_cmp_lt_f32_e32 vcc, 0, v2
	v_cndmask_b32_e32 v2, v14, v2, vcc
	s_waitcnt vmcnt(22)
	v_pk_mul_f32 v[14:15], v[4:5], v[24:25]
	v_cmp_lt_f32_e32 vcc, 0, v5
	v_cndmask_b32_e32 v5, v15, v5, vcc
	v_cmp_lt_f32_e32 vcc, 0, v4
	v_cndmask_b32_e32 v4, v14, v4, vcc
	global_store_dwordx2 v1, v[6:7], s[8:9]
	s_waitcnt vmcnt(17)
	v_cvt_f32_f16_e32 v24, v56
	v_cvt_f32_f16_sdwa v25, v56 dst_sel:DWORD dst_unused:UNUSED_PAD src0_sel:WORD_1
	s_waitcnt vmcnt(16)
	v_pk_mul_f32 v[14:15], v[16:17], v[24:25]
	v_cvt_f32_f16_e32 v24, v50
	v_cvt_f32_f16_sdwa v25, v50 dst_sel:DWORD dst_unused:UNUSED_PAD src0_sel:WORD_1
	v_cmp_lt_f32_e32 vcc, 0, v17
	v_cndmask_b32_e32 v15, v15, v17, vcc
	v_cmp_lt_f32_e32 vcc, 0, v16
	v_cndmask_b32_e32 v14, v14, v16, vcc
	v_pk_mul_f32 v[16:17], v[12:13], v[24:25]
	s_waitcnt vmcnt(15)
	v_cvt_f32_f16_e32 v24, v57
	v_cvt_f32_f16_sdwa v25, v57 dst_sel:DWORD dst_unused:UNUSED_PAD src0_sel:WORD_1
	v_cmp_lt_f32_e32 vcc, 0, v13
	v_cndmask_b32_e32 v13, v17, v13, vcc
	v_cmp_lt_f32_e32 vcc, 0, v12
	v_cndmask_b32_e32 v12, v16, v12, vcc
	s_waitcnt vmcnt(14)
	v_pk_mul_f32 v[16:17], v[18:19], v[24:25]
	v_cvt_f32_f16_e32 v24, v51
	v_cvt_f32_f16_sdwa v25, v51 dst_sel:DWORD dst_unused:UNUSED_PAD src0_sel:WORD_1
	v_cmp_lt_f32_e32 vcc, 0, v19
	v_cndmask_b32_e32 v17, v17, v19, vcc
	v_cmp_lt_f32_e32 vcc, 0, v18
	v_cndmask_b32_e32 v16, v16, v18, vcc
	s_waitcnt vmcnt(13)
	v_pk_mul_f32 v[18:19], v[20:21], v[24:25]
	s_waitcnt vmcnt(11)
	v_cvt_f32_f16_e32 v24, v58
	v_cvt_f32_f16_sdwa v25, v58 dst_sel:DWORD dst_unused:UNUSED_PAD src0_sel:WORD_1
	v_cmp_lt_f32_e32 vcc, 0, v21
	v_cndmask_b32_e32 v19, v19, v21, vcc
	v_cmp_lt_f32_e32 vcc, 0, v20
	v_cndmask_b32_e32 v18, v18, v20, vcc
	s_waitcnt vmcnt(10)
	v_pk_mul_f32 v[20:21], v[22:23], v[24:25]
	v_cvt_f32_f16_e32 v24, v52
	v_cvt_f32_f16_sdwa v25, v52 dst_sel:DWORD dst_unused:UNUSED_PAD src0_sel:WORD_1
	v_cmp_lt_f32_e32 vcc, 0, v23
	v_cndmask_b32_e32 v21, v21, v23, vcc
	v_cmp_lt_f32_e32 vcc, 0, v22
	v_cndmask_b32_e32 v20, v20, v22, vcc
	v_pk_mul_f32 v[22:23], v[26:27], v[24:25]
	s_waitcnt vmcnt(9)
	v_cvt_f32_f16_e32 v24, v59
	v_cvt_f32_f16_sdwa v25, v59 dst_sel:DWORD dst_unused:UNUSED_PAD src0_sel:WORD_1
	v_cmp_lt_f32_e32 vcc, 0, v27
	v_cndmask_b32_e32 v23, v23, v27, vcc
	v_cmp_lt_f32_e32 vcc, 0, v26
	v_cndmask_b32_e32 v22, v22, v26, vcc
	s_waitcnt vmcnt(8)
	v_pk_mul_f32 v[24:25], v[30:31], v[24:25]
	v_cvt_f32_f16_e32 v26, v53
	v_cvt_f32_f16_sdwa v27, v53 dst_sel:DWORD dst_unused:UNUSED_PAD src0_sel:WORD_1
	v_cmp_lt_f32_e32 vcc, 0, v31
	v_cndmask_b32_e32 v25, v25, v31, vcc
	v_cmp_lt_f32_e32 vcc, 0, v30
	v_cndmask_b32_e32 v24, v24, v30, vcc
	s_waitcnt vmcnt(6)
	v_cvt_f32_f16_e32 v30, v60
	v_cvt_f32_f16_sdwa v31, v60 dst_sel:DWORD dst_unused:UNUSED_PAD src0_sel:WORD_1
	v_pk_mul_f32 v[26:27], v[32:33], v[26:27]
	v_cmp_lt_f32_e32 vcc, 0, v33
	v_cndmask_b32_e32 v27, v27, v33, vcc
	v_cmp_lt_f32_e32 vcc, 0, v32
	v_cndmask_b32_e32 v26, v26, v32, vcc
	s_waitcnt vmcnt(5)
	v_pk_mul_f32 v[30:31], v[34:35], v[30:31]
	s_waitcnt vmcnt(3)
	v_cvt_f32_f16_e32 v32, v61
	v_cvt_f32_f16_sdwa v33, v61 dst_sel:DWORD dst_unused:UNUSED_PAD src0_sel:WORD_1
	v_cmp_lt_f32_e32 vcc, 0, v35
	v_cndmask_b32_e32 v31, v31, v35, vcc
	v_cmp_lt_f32_e32 vcc, 0, v34
	v_cndmask_b32_e32 v30, v30, v34, vcc
	s_waitcnt vmcnt(2)
	v_cvt_f32_f16_e32 v34, v41
	v_cvt_f32_f16_sdwa v35, v41 dst_sel:DWORD dst_unused:UNUSED_PAD src0_sel:WORD_1
	v_pk_mul_f32 v[32:33], v[36:37], v[32:33]
	v_cmp_lt_f32_e32 vcc, 0, v37
	v_cndmask_b32_e32 v33, v33, v37, vcc
	v_cmp_lt_f32_e32 vcc, 0, v36
	v_cndmask_b32_e32 v32, v32, v36, vcc
	s_waitcnt vmcnt(1)
	v_pk_mul_f32 v[34:35], v[28:29], v[34:35]
	v_cmp_lt_f32_e32 vcc, 0, v29
	v_cndmask_b32_e32 v29, v35, v29, vcc
	v_cmp_lt_f32_e32 vcc, 0, v28
	v_cndmask_b32_e32 v28, v34, v28, vcc
	v_add_co_u32_e32 v6, vcc, s20, v54
	v_addc_co_u32_e32 v7, vcc, 0, v55, vcc
	global_store_dwordx2 v[6:7], v[8:9], off
	global_store_dwordx2 v40, v[10:11], s[8:9]
	v_add_co_u32_e32 v6, vcc, s21, v54
	v_addc_co_u32_e32 v7, vcc, 0, v55, vcc
	global_store_dwordx2 v[6:7], v[2:3], off
	global_store_dwordx2 v43, v[4:5], s[8:9]
	;; [unrolled: 4-line block ×7, first 2 shown]
	v_add_co_u32_e32 v2, vcc, 0xf000, v54
	v_addc_co_u32_e32 v3, vcc, 0, v55, vcc
	global_store_dwordx2 v[2:3], v[28:29], off
	s_cbranch_execnz .LBB26_2
.LBB26_4:
	s_load_dword s10, s[4:5], 0x24
	s_load_dwordx4 s[20:23], s[4:5], 0x28
	s_add_u32 s8, s4, 56
	s_addc_u32 s9, s5, 0
	v_mov_b32_e32 v31, v0
	s_waitcnt lgkmcnt(0)
	v_lshrrev_b16_e64 v8, 8, s10
	v_mov_b32_e32 v0, s16
	v_mov_b32_e32 v1, s17
	;; [unrolled: 1-line block ×12, first 2 shown]
	s_getpc_b64 s[4:5]
	s_add_u32 s4, s4, _ZN2at6native25elementwise_kernel_helperILb1EZZZNS0_12prelu_kernelERNS_14TensorIteratorEENKUlvE_clEvENKUlvE0_clEvEUlffE_NS0_6memory8policies11unroll_baseILi512ESt5arrayIPcLm3EE23TrivialOffsetCalculatorILi2EjESD_ILi1EjENS7_12LoadWithCastILi2EEENS7_13StoreWithCastILi1EEELi32ELi1EEEEEvT0_T1_@rel32@lo+4
	s_addc_u32 s5, s5, _ZN2at6native25elementwise_kernel_helperILb1EZZZNS0_12prelu_kernelERNS_14TensorIteratorEENKUlvE_clEvENKUlvE0_clEvEUlffE_NS0_6memory8policies11unroll_baseILi512ESt5arrayIPcLm3EE23TrivialOffsetCalculatorILi2EjESD_ILi1EjENS7_12LoadWithCastILi2EEENS7_13StoreWithCastILi1EEELi32ELi1EEEEEvT0_T1_@rel32@hi+12
	s_swappc_b64 s[30:31], s[4:5]
	s_endpgm
	.section	.rodata,"a",@progbits
	.p2align	6, 0x0
	.amdhsa_kernel _ZN2at6native39vectorized_templated_elementwise_kernelILi2EZZZNS0_12prelu_kernelERNS_14TensorIteratorEENKUlvE_clEvENKUlvE0_clEvEUlffE_St5arrayIPcLm3EE23TrivialOffsetCalculatorILi2EjESA_ILi1EjENS0_6memory12LoadWithCastILi2EEENSD_13StoreWithCastILi1EEEfJfN3c104HalfEEEEviT0_T1_T2_T3_T4_T5_
		.amdhsa_group_segment_fixed_size 0
		.amdhsa_private_segment_fixed_size 288
		.amdhsa_kernarg_size 312
		.amdhsa_user_sgpr_count 8
		.amdhsa_user_sgpr_private_segment_buffer 1
		.amdhsa_user_sgpr_dispatch_ptr 0
		.amdhsa_user_sgpr_queue_ptr 0
		.amdhsa_user_sgpr_kernarg_segment_ptr 1
		.amdhsa_user_sgpr_dispatch_id 0
		.amdhsa_user_sgpr_flat_scratch_init 1
		.amdhsa_user_sgpr_kernarg_preload_length 0
		.amdhsa_user_sgpr_kernarg_preload_offset 0
		.amdhsa_user_sgpr_private_segment_size 0
		.amdhsa_uses_dynamic_stack 0
		.amdhsa_system_sgpr_private_segment_wavefront_offset 1
		.amdhsa_system_sgpr_workgroup_id_x 1
		.amdhsa_system_sgpr_workgroup_id_y 0
		.amdhsa_system_sgpr_workgroup_id_z 0
		.amdhsa_system_sgpr_workgroup_info 0
		.amdhsa_system_vgpr_workitem_id 0
		.amdhsa_next_free_vgpr 118
		.amdhsa_next_free_sgpr 98
		.amdhsa_accum_offset 120
		.amdhsa_reserve_vcc 1
		.amdhsa_reserve_flat_scratch 1
		.amdhsa_float_round_mode_32 0
		.amdhsa_float_round_mode_16_64 0
		.amdhsa_float_denorm_mode_32 3
		.amdhsa_float_denorm_mode_16_64 3
		.amdhsa_dx10_clamp 1
		.amdhsa_ieee_mode 1
		.amdhsa_fp16_overflow 0
		.amdhsa_tg_split 0
		.amdhsa_exception_fp_ieee_invalid_op 0
		.amdhsa_exception_fp_denorm_src 0
		.amdhsa_exception_fp_ieee_div_zero 0
		.amdhsa_exception_fp_ieee_overflow 0
		.amdhsa_exception_fp_ieee_underflow 0
		.amdhsa_exception_fp_ieee_inexact 0
		.amdhsa_exception_int_div_zero 0
	.end_amdhsa_kernel
	.section	.text._ZN2at6native39vectorized_templated_elementwise_kernelILi2EZZZNS0_12prelu_kernelERNS_14TensorIteratorEENKUlvE_clEvENKUlvE0_clEvEUlffE_St5arrayIPcLm3EE23TrivialOffsetCalculatorILi2EjESA_ILi1EjENS0_6memory12LoadWithCastILi2EEENSD_13StoreWithCastILi1EEEfJfN3c104HalfEEEEviT0_T1_T2_T3_T4_T5_,"axG",@progbits,_ZN2at6native39vectorized_templated_elementwise_kernelILi2EZZZNS0_12prelu_kernelERNS_14TensorIteratorEENKUlvE_clEvENKUlvE0_clEvEUlffE_St5arrayIPcLm3EE23TrivialOffsetCalculatorILi2EjESA_ILi1EjENS0_6memory12LoadWithCastILi2EEENSD_13StoreWithCastILi1EEEfJfN3c104HalfEEEEviT0_T1_T2_T3_T4_T5_,comdat
.Lfunc_end26:
	.size	_ZN2at6native39vectorized_templated_elementwise_kernelILi2EZZZNS0_12prelu_kernelERNS_14TensorIteratorEENKUlvE_clEvENKUlvE0_clEvEUlffE_St5arrayIPcLm3EE23TrivialOffsetCalculatorILi2EjESA_ILi1EjENS0_6memory12LoadWithCastILi2EEENSD_13StoreWithCastILi1EEEfJfN3c104HalfEEEEviT0_T1_T2_T3_T4_T5_, .Lfunc_end26-_ZN2at6native39vectorized_templated_elementwise_kernelILi2EZZZNS0_12prelu_kernelERNS_14TensorIteratorEENKUlvE_clEvENKUlvE0_clEvEUlffE_St5arrayIPcLm3EE23TrivialOffsetCalculatorILi2EjESA_ILi1EjENS0_6memory12LoadWithCastILi2EEENSD_13StoreWithCastILi1EEEfJfN3c104HalfEEEEviT0_T1_T2_T3_T4_T5_
                                        ; -- End function
	.section	.AMDGPU.csdata,"",@progbits
; Kernel info:
; codeLenInByte = 1716
; NumSgprs: 104
; NumVgprs: 118
; NumAgprs: 0
; TotalNumVgprs: 118
; ScratchSize: 288
; MemoryBound: 0
; FloatMode: 240
; IeeeMode: 1
; LDSByteSize: 0 bytes/workgroup (compile time only)
; SGPRBlocks: 12
; VGPRBlocks: 14
; NumSGPRsForWavesPerEU: 104
; NumVGPRsForWavesPerEU: 118
; AccumOffset: 120
; Occupancy: 4
; WaveLimiterHint : 0
; COMPUTE_PGM_RSRC2:SCRATCH_EN: 1
; COMPUTE_PGM_RSRC2:USER_SGPR: 8
; COMPUTE_PGM_RSRC2:TRAP_HANDLER: 0
; COMPUTE_PGM_RSRC2:TGID_X_EN: 1
; COMPUTE_PGM_RSRC2:TGID_Y_EN: 0
; COMPUTE_PGM_RSRC2:TGID_Z_EN: 0
; COMPUTE_PGM_RSRC2:TIDIG_COMP_CNT: 0
; COMPUTE_PGM_RSRC3_GFX90A:ACCUM_OFFSET: 29
; COMPUTE_PGM_RSRC3_GFX90A:TG_SPLIT: 0
	.section	.text._ZN2at6native39vectorized_templated_elementwise_kernelILi8EZZZNS0_12prelu_kernelERNS_14TensorIteratorEENKUlvE_clEvENKUlvE0_clEvEUlffE_St5arrayIPcLm3EE23TrivialOffsetCalculatorILi2EjESA_ILi1EjENS0_6memory12LoadWithCastILi2EEENSD_13StoreWithCastILi1EEEfJN3c104HalfEfEEEviT0_T1_T2_T3_T4_T5_,"axG",@progbits,_ZN2at6native39vectorized_templated_elementwise_kernelILi8EZZZNS0_12prelu_kernelERNS_14TensorIteratorEENKUlvE_clEvENKUlvE0_clEvEUlffE_St5arrayIPcLm3EE23TrivialOffsetCalculatorILi2EjESA_ILi1EjENS0_6memory12LoadWithCastILi2EEENSD_13StoreWithCastILi1EEEfJN3c104HalfEfEEEviT0_T1_T2_T3_T4_T5_,comdat
	.globl	_ZN2at6native39vectorized_templated_elementwise_kernelILi8EZZZNS0_12prelu_kernelERNS_14TensorIteratorEENKUlvE_clEvENKUlvE0_clEvEUlffE_St5arrayIPcLm3EE23TrivialOffsetCalculatorILi2EjESA_ILi1EjENS0_6memory12LoadWithCastILi2EEENSD_13StoreWithCastILi1EEEfJN3c104HalfEfEEEviT0_T1_T2_T3_T4_T5_ ; -- Begin function _ZN2at6native39vectorized_templated_elementwise_kernelILi8EZZZNS0_12prelu_kernelERNS_14TensorIteratorEENKUlvE_clEvENKUlvE0_clEvEUlffE_St5arrayIPcLm3EE23TrivialOffsetCalculatorILi2EjESA_ILi1EjENS0_6memory12LoadWithCastILi2EEENSD_13StoreWithCastILi1EEEfJN3c104HalfEfEEEviT0_T1_T2_T3_T4_T5_
	.p2align	8
	.type	_ZN2at6native39vectorized_templated_elementwise_kernelILi8EZZZNS0_12prelu_kernelERNS_14TensorIteratorEENKUlvE_clEvENKUlvE0_clEvEUlffE_St5arrayIPcLm3EE23TrivialOffsetCalculatorILi2EjESA_ILi1EjENS0_6memory12LoadWithCastILi2EEENSD_13StoreWithCastILi1EEEfJN3c104HalfEfEEEviT0_T1_T2_T3_T4_T5_,@function
_ZN2at6native39vectorized_templated_elementwise_kernelILi8EZZZNS0_12prelu_kernelERNS_14TensorIteratorEENKUlvE_clEvENKUlvE0_clEvEUlffE_St5arrayIPcLm3EE23TrivialOffsetCalculatorILi2EjESA_ILi1EjENS0_6memory12LoadWithCastILi2EEENSD_13StoreWithCastILi1EEEfJN3c104HalfEfEEEviT0_T1_T2_T3_T4_T5_: ; @_ZN2at6native39vectorized_templated_elementwise_kernelILi8EZZZNS0_12prelu_kernelERNS_14TensorIteratorEENKUlvE_clEvENKUlvE0_clEvEUlffE_St5arrayIPcLm3EE23TrivialOffsetCalculatorILi2EjESA_ILi1EjENS0_6memory12LoadWithCastILi2EEENSD_13StoreWithCastILi1EEEfJN3c104HalfEfEEEviT0_T1_T2_T3_T4_T5_
; %bb.0:
	s_add_u32 flat_scratch_lo, s6, s9
	s_addc_u32 flat_scratch_hi, s7, 0
	s_add_u32 s0, s0, s9
	s_mov_b32 s12, s8
	s_load_dword s8, s[4:5], 0x38
	s_load_dwordx2 s[6:7], s[4:5], 0x18
	s_load_dword s9, s[4:5], 0x0
	s_load_dwordx4 s[16:19], s[4:5], 0x8
	s_addc_u32 s1, s1, 0
	s_not_b32 s10, s12
	s_waitcnt lgkmcnt(0)
	s_add_i32 s8, s8, s10
	s_lshl_b32 s8, s8, 14
	s_sub_i32 s13, s9, s8
	s_cmpk_gt_i32 s13, 0x3fff
	s_mov_b64 s[10:11], -1
	s_mov_b32 s32, 0
	s_cbranch_scc1 .LBB27_3
; %bb.1:
	s_andn2_b64 vcc, exec, s[10:11]
	s_cbranch_vccz .LBB27_4
.LBB27_2:
	s_endpgm
.LBB27_3:
	s_ashr_i32 s9, s8, 31
	s_lshl_b64 s[10:11], s[8:9], 1
	s_add_u32 s10, s18, s10
	s_addc_u32 s11, s19, s11
	v_lshlrev_b32_e32 v1, 4, v0
	global_load_dwordx4 v[2:5], v1, s[10:11]
	s_lshl_b64 s[8:9], s[8:9], 2
	s_add_u32 s14, s6, s8
	v_lshlrev_b32_e32 v52, 5, v0
	s_addc_u32 s15, s7, s9
	global_load_dwordx4 v[6:9], v52, s[14:15]
	global_load_dwordx4 v[10:13], v52, s[14:15] offset:16
	v_mov_b32_e32 v14, s11
	v_add_co_u32_e32 v1, vcc, s10, v1
	s_movk_i32 s21, 0x2000
	v_addc_co_u32_e32 v39, vcc, 0, v14, vcc
	v_add_co_u32_e32 v14, vcc, s21, v1
	v_addc_co_u32_e32 v15, vcc, 0, v39, vcc
	global_load_dwordx4 v[14:17], v[14:15], off
	v_mov_b32_e32 v18, s15
	v_add_co_u32_e32 v42, vcc, s14, v52
	s_movk_i32 s20, 0x4000
	v_addc_co_u32_e32 v43, vcc, 0, v18, vcc
	v_add_co_u32_e32 v26, vcc, s20, v42
	v_addc_co_u32_e32 v27, vcc, 0, v43, vcc
	global_load_dwordx4 v[18:21], v[26:27], off
	global_load_dwordx4 v[22:25], v[26:27], off offset:16
	v_or_b32_e32 v30, 0x400, v0
	v_lshlrev_b32_e32 v26, 4, v30
	global_load_dwordx4 v[26:29], v26, s[10:11]
	v_lshlrev_b32_e32 v53, 5, v30
	global_load_dwordx4 v[30:33], v53, s[14:15] offset:16
	global_load_dwordx4 v[34:37], v53, s[14:15]
	s_movk_i32 s11, 0x6000
	v_add_co_u32_e32 v38, vcc, s11, v1
	s_mov_b32 s10, 0xc000
	v_addc_co_u32_e32 v39, vcc, 0, v39, vcc
	v_add_co_u32_e32 v46, vcc, s10, v42
	v_addc_co_u32_e32 v47, vcc, 0, v43, vcc
	global_load_dwordx4 v[38:41], v[38:39], off
	v_mov_b32_e32 v54, 0
	s_add_u32 s8, s16, s8
	s_addc_u32 s9, s17, s9
	v_mov_b32_e32 v1, s9
	s_waitcnt vmcnt(9)
	v_cvt_f32_f16_e32 v42, v2
	v_cvt_f32_f16_sdwa v43, v2 dst_sel:DWORD dst_unused:UNUSED_PAD src0_sel:WORD_1
	v_cvt_f32_f16_e32 v48, v3
	v_cvt_f32_f16_sdwa v49, v3 dst_sel:DWORD dst_unused:UNUSED_PAD src0_sel:WORD_1
	v_cmp_gt_f16_sdwa vcc, v2, v54 src0_sel:WORD_1 src1_sel:DWORD
	s_waitcnt vmcnt(8)
	v_pk_mul_f32 v[6:7], v[6:7], v[42:43]
	v_cndmask_b32_e32 v7, v7, v43, vcc
	v_cmp_lt_f16_e32 vcc, 0, v2
	v_cndmask_b32_e32 v6, v6, v42, vcc
	global_load_dwordx4 v[42:45], v[46:47], off
	v_pk_mul_f32 v[8:9], v[8:9], v[48:49]
	v_cmp_gt_f16_sdwa vcc, v3, v54 src0_sel:WORD_1 src1_sel:DWORD
	v_cndmask_b32_e32 v9, v9, v49, vcc
	v_cmp_lt_f16_e32 vcc, 0, v3
	v_cndmask_b32_e32 v8, v8, v48, vcc
	global_load_dwordx4 v[46:49], v[46:47], off offset:16
	v_cvt_f32_f16_e32 v50, v4
	v_cvt_f32_f16_sdwa v51, v4 dst_sel:DWORD dst_unused:UNUSED_PAD src0_sel:WORD_1
	v_cmp_gt_f16_sdwa vcc, v4, v54 src0_sel:WORD_1 src1_sel:DWORD
	v_cvt_f32_f16_e32 v2, v5
	v_cvt_f32_f16_sdwa v3, v5 dst_sel:DWORD dst_unused:UNUSED_PAD src0_sel:WORD_1
	s_waitcnt vmcnt(9)
	v_pk_mul_f32 v[10:11], v[10:11], v[50:51]
	v_cndmask_b32_e32 v11, v11, v51, vcc
	v_cmp_lt_f16_e32 vcc, 0, v4
	v_cndmask_b32_e32 v10, v10, v50, vcc
	v_add_co_u32_e32 v55, vcc, s8, v52
	v_addc_co_u32_e32 v1, vcc, 0, v1, vcc
	v_pk_mul_f32 v[12:13], v[12:13], v[2:3]
	v_cmp_gt_f16_sdwa vcc, v5, v54 src0_sel:WORD_1 src1_sel:DWORD
	s_waitcnt vmcnt(8)
	v_cvt_f32_f16_e32 v50, v14
	v_cvt_f32_f16_sdwa v51, v14 dst_sel:DWORD dst_unused:UNUSED_PAD src0_sel:WORD_1
	v_cndmask_b32_e32 v13, v13, v3, vcc
	v_cmp_lt_f16_e32 vcc, 0, v5
	v_cvt_f32_f16_e32 v4, v15
	v_cvt_f32_f16_sdwa v5, v15 dst_sel:DWORD dst_unused:UNUSED_PAD src0_sel:WORD_1
	v_cndmask_b32_e32 v12, v12, v2, vcc
	s_waitcnt vmcnt(7)
	v_pk_mul_f32 v[2:3], v[18:19], v[50:51]
	v_cmp_gt_f16_sdwa vcc, v14, v54 src0_sel:WORD_1 src1_sel:DWORD
	v_pk_mul_f32 v[18:19], v[20:21], v[4:5]
	v_cvt_f32_f16_e32 v20, v16
	v_cvt_f32_f16_sdwa v21, v16 dst_sel:DWORD dst_unused:UNUSED_PAD src0_sel:WORD_1
	v_cndmask_b32_e32 v3, v3, v51, vcc
	v_cmp_lt_f16_e32 vcc, 0, v14
	v_cndmask_b32_e32 v2, v2, v50, vcc
	v_cmp_gt_f16_sdwa vcc, v15, v54 src0_sel:WORD_1 src1_sel:DWORD
	v_cndmask_b32_e32 v5, v19, v5, vcc
	v_cmp_lt_f16_e32 vcc, 0, v15
	s_waitcnt vmcnt(6)
	v_pk_mul_f32 v[14:15], v[22:23], v[20:21]
	v_cvt_f32_f16_e32 v22, v17
	v_cvt_f32_f16_sdwa v23, v17 dst_sel:DWORD dst_unused:UNUSED_PAD src0_sel:WORD_1
	v_cndmask_b32_e32 v4, v18, v4, vcc
	v_cmp_gt_f16_sdwa vcc, v16, v54 src0_sel:WORD_1 src1_sel:DWORD
	v_cndmask_b32_e32 v19, v15, v21, vcc
	v_cmp_lt_f16_e32 vcc, 0, v16
	v_cndmask_b32_e32 v18, v14, v20, vcc
	v_pk_mul_f32 v[14:15], v[24:25], v[22:23]
	s_waitcnt vmcnt(5)
	v_cvt_f32_f16_e32 v24, v26
	v_cvt_f32_f16_sdwa v25, v26 dst_sel:DWORD dst_unused:UNUSED_PAD src0_sel:WORD_1
	v_cmp_gt_f16_sdwa vcc, v17, v54 src0_sel:WORD_1 src1_sel:DWORD
	v_cndmask_b32_e32 v21, v15, v23, vcc
	v_cmp_lt_f16_e32 vcc, 0, v17
	v_cvt_f32_f16_e32 v16, v27
	v_cvt_f32_f16_sdwa v17, v27 dst_sel:DWORD dst_unused:UNUSED_PAD src0_sel:WORD_1
	v_cndmask_b32_e32 v20, v14, v22, vcc
	s_waitcnt vmcnt(3)
	v_pk_mul_f32 v[14:15], v[34:35], v[24:25]
	v_cmp_gt_f16_sdwa vcc, v26, v54 src0_sel:WORD_1 src1_sel:DWORD
	v_cndmask_b32_e32 v15, v15, v25, vcc
	v_cmp_lt_f16_e32 vcc, 0, v26
	v_cndmask_b32_e32 v14, v14, v24, vcc
	v_cvt_f32_f16_e32 v24, v28
	v_cvt_f32_f16_sdwa v25, v28 dst_sel:DWORD dst_unused:UNUSED_PAD src0_sel:WORD_1
	v_pk_mul_f32 v[22:23], v[36:37], v[16:17]
	v_cmp_gt_f16_sdwa vcc, v27, v54 src0_sel:WORD_1 src1_sel:DWORD
	v_cndmask_b32_e32 v17, v23, v17, vcc
	v_cmp_lt_f16_e32 vcc, 0, v27
	v_cvt_f32_f16_e32 v26, v29
	v_cvt_f32_f16_sdwa v27, v29 dst_sel:DWORD dst_unused:UNUSED_PAD src0_sel:WORD_1
	v_cndmask_b32_e32 v16, v22, v16, vcc
	v_pk_mul_f32 v[22:23], v[30:31], v[24:25]
	v_cmp_gt_f16_sdwa vcc, v28, v54 src0_sel:WORD_1 src1_sel:DWORD
	v_cndmask_b32_e32 v23, v23, v25, vcc
	v_cmp_lt_f16_e32 vcc, 0, v28
	s_waitcnt vmcnt(2)
	v_cvt_f32_f16_e32 v30, v38
	v_cvt_f32_f16_sdwa v31, v38 dst_sel:DWORD dst_unused:UNUSED_PAD src0_sel:WORD_1
	v_cndmask_b32_e32 v22, v22, v24, vcc
	v_pk_mul_f32 v[24:25], v[32:33], v[26:27]
	v_cmp_gt_f16_sdwa vcc, v29, v54 src0_sel:WORD_1 src1_sel:DWORD
	v_cndmask_b32_e32 v25, v25, v27, vcc
	v_cmp_lt_f16_e32 vcc, 0, v29
	v_cvt_f32_f16_e32 v28, v39
	v_cvt_f32_f16_sdwa v29, v39 dst_sel:DWORD dst_unused:UNUSED_PAD src0_sel:WORD_1
	v_cndmask_b32_e32 v24, v24, v26, vcc
	s_waitcnt vmcnt(1)
	v_pk_mul_f32 v[26:27], v[42:43], v[30:31]
	v_cmp_gt_f16_sdwa vcc, v38, v54 src0_sel:WORD_1 src1_sel:DWORD
	v_cvt_f32_f16_e32 v32, v40
	v_cvt_f32_f16_sdwa v33, v40 dst_sel:DWORD dst_unused:UNUSED_PAD src0_sel:WORD_1
	v_cndmask_b32_e32 v27, v27, v31, vcc
	v_cmp_lt_f16_e32 vcc, 0, v38
	v_cndmask_b32_e32 v26, v26, v30, vcc
	v_pk_mul_f32 v[30:31], v[44:45], v[28:29]
	v_cmp_gt_f16_sdwa vcc, v39, v54 src0_sel:WORD_1 src1_sel:DWORD
	v_cvt_f32_f16_e32 v34, v41
	v_cvt_f32_f16_sdwa v35, v41 dst_sel:DWORD dst_unused:UNUSED_PAD src0_sel:WORD_1
	v_cndmask_b32_e32 v29, v31, v29, vcc
	v_cmp_lt_f16_e32 vcc, 0, v39
	v_cndmask_b32_e32 v28, v30, v28, vcc
	s_waitcnt vmcnt(0)
	v_pk_mul_f32 v[30:31], v[46:47], v[32:33]
	v_cmp_gt_f16_sdwa vcc, v40, v54 src0_sel:WORD_1 src1_sel:DWORD
	v_cndmask_b32_e32 v31, v31, v33, vcc
	v_cmp_lt_f16_e32 vcc, 0, v40
	v_cndmask_b32_e32 v30, v30, v32, vcc
	v_pk_mul_f32 v[32:33], v[48:49], v[34:35]
	v_cmp_gt_f16_sdwa vcc, v41, v54 src0_sel:WORD_1 src1_sel:DWORD
	v_cndmask_b32_e32 v33, v33, v35, vcc
	v_cmp_lt_f16_e32 vcc, 0, v41
	v_cndmask_b32_e32 v32, v32, v34, vcc
	global_store_dwordx4 v52, v[6:9], s[8:9]
	global_store_dwordx4 v52, v[10:13], s[8:9] offset:16
	v_add_co_u32_e32 v6, vcc, s20, v55
	v_addc_co_u32_e32 v7, vcc, 0, v1, vcc
	global_store_dwordx4 v[6:7], v[2:5], off
	global_store_dwordx4 v[6:7], v[18:21], off offset:16
	global_store_dwordx4 v53, v[14:17], s[8:9]
	global_store_dwordx4 v53, v[22:25], s[8:9] offset:16
	v_add_co_u32_e32 v2, vcc, 0xc000, v55
	v_addc_co_u32_e32 v3, vcc, 0, v1, vcc
	global_store_dwordx4 v[2:3], v[26:29], off
	global_store_dwordx4 v[2:3], v[30:33], off offset:16
	s_cbranch_execnz .LBB27_2
.LBB27_4:
	s_load_dword s10, s[4:5], 0x24
	s_load_dwordx4 s[20:23], s[4:5], 0x28
	s_add_u32 s8, s4, 56
	s_addc_u32 s9, s5, 0
	v_mov_b32_e32 v31, v0
	s_waitcnt lgkmcnt(0)
	v_lshrrev_b16_e64 v8, 8, s10
	v_mov_b32_e32 v0, s16
	v_mov_b32_e32 v1, s17
	;; [unrolled: 1-line block ×12, first 2 shown]
	s_getpc_b64 s[4:5]
	s_add_u32 s4, s4, _ZN2at6native25elementwise_kernel_helperILb1EZZZNS0_12prelu_kernelERNS_14TensorIteratorEENKUlvE_clEvENKUlvE0_clEvEUlffE_NS0_6memory8policies11unroll_baseILi512ESt5arrayIPcLm3EE23TrivialOffsetCalculatorILi2EjESD_ILi1EjENS7_12LoadWithCastILi2EEENS7_13StoreWithCastILi1EEELi32ELi1EEEEEvT0_T1_@rel32@lo+4
	s_addc_u32 s5, s5, _ZN2at6native25elementwise_kernel_helperILb1EZZZNS0_12prelu_kernelERNS_14TensorIteratorEENKUlvE_clEvENKUlvE0_clEvEUlffE_NS0_6memory8policies11unroll_baseILi512ESt5arrayIPcLm3EE23TrivialOffsetCalculatorILi2EjESD_ILi1EjENS7_12LoadWithCastILi2EEENS7_13StoreWithCastILi1EEELi32ELi1EEEEEvT0_T1_@rel32@hi+12
	s_swappc_b64 s[30:31], s[4:5]
	s_endpgm
	.section	.rodata,"a",@progbits
	.p2align	6, 0x0
	.amdhsa_kernel _ZN2at6native39vectorized_templated_elementwise_kernelILi8EZZZNS0_12prelu_kernelERNS_14TensorIteratorEENKUlvE_clEvENKUlvE0_clEvEUlffE_St5arrayIPcLm3EE23TrivialOffsetCalculatorILi2EjESA_ILi1EjENS0_6memory12LoadWithCastILi2EEENSD_13StoreWithCastILi1EEEfJN3c104HalfEfEEEviT0_T1_T2_T3_T4_T5_
		.amdhsa_group_segment_fixed_size 0
		.amdhsa_private_segment_fixed_size 288
		.amdhsa_kernarg_size 312
		.amdhsa_user_sgpr_count 8
		.amdhsa_user_sgpr_private_segment_buffer 1
		.amdhsa_user_sgpr_dispatch_ptr 0
		.amdhsa_user_sgpr_queue_ptr 0
		.amdhsa_user_sgpr_kernarg_segment_ptr 1
		.amdhsa_user_sgpr_dispatch_id 0
		.amdhsa_user_sgpr_flat_scratch_init 1
		.amdhsa_user_sgpr_kernarg_preload_length 0
		.amdhsa_user_sgpr_kernarg_preload_offset 0
		.amdhsa_user_sgpr_private_segment_size 0
		.amdhsa_uses_dynamic_stack 0
		.amdhsa_system_sgpr_private_segment_wavefront_offset 1
		.amdhsa_system_sgpr_workgroup_id_x 1
		.amdhsa_system_sgpr_workgroup_id_y 0
		.amdhsa_system_sgpr_workgroup_id_z 0
		.amdhsa_system_sgpr_workgroup_info 0
		.amdhsa_system_vgpr_workitem_id 0
		.amdhsa_next_free_vgpr 118
		.amdhsa_next_free_sgpr 98
		.amdhsa_accum_offset 120
		.amdhsa_reserve_vcc 1
		.amdhsa_reserve_flat_scratch 1
		.amdhsa_float_round_mode_32 0
		.amdhsa_float_round_mode_16_64 0
		.amdhsa_float_denorm_mode_32 3
		.amdhsa_float_denorm_mode_16_64 3
		.amdhsa_dx10_clamp 1
		.amdhsa_ieee_mode 1
		.amdhsa_fp16_overflow 0
		.amdhsa_tg_split 0
		.amdhsa_exception_fp_ieee_invalid_op 0
		.amdhsa_exception_fp_denorm_src 0
		.amdhsa_exception_fp_ieee_div_zero 0
		.amdhsa_exception_fp_ieee_overflow 0
		.amdhsa_exception_fp_ieee_underflow 0
		.amdhsa_exception_fp_ieee_inexact 0
		.amdhsa_exception_int_div_zero 0
	.end_amdhsa_kernel
	.section	.text._ZN2at6native39vectorized_templated_elementwise_kernelILi8EZZZNS0_12prelu_kernelERNS_14TensorIteratorEENKUlvE_clEvENKUlvE0_clEvEUlffE_St5arrayIPcLm3EE23TrivialOffsetCalculatorILi2EjESA_ILi1EjENS0_6memory12LoadWithCastILi2EEENSD_13StoreWithCastILi1EEEfJN3c104HalfEfEEEviT0_T1_T2_T3_T4_T5_,"axG",@progbits,_ZN2at6native39vectorized_templated_elementwise_kernelILi8EZZZNS0_12prelu_kernelERNS_14TensorIteratorEENKUlvE_clEvENKUlvE0_clEvEUlffE_St5arrayIPcLm3EE23TrivialOffsetCalculatorILi2EjESA_ILi1EjENS0_6memory12LoadWithCastILi2EEENSD_13StoreWithCastILi1EEEfJN3c104HalfEfEEEviT0_T1_T2_T3_T4_T5_,comdat
.Lfunc_end27:
	.size	_ZN2at6native39vectorized_templated_elementwise_kernelILi8EZZZNS0_12prelu_kernelERNS_14TensorIteratorEENKUlvE_clEvENKUlvE0_clEvEUlffE_St5arrayIPcLm3EE23TrivialOffsetCalculatorILi2EjESA_ILi1EjENS0_6memory12LoadWithCastILi2EEENSD_13StoreWithCastILi1EEEfJN3c104HalfEfEEEviT0_T1_T2_T3_T4_T5_, .Lfunc_end27-_ZN2at6native39vectorized_templated_elementwise_kernelILi8EZZZNS0_12prelu_kernelERNS_14TensorIteratorEENKUlvE_clEvENKUlvE0_clEvEUlffE_St5arrayIPcLm3EE23TrivialOffsetCalculatorILi2EjESA_ILi1EjENS0_6memory12LoadWithCastILi2EEENSD_13StoreWithCastILi1EEEfJN3c104HalfEfEEEviT0_T1_T2_T3_T4_T5_
                                        ; -- End function
	.section	.AMDGPU.csdata,"",@progbits
; Kernel info:
; codeLenInByte = 1236
; NumSgprs: 104
; NumVgprs: 118
; NumAgprs: 0
; TotalNumVgprs: 118
; ScratchSize: 288
; MemoryBound: 0
; FloatMode: 240
; IeeeMode: 1
; LDSByteSize: 0 bytes/workgroup (compile time only)
; SGPRBlocks: 12
; VGPRBlocks: 14
; NumSGPRsForWavesPerEU: 104
; NumVGPRsForWavesPerEU: 118
; AccumOffset: 120
; Occupancy: 4
; WaveLimiterHint : 0
; COMPUTE_PGM_RSRC2:SCRATCH_EN: 1
; COMPUTE_PGM_RSRC2:USER_SGPR: 8
; COMPUTE_PGM_RSRC2:TRAP_HANDLER: 0
; COMPUTE_PGM_RSRC2:TGID_X_EN: 1
; COMPUTE_PGM_RSRC2:TGID_Y_EN: 0
; COMPUTE_PGM_RSRC2:TGID_Z_EN: 0
; COMPUTE_PGM_RSRC2:TIDIG_COMP_CNT: 0
; COMPUTE_PGM_RSRC3_GFX90A:ACCUM_OFFSET: 29
; COMPUTE_PGM_RSRC3_GFX90A:TG_SPLIT: 0
	.section	.text._ZN2at6native39vectorized_templated_elementwise_kernelILi4EZZZNS0_12prelu_kernelERNS_14TensorIteratorEENKUlvE_clEvENKUlvE0_clEvEUlffE_St5arrayIPcLm3EE23TrivialOffsetCalculatorILi2EjESA_ILi1EjENS0_6memory12LoadWithCastILi2EEENSD_13StoreWithCastILi1EEEfJN3c104HalfEfEEEviT0_T1_T2_T3_T4_T5_,"axG",@progbits,_ZN2at6native39vectorized_templated_elementwise_kernelILi4EZZZNS0_12prelu_kernelERNS_14TensorIteratorEENKUlvE_clEvENKUlvE0_clEvEUlffE_St5arrayIPcLm3EE23TrivialOffsetCalculatorILi2EjESA_ILi1EjENS0_6memory12LoadWithCastILi2EEENSD_13StoreWithCastILi1EEEfJN3c104HalfEfEEEviT0_T1_T2_T3_T4_T5_,comdat
	.globl	_ZN2at6native39vectorized_templated_elementwise_kernelILi4EZZZNS0_12prelu_kernelERNS_14TensorIteratorEENKUlvE_clEvENKUlvE0_clEvEUlffE_St5arrayIPcLm3EE23TrivialOffsetCalculatorILi2EjESA_ILi1EjENS0_6memory12LoadWithCastILi2EEENSD_13StoreWithCastILi1EEEfJN3c104HalfEfEEEviT0_T1_T2_T3_T4_T5_ ; -- Begin function _ZN2at6native39vectorized_templated_elementwise_kernelILi4EZZZNS0_12prelu_kernelERNS_14TensorIteratorEENKUlvE_clEvENKUlvE0_clEvEUlffE_St5arrayIPcLm3EE23TrivialOffsetCalculatorILi2EjESA_ILi1EjENS0_6memory12LoadWithCastILi2EEENSD_13StoreWithCastILi1EEEfJN3c104HalfEfEEEviT0_T1_T2_T3_T4_T5_
	.p2align	8
	.type	_ZN2at6native39vectorized_templated_elementwise_kernelILi4EZZZNS0_12prelu_kernelERNS_14TensorIteratorEENKUlvE_clEvENKUlvE0_clEvEUlffE_St5arrayIPcLm3EE23TrivialOffsetCalculatorILi2EjESA_ILi1EjENS0_6memory12LoadWithCastILi2EEENSD_13StoreWithCastILi1EEEfJN3c104HalfEfEEEviT0_T1_T2_T3_T4_T5_,@function
_ZN2at6native39vectorized_templated_elementwise_kernelILi4EZZZNS0_12prelu_kernelERNS_14TensorIteratorEENKUlvE_clEvENKUlvE0_clEvEUlffE_St5arrayIPcLm3EE23TrivialOffsetCalculatorILi2EjESA_ILi1EjENS0_6memory12LoadWithCastILi2EEENSD_13StoreWithCastILi1EEEfJN3c104HalfEfEEEviT0_T1_T2_T3_T4_T5_: ; @_ZN2at6native39vectorized_templated_elementwise_kernelILi4EZZZNS0_12prelu_kernelERNS_14TensorIteratorEENKUlvE_clEvENKUlvE0_clEvEUlffE_St5arrayIPcLm3EE23TrivialOffsetCalculatorILi2EjESA_ILi1EjENS0_6memory12LoadWithCastILi2EEENSD_13StoreWithCastILi1EEEfJN3c104HalfEfEEEviT0_T1_T2_T3_T4_T5_
; %bb.0:
	s_add_u32 flat_scratch_lo, s6, s9
	s_addc_u32 flat_scratch_hi, s7, 0
	s_add_u32 s0, s0, s9
	s_mov_b32 s12, s8
	s_load_dword s8, s[4:5], 0x38
	s_load_dwordx2 s[6:7], s[4:5], 0x18
	s_load_dword s9, s[4:5], 0x0
	s_load_dwordx4 s[16:19], s[4:5], 0x8
	s_addc_u32 s1, s1, 0
	s_not_b32 s10, s12
	s_waitcnt lgkmcnt(0)
	s_add_i32 s8, s8, s10
	s_lshl_b32 s8, s8, 14
	s_sub_i32 s13, s9, s8
	s_cmpk_gt_i32 s13, 0x3fff
	s_mov_b64 s[10:11], -1
	s_mov_b32 s32, 0
	s_cbranch_scc1 .LBB28_3
; %bb.1:
	s_andn2_b64 vcc, exec, s[10:11]
	s_cbranch_vccz .LBB28_4
.LBB28_2:
	s_endpgm
.LBB28_3:
	s_ashr_i32 s9, s8, 31
	s_lshl_b64 s[10:11], s[8:9], 1
	s_add_u32 s10, s18, s10
	s_addc_u32 s11, s19, s11
	v_lshlrev_b32_e32 v1, 3, v0
	v_mov_b32_e32 v2, s11
	v_add_co_u32_e32 v49, vcc, s10, v1
	global_load_dwordx2 v[26:27], v1, s[10:11]
	v_addc_co_u32_e32 v50, vcc, 0, v2, vcc
	s_lshl_b64 s[14:15], s[8:9], 2
	s_movk_i32 s20, 0x1000
	s_add_u32 s8, s6, s14
	v_add_co_u32_e32 v2, vcc, s20, v49
	v_or_b32_e32 v10, 0x400, v0
	s_addc_u32 s9, s7, s15
	v_lshlrev_b32_e32 v52, 4, v0
	v_addc_co_u32_e32 v3, vcc, 0, v50, vcc
	v_lshlrev_b32_e32 v11, 3, v10
	global_load_dwordx2 v[36:37], v11, s[10:11]
	global_load_dwordx2 v[34:35], v[2:3], off
	v_mov_b32_e32 v1, s9
	global_load_dwordx4 v[2:5], v52, s[8:9]
	v_add_co_u32_e32 v53, vcc, s8, v52
	v_addc_co_u32_e32 v1, vcc, 0, v1, vcc
	s_movk_i32 s20, 0x2000
	v_add_co_u32_e32 v6, vcc, s20, v53
	v_addc_co_u32_e32 v7, vcc, 0, v1, vcc
	global_load_dwordx4 v[6:9], v[6:7], off
	v_lshlrev_b32_e32 v54, 4, v10
	global_load_dwordx4 v[10:13], v54, s[8:9]
	s_movk_i32 s22, 0x3000
	v_add_co_u32_e32 v14, vcc, s22, v49
	v_addc_co_u32_e32 v15, vcc, 0, v50, vcc
	global_load_dwordx2 v[38:39], v[14:15], off
	s_movk_i32 s21, 0x6000
	v_add_co_u32_e32 v14, vcc, s21, v53
	v_addc_co_u32_e32 v15, vcc, 0, v1, vcc
	global_load_dwordx4 v[14:17], v[14:15], off
	v_or_b32_e32 v18, 0x800, v0
	v_or_b32_e32 v19, 0xc00, v0
	v_lshlrev_b32_e32 v20, 3, v18
	v_lshlrev_b32_e32 v21, 3, v19
	global_load_dwordx2 v[40:41], v20, s[10:11]
	global_load_dwordx2 v[42:43], v21, s[10:11]
	s_movk_i32 s23, 0x5000
	v_lshlrev_b32_e32 v56, 4, v18
	v_lshlrev_b32_e32 v57, 4, v19
	global_load_dwordx4 v[18:21], v56, s[8:9]
	v_add_co_u32_e32 v22, vcc, s23, v49
	v_addc_co_u32_e32 v23, vcc, 0, v50, vcc
	global_load_dwordx2 v[44:45], v[22:23], off
	s_mov_b32 s24, 0xa000
	v_add_co_u32_e32 v22, vcc, s24, v53
	v_mov_b32_e32 v55, 0
	v_addc_co_u32_e32 v23, vcc, 0, v1, vcc
	global_load_dwordx4 v[22:25], v[22:23], off
	s_add_u32 s10, s16, s14
	s_addc_u32 s11, s17, s15
	v_mov_b32_e32 v58, s11
	s_waitcnt vmcnt(12)
	v_cvt_f32_f16_e32 v28, v26
	v_cvt_f32_f16_sdwa v29, v26 dst_sel:DWORD dst_unused:UNUSED_PAD src0_sel:WORD_1
	v_cvt_f32_f16_e32 v30, v27
	v_cvt_f32_f16_sdwa v31, v27 dst_sel:DWORD dst_unused:UNUSED_PAD src0_sel:WORD_1
	v_cmp_gt_f16_sdwa vcc, v26, v55 src0_sel:WORD_1 src1_sel:DWORD
	s_waitcnt vmcnt(11)
	v_cvt_f32_f16_e32 v48, v36
	s_waitcnt vmcnt(10)
	v_cvt_f32_f16_e32 v32, v34
	v_cvt_f32_f16_sdwa v33, v34 dst_sel:DWORD dst_unused:UNUSED_PAD src0_sel:WORD_1
	s_waitcnt vmcnt(9)
	v_pk_mul_f32 v[2:3], v[2:3], v[28:29]
	v_cndmask_b32_e32 v3, v3, v29, vcc
	v_cmp_lt_f16_e32 vcc, 0, v26
	v_pk_mul_f32 v[4:5], v[4:5], v[30:31]
	v_cndmask_b32_e32 v2, v2, v28, vcc
	v_cmp_gt_f16_sdwa vcc, v27, v55 src0_sel:WORD_1 src1_sel:DWORD
	v_cndmask_b32_e32 v5, v5, v31, vcc
	v_cmp_lt_f16_e32 vcc, 0, v27
	global_load_dwordx4 v[26:29], v57, s[8:9]
	v_cndmask_b32_e32 v4, v4, v30, vcc
	s_waitcnt vmcnt(9)
	v_pk_mul_f32 v[6:7], v[6:7], v[32:33]
	v_cmp_gt_f16_sdwa vcc, v34, v55 src0_sel:WORD_1 src1_sel:DWORD
	v_cndmask_b32_e32 v7, v7, v33, vcc
	v_cmp_lt_f16_e32 vcc, 0, v34
	s_movk_i32 s8, 0x7000
	v_cndmask_b32_e32 v6, v6, v32, vcc
	v_add_co_u32_e32 v30, vcc, s8, v49
	v_addc_co_u32_e32 v31, vcc, 0, v50, vcc
	global_load_dwordx2 v[50:51], v[30:31], off
	s_mov_b32 s8, 0xe000
	v_add_co_u32_e32 v30, vcc, s8, v53
	v_addc_co_u32_e32 v31, vcc, 0, v1, vcc
	global_load_dwordx4 v[30:33], v[30:31], off
	v_cvt_f32_f16_e32 v46, v35
	v_cvt_f32_f16_sdwa v47, v35 dst_sel:DWORD dst_unused:UNUSED_PAD src0_sel:WORD_1
	v_cvt_f32_f16_sdwa v49, v36 dst_sel:DWORD dst_unused:UNUSED_PAD src0_sel:WORD_1
	v_cmp_gt_f16_sdwa vcc, v35, v55 src0_sel:WORD_1 src1_sel:DWORD
	v_cvt_f32_f16_e32 v34, v37
	v_pk_mul_f32 v[8:9], v[8:9], v[46:47]
	v_cndmask_b32_e32 v9, v9, v47, vcc
	v_cmp_lt_f16_e32 vcc, 0, v35
	v_cndmask_b32_e32 v8, v8, v46, vcc
	s_waitcnt vmcnt(10)
	v_pk_mul_f32 v[10:11], v[10:11], v[48:49]
	v_cmp_gt_f16_sdwa vcc, v36, v55 src0_sel:WORD_1 src1_sel:DWORD
	v_cvt_f32_f16_sdwa v35, v37 dst_sel:DWORD dst_unused:UNUSED_PAD src0_sel:WORD_1
	v_cndmask_b32_e32 v11, v11, v49, vcc
	v_cmp_lt_f16_e32 vcc, 0, v36
	v_cndmask_b32_e32 v10, v10, v48, vcc
	v_add_co_u32_e32 v1, vcc, s10, v52
	v_addc_co_u32_e32 v48, vcc, 0, v58, vcc
	v_pk_mul_f32 v[12:13], v[12:13], v[34:35]
	s_waitcnt vmcnt(9)
	v_cvt_f32_f16_e32 v46, v38
	v_cvt_f32_f16_sdwa v47, v38 dst_sel:DWORD dst_unused:UNUSED_PAD src0_sel:WORD_1
	v_cmp_gt_f16_sdwa vcc, v37, v55 src0_sel:WORD_1 src1_sel:DWORD
	v_cndmask_b32_e32 v13, v13, v35, vcc
	v_cmp_lt_f16_e32 vcc, 0, v37
	v_cndmask_b32_e32 v12, v12, v34, vcc
	v_cvt_f32_f16_e32 v34, v39
	v_cvt_f32_f16_sdwa v35, v39 dst_sel:DWORD dst_unused:UNUSED_PAD src0_sel:WORD_1
	s_waitcnt vmcnt(8)
	v_pk_mul_f32 v[14:15], v[14:15], v[46:47]
	v_cmp_gt_f16_sdwa vcc, v38, v55 src0_sel:WORD_1 src1_sel:DWORD
	v_cndmask_b32_e32 v15, v15, v47, vcc
	v_cmp_lt_f16_e32 vcc, 0, v38
	v_cndmask_b32_e32 v14, v14, v46, vcc
	v_pk_mul_f32 v[16:17], v[16:17], v[34:35]
	s_waitcnt vmcnt(7)
	v_cvt_f32_f16_e32 v36, v40
	v_cvt_f32_f16_sdwa v37, v40 dst_sel:DWORD dst_unused:UNUSED_PAD src0_sel:WORD_1
	v_cmp_gt_f16_sdwa vcc, v39, v55 src0_sel:WORD_1 src1_sel:DWORD
	v_cndmask_b32_e32 v17, v17, v35, vcc
	v_cmp_lt_f16_e32 vcc, 0, v39
	v_cndmask_b32_e32 v16, v16, v34, vcc
	v_cvt_f32_f16_e32 v34, v41
	v_cvt_f32_f16_sdwa v35, v41 dst_sel:DWORD dst_unused:UNUSED_PAD src0_sel:WORD_1
	s_waitcnt vmcnt(5)
	v_pk_mul_f32 v[18:19], v[18:19], v[36:37]
	v_cmp_gt_f16_sdwa vcc, v40, v55 src0_sel:WORD_1 src1_sel:DWORD
	v_cndmask_b32_e32 v19, v19, v37, vcc
	v_cmp_lt_f16_e32 vcc, 0, v40
	v_cndmask_b32_e32 v18, v18, v36, vcc
	;; [unrolled: 16-line block ×3, first 2 shown]
	v_pk_mul_f32 v[24:25], v[24:25], v[34:35]
	v_cvt_f32_f16_e32 v36, v42
	v_cvt_f32_f16_sdwa v37, v42 dst_sel:DWORD dst_unused:UNUSED_PAD src0_sel:WORD_1
	v_cmp_gt_f16_sdwa vcc, v45, v55 src0_sel:WORD_1 src1_sel:DWORD
	v_cndmask_b32_e32 v25, v25, v35, vcc
	v_cmp_lt_f16_e32 vcc, 0, v45
	v_cndmask_b32_e32 v24, v24, v34, vcc
	v_cvt_f32_f16_e32 v34, v43
	v_cvt_f32_f16_sdwa v35, v43 dst_sel:DWORD dst_unused:UNUSED_PAD src0_sel:WORD_1
	s_waitcnt vmcnt(2)
	v_pk_mul_f32 v[26:27], v[26:27], v[36:37]
	v_cmp_gt_f16_sdwa vcc, v42, v55 src0_sel:WORD_1 src1_sel:DWORD
	v_cndmask_b32_e32 v27, v27, v37, vcc
	v_cmp_lt_f16_e32 vcc, 0, v42
	v_cndmask_b32_e32 v26, v26, v36, vcc
	v_pk_mul_f32 v[28:29], v[28:29], v[34:35]
	s_waitcnt vmcnt(1)
	v_cvt_f32_f16_e32 v36, v50
	v_cvt_f32_f16_sdwa v37, v50 dst_sel:DWORD dst_unused:UNUSED_PAD src0_sel:WORD_1
	v_cmp_gt_f16_sdwa vcc, v43, v55 src0_sel:WORD_1 src1_sel:DWORD
	v_cndmask_b32_e32 v29, v29, v35, vcc
	v_cmp_lt_f16_e32 vcc, 0, v43
	v_cndmask_b32_e32 v28, v28, v34, vcc
	v_cvt_f32_f16_e32 v34, v51
	v_cvt_f32_f16_sdwa v35, v51 dst_sel:DWORD dst_unused:UNUSED_PAD src0_sel:WORD_1
	s_waitcnt vmcnt(0)
	v_pk_mul_f32 v[30:31], v[30:31], v[36:37]
	v_cmp_gt_f16_sdwa vcc, v50, v55 src0_sel:WORD_1 src1_sel:DWORD
	v_cndmask_b32_e32 v31, v31, v37, vcc
	v_cmp_lt_f16_e32 vcc, 0, v50
	v_cndmask_b32_e32 v30, v30, v36, vcc
	v_pk_mul_f32 v[32:33], v[32:33], v[34:35]
	v_cmp_gt_f16_sdwa vcc, v51, v55 src0_sel:WORD_1 src1_sel:DWORD
	v_cndmask_b32_e32 v33, v33, v35, vcc
	v_cmp_lt_f16_e32 vcc, 0, v51
	v_cndmask_b32_e32 v32, v32, v34, vcc
	global_store_dwordx4 v52, v[2:5], s[10:11]
	s_nop 0
	v_add_co_u32_e32 v2, vcc, s20, v1
	v_addc_co_u32_e32 v3, vcc, 0, v48, vcc
	global_store_dwordx4 v[2:3], v[6:9], off
	global_store_dwordx4 v54, v[10:13], s[10:11]
	v_add_co_u32_e32 v2, vcc, s21, v1
	v_addc_co_u32_e32 v3, vcc, 0, v48, vcc
	global_store_dwordx4 v[2:3], v[14:17], off
	global_store_dwordx4 v56, v[18:21], s[10:11]
	;; [unrolled: 4-line block ×3, first 2 shown]
	v_add_co_u32_e32 v2, vcc, 0xe000, v1
	v_addc_co_u32_e32 v3, vcc, 0, v48, vcc
	global_store_dwordx4 v[2:3], v[30:33], off
	s_cbranch_execnz .LBB28_2
.LBB28_4:
	s_load_dword s10, s[4:5], 0x24
	s_load_dwordx4 s[20:23], s[4:5], 0x28
	s_add_u32 s8, s4, 56
	s_addc_u32 s9, s5, 0
	v_mov_b32_e32 v31, v0
	s_waitcnt lgkmcnt(0)
	v_lshrrev_b16_e64 v8, 8, s10
	v_mov_b32_e32 v0, s16
	v_mov_b32_e32 v1, s17
	;; [unrolled: 1-line block ×12, first 2 shown]
	s_getpc_b64 s[4:5]
	s_add_u32 s4, s4, _ZN2at6native25elementwise_kernel_helperILb1EZZZNS0_12prelu_kernelERNS_14TensorIteratorEENKUlvE_clEvENKUlvE0_clEvEUlffE_NS0_6memory8policies11unroll_baseILi512ESt5arrayIPcLm3EE23TrivialOffsetCalculatorILi2EjESD_ILi1EjENS7_12LoadWithCastILi2EEENS7_13StoreWithCastILi1EEELi32ELi1EEEEEvT0_T1_@rel32@lo+4
	s_addc_u32 s5, s5, _ZN2at6native25elementwise_kernel_helperILb1EZZZNS0_12prelu_kernelERNS_14TensorIteratorEENKUlvE_clEvENKUlvE0_clEvEUlffE_NS0_6memory8policies11unroll_baseILi512ESt5arrayIPcLm3EE23TrivialOffsetCalculatorILi2EjESD_ILi1EjENS7_12LoadWithCastILi2EEENS7_13StoreWithCastILi1EEELi32ELi1EEEEEvT0_T1_@rel32@hi+12
	s_swappc_b64 s[30:31], s[4:5]
	s_endpgm
	.section	.rodata,"a",@progbits
	.p2align	6, 0x0
	.amdhsa_kernel _ZN2at6native39vectorized_templated_elementwise_kernelILi4EZZZNS0_12prelu_kernelERNS_14TensorIteratorEENKUlvE_clEvENKUlvE0_clEvEUlffE_St5arrayIPcLm3EE23TrivialOffsetCalculatorILi2EjESA_ILi1EjENS0_6memory12LoadWithCastILi2EEENSD_13StoreWithCastILi1EEEfJN3c104HalfEfEEEviT0_T1_T2_T3_T4_T5_
		.amdhsa_group_segment_fixed_size 0
		.amdhsa_private_segment_fixed_size 288
		.amdhsa_kernarg_size 312
		.amdhsa_user_sgpr_count 8
		.amdhsa_user_sgpr_private_segment_buffer 1
		.amdhsa_user_sgpr_dispatch_ptr 0
		.amdhsa_user_sgpr_queue_ptr 0
		.amdhsa_user_sgpr_kernarg_segment_ptr 1
		.amdhsa_user_sgpr_dispatch_id 0
		.amdhsa_user_sgpr_flat_scratch_init 1
		.amdhsa_user_sgpr_kernarg_preload_length 0
		.amdhsa_user_sgpr_kernarg_preload_offset 0
		.amdhsa_user_sgpr_private_segment_size 0
		.amdhsa_uses_dynamic_stack 0
		.amdhsa_system_sgpr_private_segment_wavefront_offset 1
		.amdhsa_system_sgpr_workgroup_id_x 1
		.amdhsa_system_sgpr_workgroup_id_y 0
		.amdhsa_system_sgpr_workgroup_id_z 0
		.amdhsa_system_sgpr_workgroup_info 0
		.amdhsa_system_vgpr_workitem_id 0
		.amdhsa_next_free_vgpr 118
		.amdhsa_next_free_sgpr 98
		.amdhsa_accum_offset 120
		.amdhsa_reserve_vcc 1
		.amdhsa_reserve_flat_scratch 1
		.amdhsa_float_round_mode_32 0
		.amdhsa_float_round_mode_16_64 0
		.amdhsa_float_denorm_mode_32 3
		.amdhsa_float_denorm_mode_16_64 3
		.amdhsa_dx10_clamp 1
		.amdhsa_ieee_mode 1
		.amdhsa_fp16_overflow 0
		.amdhsa_tg_split 0
		.amdhsa_exception_fp_ieee_invalid_op 0
		.amdhsa_exception_fp_denorm_src 0
		.amdhsa_exception_fp_ieee_div_zero 0
		.amdhsa_exception_fp_ieee_overflow 0
		.amdhsa_exception_fp_ieee_underflow 0
		.amdhsa_exception_fp_ieee_inexact 0
		.amdhsa_exception_int_div_zero 0
	.end_amdhsa_kernel
	.section	.text._ZN2at6native39vectorized_templated_elementwise_kernelILi4EZZZNS0_12prelu_kernelERNS_14TensorIteratorEENKUlvE_clEvENKUlvE0_clEvEUlffE_St5arrayIPcLm3EE23TrivialOffsetCalculatorILi2EjESA_ILi1EjENS0_6memory12LoadWithCastILi2EEENSD_13StoreWithCastILi1EEEfJN3c104HalfEfEEEviT0_T1_T2_T3_T4_T5_,"axG",@progbits,_ZN2at6native39vectorized_templated_elementwise_kernelILi4EZZZNS0_12prelu_kernelERNS_14TensorIteratorEENKUlvE_clEvENKUlvE0_clEvEUlffE_St5arrayIPcLm3EE23TrivialOffsetCalculatorILi2EjESA_ILi1EjENS0_6memory12LoadWithCastILi2EEENSD_13StoreWithCastILi1EEEfJN3c104HalfEfEEEviT0_T1_T2_T3_T4_T5_,comdat
.Lfunc_end28:
	.size	_ZN2at6native39vectorized_templated_elementwise_kernelILi4EZZZNS0_12prelu_kernelERNS_14TensorIteratorEENKUlvE_clEvENKUlvE0_clEvEUlffE_St5arrayIPcLm3EE23TrivialOffsetCalculatorILi2EjESA_ILi1EjENS0_6memory12LoadWithCastILi2EEENSD_13StoreWithCastILi1EEEfJN3c104HalfEfEEEviT0_T1_T2_T3_T4_T5_, .Lfunc_end28-_ZN2at6native39vectorized_templated_elementwise_kernelILi4EZZZNS0_12prelu_kernelERNS_14TensorIteratorEENKUlvE_clEvENKUlvE0_clEvEUlffE_St5arrayIPcLm3EE23TrivialOffsetCalculatorILi2EjESA_ILi1EjENS0_6memory12LoadWithCastILi2EEENSD_13StoreWithCastILi1EEEfJN3c104HalfEfEEEviT0_T1_T2_T3_T4_T5_
                                        ; -- End function
	.section	.AMDGPU.csdata,"",@progbits
; Kernel info:
; codeLenInByte = 1392
; NumSgprs: 104
; NumVgprs: 118
; NumAgprs: 0
; TotalNumVgprs: 118
; ScratchSize: 288
; MemoryBound: 0
; FloatMode: 240
; IeeeMode: 1
; LDSByteSize: 0 bytes/workgroup (compile time only)
; SGPRBlocks: 12
; VGPRBlocks: 14
; NumSGPRsForWavesPerEU: 104
; NumVGPRsForWavesPerEU: 118
; AccumOffset: 120
; Occupancy: 4
; WaveLimiterHint : 0
; COMPUTE_PGM_RSRC2:SCRATCH_EN: 1
; COMPUTE_PGM_RSRC2:USER_SGPR: 8
; COMPUTE_PGM_RSRC2:TRAP_HANDLER: 0
; COMPUTE_PGM_RSRC2:TGID_X_EN: 1
; COMPUTE_PGM_RSRC2:TGID_Y_EN: 0
; COMPUTE_PGM_RSRC2:TGID_Z_EN: 0
; COMPUTE_PGM_RSRC2:TIDIG_COMP_CNT: 0
; COMPUTE_PGM_RSRC3_GFX90A:ACCUM_OFFSET: 29
; COMPUTE_PGM_RSRC3_GFX90A:TG_SPLIT: 0
	.section	.text._ZN2at6native39vectorized_templated_elementwise_kernelILi2EZZZNS0_12prelu_kernelERNS_14TensorIteratorEENKUlvE_clEvENKUlvE0_clEvEUlffE_St5arrayIPcLm3EE23TrivialOffsetCalculatorILi2EjESA_ILi1EjENS0_6memory12LoadWithCastILi2EEENSD_13StoreWithCastILi1EEEfJN3c104HalfEfEEEviT0_T1_T2_T3_T4_T5_,"axG",@progbits,_ZN2at6native39vectorized_templated_elementwise_kernelILi2EZZZNS0_12prelu_kernelERNS_14TensorIteratorEENKUlvE_clEvENKUlvE0_clEvEUlffE_St5arrayIPcLm3EE23TrivialOffsetCalculatorILi2EjESA_ILi1EjENS0_6memory12LoadWithCastILi2EEENSD_13StoreWithCastILi1EEEfJN3c104HalfEfEEEviT0_T1_T2_T3_T4_T5_,comdat
	.globl	_ZN2at6native39vectorized_templated_elementwise_kernelILi2EZZZNS0_12prelu_kernelERNS_14TensorIteratorEENKUlvE_clEvENKUlvE0_clEvEUlffE_St5arrayIPcLm3EE23TrivialOffsetCalculatorILi2EjESA_ILi1EjENS0_6memory12LoadWithCastILi2EEENSD_13StoreWithCastILi1EEEfJN3c104HalfEfEEEviT0_T1_T2_T3_T4_T5_ ; -- Begin function _ZN2at6native39vectorized_templated_elementwise_kernelILi2EZZZNS0_12prelu_kernelERNS_14TensorIteratorEENKUlvE_clEvENKUlvE0_clEvEUlffE_St5arrayIPcLm3EE23TrivialOffsetCalculatorILi2EjESA_ILi1EjENS0_6memory12LoadWithCastILi2EEENSD_13StoreWithCastILi1EEEfJN3c104HalfEfEEEviT0_T1_T2_T3_T4_T5_
	.p2align	8
	.type	_ZN2at6native39vectorized_templated_elementwise_kernelILi2EZZZNS0_12prelu_kernelERNS_14TensorIteratorEENKUlvE_clEvENKUlvE0_clEvEUlffE_St5arrayIPcLm3EE23TrivialOffsetCalculatorILi2EjESA_ILi1EjENS0_6memory12LoadWithCastILi2EEENSD_13StoreWithCastILi1EEEfJN3c104HalfEfEEEviT0_T1_T2_T3_T4_T5_,@function
_ZN2at6native39vectorized_templated_elementwise_kernelILi2EZZZNS0_12prelu_kernelERNS_14TensorIteratorEENKUlvE_clEvENKUlvE0_clEvEUlffE_St5arrayIPcLm3EE23TrivialOffsetCalculatorILi2EjESA_ILi1EjENS0_6memory12LoadWithCastILi2EEENSD_13StoreWithCastILi1EEEfJN3c104HalfEfEEEviT0_T1_T2_T3_T4_T5_: ; @_ZN2at6native39vectorized_templated_elementwise_kernelILi2EZZZNS0_12prelu_kernelERNS_14TensorIteratorEENKUlvE_clEvENKUlvE0_clEvEUlffE_St5arrayIPcLm3EE23TrivialOffsetCalculatorILi2EjESA_ILi1EjENS0_6memory12LoadWithCastILi2EEENSD_13StoreWithCastILi1EEEfJN3c104HalfEfEEEviT0_T1_T2_T3_T4_T5_
; %bb.0:
	s_add_u32 flat_scratch_lo, s6, s9
	s_addc_u32 flat_scratch_hi, s7, 0
	s_add_u32 s0, s0, s9
	s_load_dword s6, s[4:5], 0x38
	s_load_dwordx2 s[10:11], s[4:5], 0x18
	s_load_dword s7, s[4:5], 0x0
	s_load_dwordx4 s[16:19], s[4:5], 0x8
	s_addc_u32 s1, s1, 0
	s_mov_b32 s12, s8
	s_not_b32 s8, s8
	s_waitcnt lgkmcnt(0)
	s_add_i32 s6, s6, s8
	s_lshl_b32 s8, s6, 14
	s_sub_i32 s13, s7, s8
	s_cmpk_gt_i32 s13, 0x3fff
	s_mov_b64 s[6:7], -1
	s_mov_b32 s32, 0
	s_cbranch_scc1 .LBB29_3
; %bb.1:
	s_andn2_b64 vcc, exec, s[6:7]
	s_cbranch_vccz .LBB29_4
.LBB29_2:
	s_endpgm
.LBB29_3:
	s_ashr_i32 s9, s8, 31
	s_lshl_b64 s[6:7], s[8:9], 1
	s_add_u32 s6, s18, s6
	s_addc_u32 s7, s19, s7
	v_lshlrev_b32_e32 v1, 2, v0
	s_lshl_b64 s[14:15], s[8:9], 2
	v_mov_b32_e32 v2, s7
	v_add_co_u32_e32 v36, vcc, s6, v1
	s_add_u32 s8, s10, s14
	v_addc_co_u32_e32 v37, vcc, 0, v2, vcc
	s_addc_u32 s9, s11, s15
	v_lshlrev_b32_e32 v38, 3, v0
	v_mov_b32_e32 v4, s9
	v_add_co_u32_e32 v39, vcc, s8, v38
	v_or_b32_e32 v2, 0x400, v0
	s_movk_i32 s20, 0x1000
	v_addc_co_u32_e32 v40, vcc, 0, v4, vcc
	v_lshlrev_b32_e32 v3, 2, v2
	v_lshlrev_b32_e32 v41, 3, v2
	global_load_dword v21, v1, s[6:7]
	global_load_dword v22, v1, s[6:7] offset:2048
	global_load_dword v23, v3, s[6:7]
	v_add_co_u32_e32 v2, vcc, s20, v36
	v_addc_co_u32_e32 v3, vcc, 0, v37, vcc
	global_load_dword v1, v[2:3], off offset:2048
	global_load_dwordx2 v[4:5], v38, s[8:9]
	global_load_dwordx2 v[6:7], v41, s[8:9]
	v_add_co_u32_e32 v2, vcc, s20, v39
	v_addc_co_u32_e32 v3, vcc, 0, v40, vcc
	global_load_dwordx2 v[2:3], v[2:3], off
	s_movk_i32 s21, 0x3000
	v_add_co_u32_e32 v8, vcc, s21, v39
	v_addc_co_u32_e32 v9, vcc, 0, v40, vcc
	global_load_dwordx2 v[8:9], v[8:9], off
	v_or_b32_e32 v14, 0x1800, v0
	v_or_b32_e32 v15, 0x1c00, v0
	;; [unrolled: 1-line block ×4, first 2 shown]
	v_lshlrev_b32_e32 v20, 2, v14
	v_lshlrev_b32_e32 v43, 2, v15
	;; [unrolled: 1-line block ×4, first 2 shown]
	v_or_b32_e32 v12, 0x1000, v0
	v_or_b32_e32 v13, 0x1400, v0
	v_lshlrev_b32_e32 v16, 2, v10
	v_lshlrev_b32_e32 v17, 2, v11
	;; [unrolled: 1-line block ×4, first 2 shown]
	global_load_dword v44, v16, s[6:7]
	global_load_dword v51, v17, s[6:7]
	;; [unrolled: 1-line block ×5, first 2 shown]
	v_mov_b32_e32 v42, 0
	s_movk_i32 s22, 0x2000
	v_lshlrev_b32_e32 v45, 3, v10
	v_lshlrev_b32_e32 v46, 3, v11
	;; [unrolled: 1-line block ×4, first 2 shown]
	global_load_dwordx2 v[10:11], v45, s[8:9]
	global_load_dwordx2 v[12:13], v46, s[8:9]
	s_movk_i32 s24, 0x5000
	s_movk_i32 s23, 0x4000
	s_mov_b32 s25, 0x9000
	s_movk_i32 s26, 0x6000
	s_add_u32 s14, s16, s14
	s_addc_u32 s15, s17, s15
	v_mov_b32_e32 v55, s15
	global_load_dwordx2 v[24:25], v48, s[8:9]
	global_load_dwordx2 v[28:29], v49, s[8:9]
	s_waitcnt vmcnt(16)
	v_cvt_f32_f16_e32 v14, v21
	v_cvt_f32_f16_sdwa v15, v21 dst_sel:DWORD dst_unused:UNUSED_PAD src0_sel:WORD_1
	s_waitcnt vmcnt(15)
	v_cvt_f32_f16_e32 v16, v22
	v_cvt_f32_f16_sdwa v17, v22 dst_sel:DWORD dst_unused:UNUSED_PAD src0_sel:WORD_1
	;; [unrolled: 3-line block ×3, first 2 shown]
	s_waitcnt vmcnt(12)
	v_pk_mul_f32 v[4:5], v[4:5], v[14:15]
	v_cmp_gt_f16_sdwa vcc, v21, v42 src0_sel:WORD_1 src1_sel:DWORD
	v_cndmask_b32_e32 v5, v5, v15, vcc
	v_cmp_lt_f16_e32 vcc, 0, v21
	v_cndmask_b32_e32 v4, v4, v14, vcc
	v_cmp_gt_f16_sdwa vcc, v22, v42 src0_sel:WORD_1 src1_sel:DWORD
	s_waitcnt vmcnt(10)
	v_pk_mul_f32 v[2:3], v[2:3], v[16:17]
	v_cndmask_b32_e32 v3, v3, v17, vcc
	v_cmp_lt_f16_e32 vcc, 0, v22
	v_pk_mul_f32 v[6:7], v[6:7], v[18:19]
	v_cndmask_b32_e32 v2, v2, v16, vcc
	v_cmp_gt_f16_sdwa vcc, v23, v42 src0_sel:WORD_1 src1_sel:DWORD
	v_cndmask_b32_e32 v7, v7, v19, vcc
	v_cmp_lt_f16_e32 vcc, 0, v23
	v_cvt_f32_f16_e32 v20, v1
	v_cvt_f32_f16_sdwa v21, v1 dst_sel:DWORD dst_unused:UNUSED_PAD src0_sel:WORD_1
	v_cndmask_b32_e32 v6, v6, v18, vcc
	v_add_co_u32_e32 v14, vcc, s22, v36
	v_addc_co_u32_e32 v15, vcc, 0, v37, vcc
	global_load_dword v56, v[14:15], off offset:2048
	v_add_co_u32_e32 v14, vcc, s24, v39
	v_addc_co_u32_e32 v15, vcc, 0, v40, vcc
	s_waitcnt vmcnt(10)
	v_pk_mul_f32 v[8:9], v[8:9], v[20:21]
	v_cmp_gt_f16_sdwa vcc, v1, v42 src0_sel:WORD_1 src1_sel:DWORD
	v_cndmask_b32_e32 v9, v9, v21, vcc
	v_add_co_u32_e32 v16, vcc, s21, v36
	global_load_dwordx2 v[14:15], v[14:15], off
	v_addc_co_u32_e32 v17, vcc, 0, v37, vcc
	global_load_dword v57, v[16:17], off offset:2048
	s_movk_i32 s22, 0x7000
	v_add_co_u32_e32 v16, vcc, s22, v39
	v_addc_co_u32_e32 v17, vcc, 0, v40, vcc
	v_cmp_lt_f16_e32 vcc, 0, v1
	global_load_dwordx2 v[16:17], v[16:17], off
	v_cndmask_b32_e32 v8, v8, v20, vcc
	v_add_co_u32_e32 v20, vcc, s23, v36
	v_addc_co_u32_e32 v21, vcc, 0, v37, vcc
	global_load_dwordx2 v[18:19], v47, s[8:9]
	global_load_dword v1, v[20:21], off offset:2048
	v_add_co_u32_e32 v20, vcc, s25, v39
	v_addc_co_u32_e32 v21, vcc, 0, v40, vcc
	global_load_dwordx2 v[20:21], v[20:21], off
	v_add_co_u32_e32 v26, vcc, s24, v36
	v_addc_co_u32_e32 v27, vcc, 0, v37, vcc
	global_load_dword v58, v[26:27], off offset:2048
	s_mov_b32 s23, 0xb000
	v_add_co_u32_e32 v26, vcc, s23, v39
	v_addc_co_u32_e32 v27, vcc, 0, v40, vcc
	global_load_dwordx2 v[26:27], v[26:27], off
	v_add_co_u32_e32 v30, vcc, s26, v36
	v_addc_co_u32_e32 v31, vcc, 0, v37, vcc
	global_load_dword v59, v[30:31], off offset:2048
	s_mov_b32 s26, 0xd000
	v_add_co_u32_e32 v30, vcc, s26, v39
	v_addc_co_u32_e32 v31, vcc, 0, v40, vcc
	global_load_dwordx2 v[32:33], v[30:31], off
	global_load_dword v60, v43, s[6:7]
	global_load_dwordx2 v[34:35], v50, s[8:9]
	v_add_co_u32_e32 v30, vcc, s22, v36
	v_addc_co_u32_e32 v31, vcc, 0, v37, vcc
	global_load_dword v43, v[30:31], off offset:2048
	s_mov_b32 s6, 0xf000
	v_add_co_u32_e32 v30, vcc, s6, v39
	v_addc_co_u32_e32 v31, vcc, 0, v40, vcc
	global_load_dwordx2 v[30:31], v[30:31], off
	s_waitcnt vmcnt(23)
	v_cvt_f32_f16_e32 v22, v44
	v_cvt_f32_f16_sdwa v23, v44 dst_sel:DWORD dst_unused:UNUSED_PAD src0_sel:WORD_1
	v_cmp_gt_f16_sdwa vcc, v44, v42 src0_sel:WORD_1 src1_sel:DWORD
	s_waitcnt vmcnt(22)
	v_cvt_f32_f16_e32 v36, v51
	v_cvt_f32_f16_sdwa v37, v51 dst_sel:DWORD dst_unused:UNUSED_PAD src0_sel:WORD_1
	s_waitcnt vmcnt(18)
	v_pk_mul_f32 v[10:11], v[10:11], v[22:23]
	v_cndmask_b32_e32 v11, v11, v23, vcc
	v_cmp_lt_f16_e32 vcc, 0, v44
	v_cndmask_b32_e32 v10, v10, v22, vcc
	v_add_co_u32_e32 v39, vcc, s14, v38
	v_addc_co_u32_e32 v40, vcc, 0, v55, vcc
	s_waitcnt vmcnt(17)
	v_pk_mul_f32 v[12:13], v[12:13], v[36:37]
	s_waitcnt vmcnt(14)
	v_cvt_f32_f16_e32 v22, v56
	v_cvt_f32_f16_sdwa v23, v56 dst_sel:DWORD dst_unused:UNUSED_PAD src0_sel:WORD_1
	v_cmp_lt_f16_e32 vcc, 0, v56
	v_cmp_gt_f16_sdwa s[6:7], v56, v42 src0_sel:WORD_1 src1_sel:DWORD
	global_store_dwordx2 v38, v[4:5], s[14:15]
	s_waitcnt vmcnt(14)
	v_pk_mul_f32 v[14:15], v[14:15], v[22:23]
	v_cndmask_b32_e64 v15, v15, v23, s[6:7]
	v_cndmask_b32_e32 v14, v14, v22, vcc
	s_waitcnt vmcnt(13)
	v_cvt_f32_f16_e32 v22, v57
	v_cvt_f32_f16_sdwa v23, v57 dst_sel:DWORD dst_unused:UNUSED_PAD src0_sel:WORD_1
	v_cmp_gt_f16_sdwa vcc, v51, v42 src0_sel:WORD_1 src1_sel:DWORD
	v_cndmask_b32_e32 v13, v13, v37, vcc
	v_cmp_lt_f16_e32 vcc, 0, v51
	v_cndmask_b32_e32 v12, v12, v36, vcc
	v_cvt_f32_f16_e32 v36, v52
	v_cvt_f32_f16_sdwa v37, v52 dst_sel:DWORD dst_unused:UNUSED_PAD src0_sel:WORD_1
	s_waitcnt vmcnt(12)
	v_pk_mul_f32 v[16:17], v[16:17], v[22:23]
	v_cmp_gt_f16_sdwa vcc, v57, v42 src0_sel:WORD_1 src1_sel:DWORD
	v_cndmask_b32_e32 v17, v17, v23, vcc
	v_cmp_lt_f16_e32 vcc, 0, v57
	v_cndmask_b32_e32 v16, v16, v22, vcc
	s_waitcnt vmcnt(11)
	v_pk_mul_f32 v[18:19], v[18:19], v[36:37]
	s_waitcnt vmcnt(10)
	v_cvt_f32_f16_e32 v22, v1
	v_cvt_f32_f16_sdwa v23, v1 dst_sel:DWORD dst_unused:UNUSED_PAD src0_sel:WORD_1
	v_cmp_gt_f16_sdwa vcc, v52, v42 src0_sel:WORD_1 src1_sel:DWORD
	v_cndmask_b32_e32 v19, v19, v37, vcc
	v_cmp_lt_f16_e32 vcc, 0, v52
	v_cndmask_b32_e32 v18, v18, v36, vcc
	v_cvt_f32_f16_e32 v36, v53
	v_cvt_f32_f16_sdwa v37, v53 dst_sel:DWORD dst_unused:UNUSED_PAD src0_sel:WORD_1
	s_waitcnt vmcnt(9)
	v_pk_mul_f32 v[20:21], v[20:21], v[22:23]
	v_cmp_gt_f16_sdwa vcc, v1, v42 src0_sel:WORD_1 src1_sel:DWORD
	v_cndmask_b32_e32 v21, v21, v23, vcc
	v_cmp_lt_f16_e32 vcc, 0, v1
	v_cndmask_b32_e32 v20, v20, v22, vcc
	v_pk_mul_f32 v[22:23], v[24:25], v[36:37]
	s_waitcnt vmcnt(8)
	v_cvt_f32_f16_e32 v24, v58
	v_cvt_f32_f16_sdwa v25, v58 dst_sel:DWORD dst_unused:UNUSED_PAD src0_sel:WORD_1
	v_cmp_gt_f16_sdwa vcc, v53, v42 src0_sel:WORD_1 src1_sel:DWORD
	v_cndmask_b32_e32 v23, v23, v37, vcc
	v_cmp_lt_f16_e32 vcc, 0, v53
	v_cndmask_b32_e32 v22, v22, v36, vcc
	v_cvt_f32_f16_e32 v36, v54
	v_cvt_f32_f16_sdwa v37, v54 dst_sel:DWORD dst_unused:UNUSED_PAD src0_sel:WORD_1
	s_waitcnt vmcnt(7)
	v_pk_mul_f32 v[26:27], v[26:27], v[24:25]
	v_cmp_gt_f16_sdwa vcc, v58, v42 src0_sel:WORD_1 src1_sel:DWORD
	v_cndmask_b32_e32 v25, v27, v25, vcc
	v_cmp_lt_f16_e32 vcc, 0, v58
	v_cndmask_b32_e32 v24, v26, v24, vcc
	v_pk_mul_f32 v[26:27], v[28:29], v[36:37]
	s_waitcnt vmcnt(6)
	v_cvt_f32_f16_e32 v28, v59
	v_cvt_f32_f16_sdwa v29, v59 dst_sel:DWORD dst_unused:UNUSED_PAD src0_sel:WORD_1
	v_cmp_gt_f16_sdwa vcc, v54, v42 src0_sel:WORD_1 src1_sel:DWORD
	v_cndmask_b32_e32 v27, v27, v37, vcc
	v_cmp_lt_f16_e32 vcc, 0, v54
	v_cndmask_b32_e32 v26, v26, v36, vcc
	s_waitcnt vmcnt(4)
	v_cvt_f32_f16_e32 v36, v60
	v_cvt_f32_f16_sdwa v37, v60 dst_sel:DWORD dst_unused:UNUSED_PAD src0_sel:WORD_1
	v_pk_mul_f32 v[32:33], v[32:33], v[28:29]
	v_cmp_gt_f16_sdwa vcc, v59, v42 src0_sel:WORD_1 src1_sel:DWORD
	v_cndmask_b32_e32 v29, v33, v29, vcc
	v_cmp_lt_f16_e32 vcc, 0, v59
	v_cndmask_b32_e32 v28, v32, v28, vcc
	s_waitcnt vmcnt(3)
	v_pk_mul_f32 v[32:33], v[34:35], v[36:37]
	s_waitcnt vmcnt(2)
	v_cvt_f32_f16_e32 v34, v43
	v_cvt_f32_f16_sdwa v35, v43 dst_sel:DWORD dst_unused:UNUSED_PAD src0_sel:WORD_1
	v_cmp_gt_f16_sdwa vcc, v60, v42 src0_sel:WORD_1 src1_sel:DWORD
	v_cndmask_b32_e32 v33, v33, v37, vcc
	v_cmp_lt_f16_e32 vcc, 0, v60
	v_cndmask_b32_e32 v32, v32, v36, vcc
	s_waitcnt vmcnt(1)
	v_pk_mul_f32 v[30:31], v[30:31], v[34:35]
	v_cmp_gt_f16_sdwa vcc, v43, v42 src0_sel:WORD_1 src1_sel:DWORD
	v_cndmask_b32_e32 v31, v31, v35, vcc
	v_cmp_lt_f16_e32 vcc, 0, v43
	v_cndmask_b32_e32 v30, v30, v34, vcc
	v_add_co_u32_e32 v4, vcc, s20, v39
	v_addc_co_u32_e32 v5, vcc, 0, v40, vcc
	global_store_dwordx2 v[4:5], v[2:3], off
	global_store_dwordx2 v41, v[6:7], s[14:15]
	v_add_co_u32_e32 v2, vcc, s21, v39
	v_addc_co_u32_e32 v3, vcc, 0, v40, vcc
	global_store_dwordx2 v[2:3], v[8:9], off
	global_store_dwordx2 v45, v[10:11], s[14:15]
	;; [unrolled: 4-line block ×7, first 2 shown]
	v_add_co_u32_e32 v2, vcc, 0xf000, v39
	v_addc_co_u32_e32 v3, vcc, 0, v40, vcc
	global_store_dwordx2 v[2:3], v[30:31], off
	s_cbranch_execnz .LBB29_2
.LBB29_4:
	s_load_dword s6, s[4:5], 0x24
	s_load_dwordx4 s[20:23], s[4:5], 0x28
	s_add_u32 s8, s4, 56
	s_addc_u32 s9, s5, 0
	v_mov_b32_e32 v31, v0
	s_waitcnt lgkmcnt(0)
	v_lshrrev_b16_e64 v8, 8, s6
	v_mov_b32_e32 v0, s16
	v_mov_b32_e32 v1, s17
	;; [unrolled: 1-line block ×12, first 2 shown]
	s_getpc_b64 s[4:5]
	s_add_u32 s4, s4, _ZN2at6native25elementwise_kernel_helperILb1EZZZNS0_12prelu_kernelERNS_14TensorIteratorEENKUlvE_clEvENKUlvE0_clEvEUlffE_NS0_6memory8policies11unroll_baseILi512ESt5arrayIPcLm3EE23TrivialOffsetCalculatorILi2EjESD_ILi1EjENS7_12LoadWithCastILi2EEENS7_13StoreWithCastILi1EEELi32ELi1EEEEEvT0_T1_@rel32@lo+4
	s_addc_u32 s5, s5, _ZN2at6native25elementwise_kernel_helperILb1EZZZNS0_12prelu_kernelERNS_14TensorIteratorEENKUlvE_clEvENKUlvE0_clEvEUlffE_NS0_6memory8policies11unroll_baseILi512ESt5arrayIPcLm3EE23TrivialOffsetCalculatorILi2EjESD_ILi1EjENS7_12LoadWithCastILi2EEENS7_13StoreWithCastILi1EEELi32ELi1EEEEEvT0_T1_@rel32@hi+12
	s_swappc_b64 s[30:31], s[4:5]
	s_endpgm
	.section	.rodata,"a",@progbits
	.p2align	6, 0x0
	.amdhsa_kernel _ZN2at6native39vectorized_templated_elementwise_kernelILi2EZZZNS0_12prelu_kernelERNS_14TensorIteratorEENKUlvE_clEvENKUlvE0_clEvEUlffE_St5arrayIPcLm3EE23TrivialOffsetCalculatorILi2EjESA_ILi1EjENS0_6memory12LoadWithCastILi2EEENSD_13StoreWithCastILi1EEEfJN3c104HalfEfEEEviT0_T1_T2_T3_T4_T5_
		.amdhsa_group_segment_fixed_size 0
		.amdhsa_private_segment_fixed_size 288
		.amdhsa_kernarg_size 312
		.amdhsa_user_sgpr_count 8
		.amdhsa_user_sgpr_private_segment_buffer 1
		.amdhsa_user_sgpr_dispatch_ptr 0
		.amdhsa_user_sgpr_queue_ptr 0
		.amdhsa_user_sgpr_kernarg_segment_ptr 1
		.amdhsa_user_sgpr_dispatch_id 0
		.amdhsa_user_sgpr_flat_scratch_init 1
		.amdhsa_user_sgpr_kernarg_preload_length 0
		.amdhsa_user_sgpr_kernarg_preload_offset 0
		.amdhsa_user_sgpr_private_segment_size 0
		.amdhsa_uses_dynamic_stack 0
		.amdhsa_system_sgpr_private_segment_wavefront_offset 1
		.amdhsa_system_sgpr_workgroup_id_x 1
		.amdhsa_system_sgpr_workgroup_id_y 0
		.amdhsa_system_sgpr_workgroup_id_z 0
		.amdhsa_system_sgpr_workgroup_info 0
		.amdhsa_system_vgpr_workitem_id 0
		.amdhsa_next_free_vgpr 118
		.amdhsa_next_free_sgpr 98
		.amdhsa_accum_offset 120
		.amdhsa_reserve_vcc 1
		.amdhsa_reserve_flat_scratch 1
		.amdhsa_float_round_mode_32 0
		.amdhsa_float_round_mode_16_64 0
		.amdhsa_float_denorm_mode_32 3
		.amdhsa_float_denorm_mode_16_64 3
		.amdhsa_dx10_clamp 1
		.amdhsa_ieee_mode 1
		.amdhsa_fp16_overflow 0
		.amdhsa_tg_split 0
		.amdhsa_exception_fp_ieee_invalid_op 0
		.amdhsa_exception_fp_denorm_src 0
		.amdhsa_exception_fp_ieee_div_zero 0
		.amdhsa_exception_fp_ieee_overflow 0
		.amdhsa_exception_fp_ieee_underflow 0
		.amdhsa_exception_fp_ieee_inexact 0
		.amdhsa_exception_int_div_zero 0
	.end_amdhsa_kernel
	.section	.text._ZN2at6native39vectorized_templated_elementwise_kernelILi2EZZZNS0_12prelu_kernelERNS_14TensorIteratorEENKUlvE_clEvENKUlvE0_clEvEUlffE_St5arrayIPcLm3EE23TrivialOffsetCalculatorILi2EjESA_ILi1EjENS0_6memory12LoadWithCastILi2EEENSD_13StoreWithCastILi1EEEfJN3c104HalfEfEEEviT0_T1_T2_T3_T4_T5_,"axG",@progbits,_ZN2at6native39vectorized_templated_elementwise_kernelILi2EZZZNS0_12prelu_kernelERNS_14TensorIteratorEENKUlvE_clEvENKUlvE0_clEvEUlffE_St5arrayIPcLm3EE23TrivialOffsetCalculatorILi2EjESA_ILi1EjENS0_6memory12LoadWithCastILi2EEENSD_13StoreWithCastILi1EEEfJN3c104HalfEfEEEviT0_T1_T2_T3_T4_T5_,comdat
.Lfunc_end29:
	.size	_ZN2at6native39vectorized_templated_elementwise_kernelILi2EZZZNS0_12prelu_kernelERNS_14TensorIteratorEENKUlvE_clEvENKUlvE0_clEvEUlffE_St5arrayIPcLm3EE23TrivialOffsetCalculatorILi2EjESA_ILi1EjENS0_6memory12LoadWithCastILi2EEENSD_13StoreWithCastILi1EEEfJN3c104HalfEfEEEviT0_T1_T2_T3_T4_T5_, .Lfunc_end29-_ZN2at6native39vectorized_templated_elementwise_kernelILi2EZZZNS0_12prelu_kernelERNS_14TensorIteratorEENKUlvE_clEvENKUlvE0_clEvEUlffE_St5arrayIPcLm3EE23TrivialOffsetCalculatorILi2EjESA_ILi1EjENS0_6memory12LoadWithCastILi2EEENSD_13StoreWithCastILi1EEEfJN3c104HalfEfEEEviT0_T1_T2_T3_T4_T5_
                                        ; -- End function
	.section	.AMDGPU.csdata,"",@progbits
; Kernel info:
; codeLenInByte = 1792
; NumSgprs: 104
; NumVgprs: 118
; NumAgprs: 0
; TotalNumVgprs: 118
; ScratchSize: 288
; MemoryBound: 0
; FloatMode: 240
; IeeeMode: 1
; LDSByteSize: 0 bytes/workgroup (compile time only)
; SGPRBlocks: 12
; VGPRBlocks: 14
; NumSGPRsForWavesPerEU: 104
; NumVGPRsForWavesPerEU: 118
; AccumOffset: 120
; Occupancy: 4
; WaveLimiterHint : 0
; COMPUTE_PGM_RSRC2:SCRATCH_EN: 1
; COMPUTE_PGM_RSRC2:USER_SGPR: 8
; COMPUTE_PGM_RSRC2:TRAP_HANDLER: 0
; COMPUTE_PGM_RSRC2:TGID_X_EN: 1
; COMPUTE_PGM_RSRC2:TGID_Y_EN: 0
; COMPUTE_PGM_RSRC2:TGID_Z_EN: 0
; COMPUTE_PGM_RSRC2:TIDIG_COMP_CNT: 0
; COMPUTE_PGM_RSRC3_GFX90A:ACCUM_OFFSET: 29
; COMPUTE_PGM_RSRC3_GFX90A:TG_SPLIT: 0
	.section	.text._ZN2at6native39vectorized_templated_elementwise_kernelILi8EZZZNS0_12prelu_kernelERNS_14TensorIteratorEENKUlvE_clEvENKUlvE0_clEvEUlffE_St5arrayIPcLm3EE23TrivialOffsetCalculatorILi2EjESA_ILi1EjENS0_6memory12LoadWithCastILi2EEENSD_13StoreWithCastILi1EEEN3c104HalfEJSJ_fEEEviT0_T1_T2_T3_T4_T5_,"axG",@progbits,_ZN2at6native39vectorized_templated_elementwise_kernelILi8EZZZNS0_12prelu_kernelERNS_14TensorIteratorEENKUlvE_clEvENKUlvE0_clEvEUlffE_St5arrayIPcLm3EE23TrivialOffsetCalculatorILi2EjESA_ILi1EjENS0_6memory12LoadWithCastILi2EEENSD_13StoreWithCastILi1EEEN3c104HalfEJSJ_fEEEviT0_T1_T2_T3_T4_T5_,comdat
	.globl	_ZN2at6native39vectorized_templated_elementwise_kernelILi8EZZZNS0_12prelu_kernelERNS_14TensorIteratorEENKUlvE_clEvENKUlvE0_clEvEUlffE_St5arrayIPcLm3EE23TrivialOffsetCalculatorILi2EjESA_ILi1EjENS0_6memory12LoadWithCastILi2EEENSD_13StoreWithCastILi1EEEN3c104HalfEJSJ_fEEEviT0_T1_T2_T3_T4_T5_ ; -- Begin function _ZN2at6native39vectorized_templated_elementwise_kernelILi8EZZZNS0_12prelu_kernelERNS_14TensorIteratorEENKUlvE_clEvENKUlvE0_clEvEUlffE_St5arrayIPcLm3EE23TrivialOffsetCalculatorILi2EjESA_ILi1EjENS0_6memory12LoadWithCastILi2EEENSD_13StoreWithCastILi1EEEN3c104HalfEJSJ_fEEEviT0_T1_T2_T3_T4_T5_
	.p2align	8
	.type	_ZN2at6native39vectorized_templated_elementwise_kernelILi8EZZZNS0_12prelu_kernelERNS_14TensorIteratorEENKUlvE_clEvENKUlvE0_clEvEUlffE_St5arrayIPcLm3EE23TrivialOffsetCalculatorILi2EjESA_ILi1EjENS0_6memory12LoadWithCastILi2EEENSD_13StoreWithCastILi1EEEN3c104HalfEJSJ_fEEEviT0_T1_T2_T3_T4_T5_,@function
_ZN2at6native39vectorized_templated_elementwise_kernelILi8EZZZNS0_12prelu_kernelERNS_14TensorIteratorEENKUlvE_clEvENKUlvE0_clEvEUlffE_St5arrayIPcLm3EE23TrivialOffsetCalculatorILi2EjESA_ILi1EjENS0_6memory12LoadWithCastILi2EEENSD_13StoreWithCastILi1EEEN3c104HalfEJSJ_fEEEviT0_T1_T2_T3_T4_T5_: ; @_ZN2at6native39vectorized_templated_elementwise_kernelILi8EZZZNS0_12prelu_kernelERNS_14TensorIteratorEENKUlvE_clEvENKUlvE0_clEvEUlffE_St5arrayIPcLm3EE23TrivialOffsetCalculatorILi2EjESA_ILi1EjENS0_6memory12LoadWithCastILi2EEENSD_13StoreWithCastILi1EEEN3c104HalfEJSJ_fEEEviT0_T1_T2_T3_T4_T5_
; %bb.0:
	s_add_u32 flat_scratch_lo, s6, s9
	s_addc_u32 flat_scratch_hi, s7, 0
	s_add_u32 s0, s0, s9
	s_mov_b32 s12, s8
	s_load_dword s8, s[4:5], 0x38
	s_load_dwordx2 s[6:7], s[4:5], 0x18
	s_load_dword s9, s[4:5], 0x0
	s_load_dwordx4 s[16:19], s[4:5], 0x8
	s_addc_u32 s1, s1, 0
	s_not_b32 s10, s12
	s_waitcnt lgkmcnt(0)
	s_add_i32 s8, s8, s10
	s_lshl_b32 s10, s8, 14
	s_sub_i32 s13, s9, s10
	s_cmpk_gt_i32 s13, 0x3fff
	s_mov_b64 s[8:9], -1
	s_mov_b32 s32, 0
	s_cbranch_scc1 .LBB30_3
; %bb.1:
	s_andn2_b64 vcc, exec, s[8:9]
	s_cbranch_vccz .LBB30_4
.LBB30_2:
	s_endpgm
.LBB30_3:
	s_ashr_i32 s11, s10, 31
	s_lshl_b64 s[8:9], s[10:11], 1
	s_add_u32 s14, s18, s8
	s_addc_u32 s15, s19, s9
	s_lshl_b64 s[10:11], s[10:11], 2
	v_or_b32_e32 v32, 0x400, v0
	s_add_u32 s10, s6, s10
	v_lshlrev_b32_e32 v1, 4, v0
	v_lshlrev_b32_e32 v50, 4, v32
	s_addc_u32 s11, s7, s11
	v_lshlrev_b32_e32 v22, 5, v0
	global_load_dwordx4 v[6:9], v1, s[14:15]
	global_load_dwordx4 v[2:5], v50, s[14:15]
	global_load_dwordx4 v[10:13], v22, s[10:11] offset:16
	global_load_dwordx4 v[14:17], v22, s[10:11]
	v_mov_b32_e32 v18, s15
	v_add_co_u32_e32 v48, vcc, s14, v1
	v_addc_co_u32_e32 v49, vcc, 0, v18, vcc
	v_add_co_u32_e32 v18, vcc, 0x2000, v48
	v_addc_co_u32_e32 v19, vcc, 0, v49, vcc
	v_mov_b32_e32 v23, s11
	v_add_co_u32_e32 v38, vcc, s10, v22
	v_addc_co_u32_e32 v39, vcc, 0, v23, vcc
	s_movk_i32 s14, 0x4000
	v_add_co_u32_e32 v30, vcc, s14, v38
	v_addc_co_u32_e32 v31, vcc, 0, v39, vcc
	global_load_dwordx4 v[18:21], v[18:19], off
	s_nop 0
	global_load_dwordx4 v[22:25], v[30:31], off
	global_load_dwordx4 v[26:29], v[30:31], off offset:16
	v_lshlrev_b32_e32 v40, 5, v32
	global_load_dwordx4 v[30:33], v40, s[10:11]
	global_load_dwordx4 v[34:37], v40, s[10:11] offset:16
	s_mov_b32 s10, 0xc000
	v_add_co_u32_e32 v46, vcc, s10, v38
	v_addc_co_u32_e32 v47, vcc, 0, v39, vcc
	global_load_dwordx4 v[38:41], v[46:47], off
	global_load_dwordx4 v[42:45], v[46:47], off offset:16
	s_movk_i32 s10, 0x6000
	v_add_co_u32_e32 v46, vcc, s10, v48
	v_addc_co_u32_e32 v47, vcc, 0, v49, vcc
	global_load_dwordx4 v[46:49], v[46:47], off
	s_mov_b32 s11, 0x5040100
	s_add_u32 s8, s16, s8
	s_addc_u32 s9, s17, s9
	s_movk_i32 s10, 0x2000
	s_waitcnt vmcnt(11)
	v_cmp_lt_f16_e32 vcc, 0, v6
	s_waitcnt vmcnt(9)
	v_cvt_f16_f32_e32 v10, v10
	s_waitcnt vmcnt(8)
	v_cvt_f16_f32_e32 v14, v14
	v_cvt_f16_f32_e32 v16, v16
	;; [unrolled: 1-line block ×4, first 2 shown]
	v_mul_f16_e32 v14, v6, v14
	v_lshrrev_b32_e32 v51, 16, v6
	v_cvt_f16_f32_e32 v13, v13
	v_mul_f16_e32 v16, v7, v16
	v_cndmask_b32_e32 v6, v14, v6, vcc
	v_cmp_lt_f16_e32 vcc, 0, v7
	v_lshrrev_b32_e32 v52, 16, v7
	v_cvt_f16_f32_e32 v15, v15
	v_mul_f16_e32 v10, v8, v10
	v_cndmask_b32_e32 v7, v16, v7, vcc
	v_cmp_lt_f16_e32 vcc, 0, v8
	;; [unrolled: 5-line block ×3, first 2 shown]
	v_lshrrev_b32_e32 v54, 16, v9
	v_cndmask_b32_e32 v9, v12, v9, vcc
	v_mul_f16_e32 v11, v53, v11
	v_cmp_lt_f16_e32 vcc, 0, v53
	v_cndmask_b32_e32 v11, v11, v53, vcc
	v_mul_f16_e32 v13, v54, v13
	v_cmp_lt_f16_e32 vcc, 0, v54
	v_cndmask_b32_e32 v13, v13, v54, vcc
	v_perm_b32 v8, v11, v8, s11
	v_mul_f16_e32 v11, v51, v15
	v_cmp_lt_f16_e32 vcc, 0, v51
	s_waitcnt vmcnt(6)
	v_cvt_f16_f32_e32 v12, v22
	v_cndmask_b32_e32 v11, v11, v51, vcc
	v_mul_f16_e32 v17, v52, v17
	v_cmp_lt_f16_e32 vcc, 0, v52
	v_cvt_f16_f32_e32 v14, v23
	v_cndmask_b32_e32 v17, v17, v52, vcc
	v_cvt_f16_f32_e32 v16, v24
	v_mov_b32_e32 v51, s9
	v_perm_b32 v7, v17, v7, s11
	v_add_co_u32_e32 v17, vcc, s8, v1
	v_cvt_f16_f32_e32 v22, v25
	v_perm_b32 v9, v13, v9, s11
	v_addc_co_u32_e32 v51, vcc, 0, v51, vcc
	v_perm_b32 v6, v11, v6, s11
	v_lshrrev_b32_e32 v57, 16, v18
	s_waitcnt vmcnt(5)
	v_cvt_f16_f32_e32 v23, v26
	global_store_dwordx4 v1, v[6:9], s[8:9]
	v_mul_f16_e32 v1, v18, v12
	v_cmp_lt_f16_e32 vcc, 0, v18
	v_cvt_f16_f32_e32 v24, v27
	v_cndmask_b32_e32 v1, v1, v18, vcc
	v_mul_f16_e32 v6, v57, v14
	v_cmp_lt_f16_e32 vcc, 0, v57
	v_lshrrev_b32_e32 v58, 16, v19
	v_cvt_f16_f32_e32 v25, v28
	v_cndmask_b32_e32 v6, v6, v57, vcc
	v_mul_f16_e32 v7, v19, v16
	v_cmp_lt_f16_e32 vcc, 0, v19
	v_cvt_f16_f32_e32 v26, v29
	v_cndmask_b32_e32 v7, v7, v19, vcc
	v_mul_f16_e32 v8, v58, v22
	v_cmp_lt_f16_e32 vcc, 0, v58
	v_lshrrev_b32_e32 v59, 16, v20
	v_cndmask_b32_e32 v11, v8, v58, vcc
	v_mul_f16_e32 v8, v20, v23
	v_cmp_lt_f16_e32 vcc, 0, v20
	v_cndmask_b32_e32 v8, v8, v20, vcc
	v_mul_f16_e32 v9, v59, v24
	v_cmp_lt_f16_e32 vcc, 0, v59
	v_lshrrev_b32_e32 v10, 16, v21
	v_cndmask_b32_e32 v12, v9, v59, vcc
	v_mul_f16_e32 v9, v21, v25
	v_cmp_lt_f16_e32 vcc, 0, v21
	s_waitcnt vmcnt(5)
	v_cvt_f16_f32_e32 v27, v30
	v_cndmask_b32_e32 v9, v9, v21, vcc
	v_mul_f16_e32 v14, v10, v26
	v_cmp_lt_f16_e32 vcc, 0, v10
	v_cvt_f16_f32_e32 v28, v31
	v_cndmask_b32_e32 v10, v14, v10, vcc
	v_cvt_f16_f32_e32 v29, v32
	v_perm_b32 v9, v10, v9, s11
	v_add_co_u32_e32 v10, vcc, s10, v17
	v_cvt_f16_f32_e32 v30, v33
	v_perm_b32 v7, v11, v7, s11
	v_addc_co_u32_e32 v11, vcc, 0, v51, vcc
	v_lshrrev_b32_e32 v55, 16, v2
	s_waitcnt vmcnt(4)
	v_cvt_f16_f32_e32 v31, v34
	v_perm_b32 v6, v6, v1, s11
	v_mul_f16_e32 v1, v2, v27
	v_cmp_lt_f16_e32 vcc, 0, v2
	v_cvt_f16_f32_e32 v32, v35
	v_perm_b32 v8, v12, v8, s11
	v_cndmask_b32_e32 v1, v1, v2, vcc
	v_mul_f16_e32 v2, v55, v28
	v_cmp_lt_f16_e32 vcc, 0, v55
	v_lshrrev_b32_e32 v56, 16, v3
	v_cvt_f16_f32_e32 v33, v36
	global_store_dwordx4 v[10:11], v[6:9], off
	v_cndmask_b32_e32 v2, v2, v55, vcc
	v_mul_f16_e32 v6, v3, v29
	v_cmp_lt_f16_e32 vcc, 0, v3
	v_cvt_f16_f32_e32 v34, v37
	v_cndmask_b32_e32 v3, v6, v3, vcc
	v_mul_f16_e32 v6, v56, v30
	v_cmp_lt_f16_e32 vcc, 0, v56
	s_waitcnt vmcnt(4)
	v_cvt_f16_f32_e32 v37, v40
	s_waitcnt vmcnt(3)
	v_cvt_f16_f32_e32 v40, v43
	v_lshrrev_b32_e32 v43, 16, v4
	v_cndmask_b32_e32 v6, v6, v56, vcc
	v_mul_f16_e32 v7, v4, v31
	v_cmp_lt_f16_e32 vcc, 0, v4
	v_cvt_f16_f32_e32 v35, v38
	v_cndmask_b32_e32 v4, v7, v4, vcc
	v_mul_f16_e32 v7, v43, v32
	v_cmp_lt_f16_e32 vcc, 0, v43
	v_cvt_f16_f32_e32 v36, v39
	v_cvt_f16_f32_e32 v38, v41
	v_cvt_f16_f32_e32 v41, v44
	v_lshrrev_b32_e32 v44, 16, v5
	v_cndmask_b32_e32 v7, v7, v43, vcc
	v_mul_f16_e32 v8, v5, v33
	v_cmp_lt_f16_e32 vcc, 0, v5
	v_cndmask_b32_e32 v5, v8, v5, vcc
	v_mul_f16_e32 v8, v44, v34
	v_cmp_lt_f16_e32 vcc, 0, v44
	v_cndmask_b32_e32 v8, v8, v44, vcc
	v_cvt_f16_f32_e32 v39, v42
	v_cvt_f16_f32_e32 v42, v45
	s_waitcnt vmcnt(2)
	v_lshrrev_b32_e32 v45, 16, v46
	v_perm_b32 v5, v8, v5, s11
	v_perm_b32 v4, v7, v4, s11
	;; [unrolled: 1-line block ×4, first 2 shown]
	v_mul_f16_e32 v1, v46, v35
	v_cmp_lt_f16_e32 vcc, 0, v46
	global_store_dwordx4 v50, v[2:5], s[8:9]
	v_cndmask_b32_e32 v1, v1, v46, vcc
	v_mul_f16_e32 v2, v45, v36
	v_cmp_lt_f16_e32 vcc, 0, v45
	v_lshrrev_b32_e32 v13, 16, v47
	v_cndmask_b32_e32 v2, v2, v45, vcc
	v_mul_f16_e32 v3, v47, v37
	v_cmp_lt_f16_e32 vcc, 0, v47
	v_cndmask_b32_e32 v3, v3, v47, vcc
	v_mul_f16_e32 v4, v13, v38
	v_cmp_lt_f16_e32 vcc, 0, v13
	v_lshrrev_b32_e32 v53, 16, v48
	v_cndmask_b32_e32 v6, v4, v13, vcc
	v_mul_f16_e32 v4, v48, v39
	v_cmp_lt_f16_e32 vcc, 0, v48
	;; [unrolled: 7-line block ×3, first 2 shown]
	v_cndmask_b32_e32 v5, v5, v49, vcc
	v_mul_f16_e32 v8, v15, v42
	v_cmp_lt_f16_e32 vcc, 0, v15
	v_cndmask_b32_e32 v8, v8, v15, vcc
	v_perm_b32 v3, v6, v3, s11
	v_add_co_u32_e32 v6, vcc, 0x6000, v17
	v_perm_b32 v5, v8, v5, s11
	v_perm_b32 v4, v7, v4, s11
	;; [unrolled: 1-line block ×3, first 2 shown]
	v_addc_co_u32_e32 v7, vcc, 0, v51, vcc
	global_store_dwordx4 v[6:7], v[2:5], off
	s_cbranch_execnz .LBB30_2
.LBB30_4:
	s_load_dword s10, s[4:5], 0x24
	s_load_dwordx4 s[20:23], s[4:5], 0x28
	s_add_u32 s8, s4, 56
	s_addc_u32 s9, s5, 0
	v_mov_b32_e32 v31, v0
	s_waitcnt lgkmcnt(0)
	v_lshrrev_b16_e64 v8, 8, s10
	v_mov_b32_e32 v0, s16
	v_mov_b32_e32 v1, s17
	;; [unrolled: 1-line block ×12, first 2 shown]
	s_getpc_b64 s[4:5]
	s_add_u32 s4, s4, _ZN2at6native25elementwise_kernel_helperILb1EZZZNS0_12prelu_kernelERNS_14TensorIteratorEENKUlvE_clEvENKUlvE0_clEvEUlffE_NS0_6memory8policies11unroll_baseILi512ESt5arrayIPcLm3EE23TrivialOffsetCalculatorILi2EjESD_ILi1EjENS7_12LoadWithCastILi2EEENS7_13StoreWithCastILi1EEELi32ELi1EEEEEvT0_T1_@rel32@lo+4
	s_addc_u32 s5, s5, _ZN2at6native25elementwise_kernel_helperILb1EZZZNS0_12prelu_kernelERNS_14TensorIteratorEENKUlvE_clEvENKUlvE0_clEvEUlffE_NS0_6memory8policies11unroll_baseILi512ESt5arrayIPcLm3EE23TrivialOffsetCalculatorILi2EjESD_ILi1EjENS7_12LoadWithCastILi2EEENS7_13StoreWithCastILi1EEELi32ELi1EEEEEvT0_T1_@rel32@hi+12
	s_swappc_b64 s[30:31], s[4:5]
	s_endpgm
	.section	.rodata,"a",@progbits
	.p2align	6, 0x0
	.amdhsa_kernel _ZN2at6native39vectorized_templated_elementwise_kernelILi8EZZZNS0_12prelu_kernelERNS_14TensorIteratorEENKUlvE_clEvENKUlvE0_clEvEUlffE_St5arrayIPcLm3EE23TrivialOffsetCalculatorILi2EjESA_ILi1EjENS0_6memory12LoadWithCastILi2EEENSD_13StoreWithCastILi1EEEN3c104HalfEJSJ_fEEEviT0_T1_T2_T3_T4_T5_
		.amdhsa_group_segment_fixed_size 0
		.amdhsa_private_segment_fixed_size 288
		.amdhsa_kernarg_size 312
		.amdhsa_user_sgpr_count 8
		.amdhsa_user_sgpr_private_segment_buffer 1
		.amdhsa_user_sgpr_dispatch_ptr 0
		.amdhsa_user_sgpr_queue_ptr 0
		.amdhsa_user_sgpr_kernarg_segment_ptr 1
		.amdhsa_user_sgpr_dispatch_id 0
		.amdhsa_user_sgpr_flat_scratch_init 1
		.amdhsa_user_sgpr_kernarg_preload_length 0
		.amdhsa_user_sgpr_kernarg_preload_offset 0
		.amdhsa_user_sgpr_private_segment_size 0
		.amdhsa_uses_dynamic_stack 0
		.amdhsa_system_sgpr_private_segment_wavefront_offset 1
		.amdhsa_system_sgpr_workgroup_id_x 1
		.amdhsa_system_sgpr_workgroup_id_y 0
		.amdhsa_system_sgpr_workgroup_id_z 0
		.amdhsa_system_sgpr_workgroup_info 0
		.amdhsa_system_vgpr_workitem_id 0
		.amdhsa_next_free_vgpr 118
		.amdhsa_next_free_sgpr 98
		.amdhsa_accum_offset 120
		.amdhsa_reserve_vcc 1
		.amdhsa_reserve_flat_scratch 1
		.amdhsa_float_round_mode_32 0
		.amdhsa_float_round_mode_16_64 0
		.amdhsa_float_denorm_mode_32 3
		.amdhsa_float_denorm_mode_16_64 3
		.amdhsa_dx10_clamp 1
		.amdhsa_ieee_mode 1
		.amdhsa_fp16_overflow 0
		.amdhsa_tg_split 0
		.amdhsa_exception_fp_ieee_invalid_op 0
		.amdhsa_exception_fp_denorm_src 0
		.amdhsa_exception_fp_ieee_div_zero 0
		.amdhsa_exception_fp_ieee_overflow 0
		.amdhsa_exception_fp_ieee_underflow 0
		.amdhsa_exception_fp_ieee_inexact 0
		.amdhsa_exception_int_div_zero 0
	.end_amdhsa_kernel
	.section	.text._ZN2at6native39vectorized_templated_elementwise_kernelILi8EZZZNS0_12prelu_kernelERNS_14TensorIteratorEENKUlvE_clEvENKUlvE0_clEvEUlffE_St5arrayIPcLm3EE23TrivialOffsetCalculatorILi2EjESA_ILi1EjENS0_6memory12LoadWithCastILi2EEENSD_13StoreWithCastILi1EEEN3c104HalfEJSJ_fEEEviT0_T1_T2_T3_T4_T5_,"axG",@progbits,_ZN2at6native39vectorized_templated_elementwise_kernelILi8EZZZNS0_12prelu_kernelERNS_14TensorIteratorEENKUlvE_clEvENKUlvE0_clEvEUlffE_St5arrayIPcLm3EE23TrivialOffsetCalculatorILi2EjESA_ILi1EjENS0_6memory12LoadWithCastILi2EEENSD_13StoreWithCastILi1EEEN3c104HalfEJSJ_fEEEviT0_T1_T2_T3_T4_T5_,comdat
.Lfunc_end30:
	.size	_ZN2at6native39vectorized_templated_elementwise_kernelILi8EZZZNS0_12prelu_kernelERNS_14TensorIteratorEENKUlvE_clEvENKUlvE0_clEvEUlffE_St5arrayIPcLm3EE23TrivialOffsetCalculatorILi2EjESA_ILi1EjENS0_6memory12LoadWithCastILi2EEENSD_13StoreWithCastILi1EEEN3c104HalfEJSJ_fEEEviT0_T1_T2_T3_T4_T5_, .Lfunc_end30-_ZN2at6native39vectorized_templated_elementwise_kernelILi8EZZZNS0_12prelu_kernelERNS_14TensorIteratorEENKUlvE_clEvENKUlvE0_clEvEUlffE_St5arrayIPcLm3EE23TrivialOffsetCalculatorILi2EjESA_ILi1EjENS0_6memory12LoadWithCastILi2EEENSD_13StoreWithCastILi1EEEN3c104HalfEJSJ_fEEEviT0_T1_T2_T3_T4_T5_
                                        ; -- End function
	.section	.AMDGPU.csdata,"",@progbits
; Kernel info:
; codeLenInByte = 1276
; NumSgprs: 104
; NumVgprs: 118
; NumAgprs: 0
; TotalNumVgprs: 118
; ScratchSize: 288
; MemoryBound: 0
; FloatMode: 240
; IeeeMode: 1
; LDSByteSize: 0 bytes/workgroup (compile time only)
; SGPRBlocks: 12
; VGPRBlocks: 14
; NumSGPRsForWavesPerEU: 104
; NumVGPRsForWavesPerEU: 118
; AccumOffset: 120
; Occupancy: 4
; WaveLimiterHint : 0
; COMPUTE_PGM_RSRC2:SCRATCH_EN: 1
; COMPUTE_PGM_RSRC2:USER_SGPR: 8
; COMPUTE_PGM_RSRC2:TRAP_HANDLER: 0
; COMPUTE_PGM_RSRC2:TGID_X_EN: 1
; COMPUTE_PGM_RSRC2:TGID_Y_EN: 0
; COMPUTE_PGM_RSRC2:TGID_Z_EN: 0
; COMPUTE_PGM_RSRC2:TIDIG_COMP_CNT: 0
; COMPUTE_PGM_RSRC3_GFX90A:ACCUM_OFFSET: 29
; COMPUTE_PGM_RSRC3_GFX90A:TG_SPLIT: 0
	.section	.text._ZN2at6native39vectorized_templated_elementwise_kernelILi4EZZZNS0_12prelu_kernelERNS_14TensorIteratorEENKUlvE_clEvENKUlvE0_clEvEUlffE_St5arrayIPcLm3EE23TrivialOffsetCalculatorILi2EjESA_ILi1EjENS0_6memory12LoadWithCastILi2EEENSD_13StoreWithCastILi1EEEN3c104HalfEJSJ_fEEEviT0_T1_T2_T3_T4_T5_,"axG",@progbits,_ZN2at6native39vectorized_templated_elementwise_kernelILi4EZZZNS0_12prelu_kernelERNS_14TensorIteratorEENKUlvE_clEvENKUlvE0_clEvEUlffE_St5arrayIPcLm3EE23TrivialOffsetCalculatorILi2EjESA_ILi1EjENS0_6memory12LoadWithCastILi2EEENSD_13StoreWithCastILi1EEEN3c104HalfEJSJ_fEEEviT0_T1_T2_T3_T4_T5_,comdat
	.globl	_ZN2at6native39vectorized_templated_elementwise_kernelILi4EZZZNS0_12prelu_kernelERNS_14TensorIteratorEENKUlvE_clEvENKUlvE0_clEvEUlffE_St5arrayIPcLm3EE23TrivialOffsetCalculatorILi2EjESA_ILi1EjENS0_6memory12LoadWithCastILi2EEENSD_13StoreWithCastILi1EEEN3c104HalfEJSJ_fEEEviT0_T1_T2_T3_T4_T5_ ; -- Begin function _ZN2at6native39vectorized_templated_elementwise_kernelILi4EZZZNS0_12prelu_kernelERNS_14TensorIteratorEENKUlvE_clEvENKUlvE0_clEvEUlffE_St5arrayIPcLm3EE23TrivialOffsetCalculatorILi2EjESA_ILi1EjENS0_6memory12LoadWithCastILi2EEENSD_13StoreWithCastILi1EEEN3c104HalfEJSJ_fEEEviT0_T1_T2_T3_T4_T5_
	.p2align	8
	.type	_ZN2at6native39vectorized_templated_elementwise_kernelILi4EZZZNS0_12prelu_kernelERNS_14TensorIteratorEENKUlvE_clEvENKUlvE0_clEvEUlffE_St5arrayIPcLm3EE23TrivialOffsetCalculatorILi2EjESA_ILi1EjENS0_6memory12LoadWithCastILi2EEENSD_13StoreWithCastILi1EEEN3c104HalfEJSJ_fEEEviT0_T1_T2_T3_T4_T5_,@function
_ZN2at6native39vectorized_templated_elementwise_kernelILi4EZZZNS0_12prelu_kernelERNS_14TensorIteratorEENKUlvE_clEvENKUlvE0_clEvEUlffE_St5arrayIPcLm3EE23TrivialOffsetCalculatorILi2EjESA_ILi1EjENS0_6memory12LoadWithCastILi2EEENSD_13StoreWithCastILi1EEEN3c104HalfEJSJ_fEEEviT0_T1_T2_T3_T4_T5_: ; @_ZN2at6native39vectorized_templated_elementwise_kernelILi4EZZZNS0_12prelu_kernelERNS_14TensorIteratorEENKUlvE_clEvENKUlvE0_clEvEUlffE_St5arrayIPcLm3EE23TrivialOffsetCalculatorILi2EjESA_ILi1EjENS0_6memory12LoadWithCastILi2EEENSD_13StoreWithCastILi1EEEN3c104HalfEJSJ_fEEEviT0_T1_T2_T3_T4_T5_
; %bb.0:
	s_add_u32 flat_scratch_lo, s6, s9
	s_addc_u32 flat_scratch_hi, s7, 0
	s_add_u32 s0, s0, s9
	s_mov_b32 s12, s8
	s_load_dword s8, s[4:5], 0x38
	s_load_dwordx2 s[6:7], s[4:5], 0x18
	s_load_dword s9, s[4:5], 0x0
	s_load_dwordx4 s[16:19], s[4:5], 0x8
	s_addc_u32 s1, s1, 0
	s_not_b32 s10, s12
	s_waitcnt lgkmcnt(0)
	s_add_i32 s8, s8, s10
	s_lshl_b32 s14, s8, 14
	s_sub_i32 s13, s9, s14
	s_cmpk_gt_i32 s13, 0x3fff
	s_mov_b64 s[8:9], -1
	s_mov_b32 s32, 0
	s_cbranch_scc1 .LBB31_3
; %bb.1:
	s_andn2_b64 vcc, exec, s[8:9]
	s_cbranch_vccz .LBB31_4
.LBB31_2:
	s_endpgm
.LBB31_3:
	s_ashr_i32 s15, s14, 31
	s_lshl_b64 s[8:9], s[14:15], 1
	s_add_u32 s10, s18, s8
	s_addc_u32 s11, s19, s9
	v_lshlrev_b32_e32 v1, 3, v0
	v_mov_b32_e32 v2, s11
	v_add_co_u32_e32 v48, vcc, s10, v1
	v_addc_co_u32_e32 v49, vcc, 0, v2, vcc
	s_lshl_b64 s[14:15], s[14:15], 2
	v_add_co_u32_e32 v2, vcc, 0x1000, v48
	s_add_u32 s14, s6, s14
	v_addc_co_u32_e32 v3, vcc, 0, v49, vcc
	global_load_dwordx2 v[34:35], v1, s[10:11]
	global_load_dwordx2 v[36:37], v[2:3], off
	s_addc_u32 s15, s7, s15
	v_lshlrev_b32_e32 v2, 4, v0
	v_mov_b32_e32 v3, s15
	v_add_co_u32_e32 v30, vcc, s14, v2
	v_addc_co_u32_e32 v31, vcc, 0, v3, vcc
	global_load_dwordx4 v[2:5], v2, s[14:15]
	s_movk_i32 s20, 0x2000
	v_add_co_u32_e32 v6, vcc, s20, v30
	v_addc_co_u32_e32 v7, vcc, 0, v31, vcc
	global_load_dwordx4 v[6:9], v[6:7], off
	s_movk_i32 s20, 0x6000
	v_or_b32_e32 v10, 0x400, v0
	v_add_co_u32_e32 v14, vcc, s20, v30
	v_lshlrev_b32_e32 v50, 3, v10
	v_or_b32_e32 v42, 0x800, v0
	v_or_b32_e32 v46, 0xc00, v0
	v_lshlrev_b32_e32 v10, 4, v10
	v_addc_co_u32_e32 v15, vcc, 0, v31, vcc
	global_load_dwordx4 v[14:17], v[14:15], off
	s_mov_b32 s20, 0xa000
	global_load_dwordx4 v[10:13], v10, s[14:15]
	v_lshlrev_b32_e32 v18, 4, v42
	v_add_co_u32_e32 v22, vcc, s20, v30
	v_lshlrev_b32_e32 v26, 4, v46
	global_load_dwordx4 v[18:21], v18, s[14:15]
	v_addc_co_u32_e32 v23, vcc, 0, v31, vcc
	global_load_dwordx4 v[26:29], v26, s[14:15]
	s_mov_b32 s14, 0xe000
	v_add_co_u32_e32 v38, vcc, s14, v30
	v_addc_co_u32_e32 v39, vcc, 0, v31, vcc
	global_load_dwordx4 v[22:25], v[22:23], off
	s_nop 0
	global_load_dwordx4 v[30:33], v[38:39], off
	global_load_dwordx2 v[40:41], v50, s[10:11]
	v_add_co_u32_e32 v38, vcc, 0x3000, v48
	v_addc_co_u32_e32 v39, vcc, 0, v49, vcc
	global_load_dwordx2 v[38:39], v[38:39], off
	v_lshlrev_b32_e32 v51, 3, v42
	global_load_dwordx2 v[42:43], v51, s[10:11]
	v_add_co_u32_e32 v44, vcc, 0x5000, v48
	v_addc_co_u32_e32 v45, vcc, 0, v49, vcc
	global_load_dwordx2 v[44:45], v[44:45], off
	v_lshlrev_b32_e32 v52, 3, v46
	global_load_dwordx2 v[46:47], v52, s[10:11]
	v_add_co_u32_e32 v48, vcc, 0x7000, v48
	v_addc_co_u32_e32 v49, vcc, 0, v49, vcc
	global_load_dwordx2 v[48:49], v[48:49], off
	s_mov_b32 s15, 0x5040100
	s_add_u32 s8, s16, s8
	s_addc_u32 s9, s17, s9
	s_movk_i32 s10, 0x1000
	s_movk_i32 s11, 0x3000
	;; [unrolled: 1-line block ×3, first 2 shown]
	s_waitcnt vmcnt(15)
	v_cmp_lt_f16_e32 vcc, 0, v34
	v_lshrrev_b32_e32 v53, 16, v34
	v_lshrrev_b32_e32 v54, 16, v35
	s_waitcnt vmcnt(14)
	v_lshrrev_b32_e32 v55, 16, v36
	v_lshrrev_b32_e32 v56, 16, v37
	s_waitcnt vmcnt(13)
	v_cvt_f16_f32_e32 v2, v2
	v_cvt_f16_f32_e32 v4, v4
	;; [unrolled: 1-line block ×4, first 2 shown]
	v_mul_f16_e32 v2, v34, v2
	v_cndmask_b32_e32 v2, v2, v34, vcc
	v_mul_f16_e32 v4, v35, v4
	v_cmp_lt_f16_e32 vcc, 0, v35
	s_waitcnt vmcnt(12)
	v_cvt_f16_f32_e32 v6, v6
	v_cndmask_b32_e32 v4, v4, v35, vcc
	v_mul_f16_e32 v3, v53, v3
	v_cmp_lt_f16_e32 vcc, 0, v53
	v_cvt_f16_f32_e32 v8, v8
	v_cndmask_b32_e32 v53, v3, v53, vcc
	v_mul_f16_e32 v3, v54, v5
	v_cmp_lt_f16_e32 vcc, 0, v54
	v_cndmask_b32_e32 v3, v3, v54, vcc
	v_perm_b32 v3, v3, v4, s15
	v_perm_b32 v2, v53, v2, s15
	v_cvt_f16_f32_e32 v7, v7
	global_store_dwordx2 v1, v[2:3], s[8:9]
	v_mul_f16_e32 v2, v36, v6
	v_cmp_lt_f16_e32 vcc, 0, v36
	v_cvt_f16_f32_e32 v9, v9
	v_cndmask_b32_e32 v2, v2, v36, vcc
	v_mul_f16_e32 v3, v37, v8
	v_cmp_lt_f16_e32 vcc, 0, v37
	v_cndmask_b32_e32 v3, v3, v37, vcc
	v_mov_b32_e32 v4, s9
	v_add_co_u32_e32 v1, vcc, s8, v1
	v_addc_co_u32_e32 v8, vcc, 0, v4, vcc
	s_waitcnt vmcnt(11)
	v_cvt_f16_f32_e32 v10, v10
	v_mul_f16_e32 v4, v55, v7
	v_cmp_lt_f16_e32 vcc, 0, v55
	v_cvt_f16_f32_e32 v11, v11
	v_cndmask_b32_e32 v4, v4, v55, vcc
	v_mul_f16_e32 v5, v56, v9
	v_cmp_lt_f16_e32 vcc, 0, v56
	v_cvt_f16_f32_e32 v12, v12
	v_cndmask_b32_e32 v5, v5, v56, vcc
	v_perm_b32 v2, v4, v2, s15
	v_add_co_u32_e32 v4, vcc, s10, v1
	v_cvt_f16_f32_e32 v13, v13
	v_perm_b32 v3, v5, v3, s15
	v_addc_co_u32_e32 v5, vcc, 0, v8, vcc
	s_waitcnt vmcnt(6)
	v_lshrrev_b32_e32 v57, 16, v40
	global_store_dwordx2 v[4:5], v[2:3], off
	v_mul_f16_e32 v2, v40, v10
	v_cmp_lt_f16_e32 vcc, 0, v40
	v_cndmask_b32_e32 v2, v2, v40, vcc
	v_mul_f16_e32 v3, v57, v11
	v_cmp_lt_f16_e32 vcc, 0, v57
	v_cvt_f16_f32_e32 v14, v14
	v_lshrrev_b32_e32 v58, 16, v41
	v_cndmask_b32_e32 v4, v3, v57, vcc
	v_mul_f16_e32 v3, v41, v12
	v_cmp_lt_f16_e32 vcc, 0, v41
	v_cvt_f16_f32_e32 v15, v15
	v_cndmask_b32_e32 v3, v3, v41, vcc
	v_mul_f16_e32 v5, v58, v13
	v_cmp_lt_f16_e32 vcc, 0, v58
	v_cvt_f16_f32_e32 v16, v16
	v_cndmask_b32_e32 v5, v5, v58, vcc
	v_cvt_f16_f32_e32 v17, v17
	v_perm_b32 v3, v5, v3, s15
	v_perm_b32 v2, v4, v2, s15
	s_waitcnt vmcnt(6)
	v_lshrrev_b32_e32 v59, 16, v38
	global_store_dwordx2 v50, v[2:3], s[8:9]
	v_mul_f16_e32 v2, v38, v14
	v_cmp_lt_f16_e32 vcc, 0, v38
	v_cndmask_b32_e32 v2, v2, v38, vcc
	v_mul_f16_e32 v3, v59, v15
	v_cmp_lt_f16_e32 vcc, 0, v59
	v_cvt_f16_f32_e32 v18, v18
	v_lshrrev_b32_e32 v34, 16, v39
	v_cndmask_b32_e32 v4, v3, v59, vcc
	v_mul_f16_e32 v3, v39, v16
	v_cmp_lt_f16_e32 vcc, 0, v39
	v_cvt_f16_f32_e32 v19, v19
	v_cndmask_b32_e32 v3, v3, v39, vcc
	v_mul_f16_e32 v5, v34, v17
	v_cmp_lt_f16_e32 vcc, 0, v34
	v_cvt_f16_f32_e32 v20, v20
	v_cndmask_b32_e32 v5, v5, v34, vcc
	v_perm_b32 v2, v4, v2, s15
	v_add_co_u32_e32 v4, vcc, s11, v1
	v_cvt_f16_f32_e32 v21, v21
	v_perm_b32 v3, v5, v3, s15
	v_addc_co_u32_e32 v5, vcc, 0, v8, vcc
	s_waitcnt vmcnt(6)
	v_lshrrev_b32_e32 v35, 16, v42
	global_store_dwordx2 v[4:5], v[2:3], off
	v_mul_f16_e32 v2, v42, v18
	v_cmp_lt_f16_e32 vcc, 0, v42
	v_cndmask_b32_e32 v2, v2, v42, vcc
	v_mul_f16_e32 v3, v35, v19
	v_cmp_lt_f16_e32 vcc, 0, v35
	v_cvt_f16_f32_e32 v22, v22
	v_lshrrev_b32_e32 v60, 16, v43
	v_cndmask_b32_e32 v4, v3, v35, vcc
	v_mul_f16_e32 v3, v43, v20
	v_cmp_lt_f16_e32 vcc, 0, v43
	v_cvt_f16_f32_e32 v23, v23
	v_cndmask_b32_e32 v3, v3, v43, vcc
	v_mul_f16_e32 v5, v60, v21
	v_cmp_lt_f16_e32 vcc, 0, v60
	v_cvt_f16_f32_e32 v24, v24
	v_cndmask_b32_e32 v5, v5, v60, vcc
	v_cvt_f16_f32_e32 v25, v25
	v_perm_b32 v3, v5, v3, s15
	v_perm_b32 v2, v4, v2, s15
	s_waitcnt vmcnt(6)
	v_lshrrev_b32_e32 v54, 16, v44
	global_store_dwordx2 v51, v[2:3], s[8:9]
	v_mul_f16_e32 v2, v44, v22
	v_cmp_lt_f16_e32 vcc, 0, v44
	v_cndmask_b32_e32 v2, v2, v44, vcc
	v_mul_f16_e32 v3, v54, v23
	v_cmp_lt_f16_e32 vcc, 0, v54
	v_cvt_f16_f32_e32 v26, v26
	v_lshrrev_b32_e32 v53, 16, v45
	v_cndmask_b32_e32 v4, v3, v54, vcc
	v_mul_f16_e32 v3, v45, v24
	v_cmp_lt_f16_e32 vcc, 0, v45
	v_cvt_f16_f32_e32 v27, v27
	v_cndmask_b32_e32 v3, v3, v45, vcc
	v_mul_f16_e32 v5, v53, v25
	v_cmp_lt_f16_e32 vcc, 0, v53
	v_cvt_f16_f32_e32 v28, v28
	v_cndmask_b32_e32 v5, v5, v53, vcc
	v_perm_b32 v2, v4, v2, s15
	v_add_co_u32_e32 v4, vcc, s14, v1
	v_cvt_f16_f32_e32 v29, v29
	v_perm_b32 v3, v5, v3, s15
	v_addc_co_u32_e32 v5, vcc, 0, v8, vcc
	s_waitcnt vmcnt(6)
	v_lshrrev_b32_e32 v61, 16, v46
	global_store_dwordx2 v[4:5], v[2:3], off
	v_mul_f16_e32 v2, v46, v26
	v_cmp_lt_f16_e32 vcc, 0, v46
	v_cndmask_b32_e32 v2, v2, v46, vcc
	v_mul_f16_e32 v3, v61, v27
	v_cmp_lt_f16_e32 vcc, 0, v61
	v_cvt_f16_f32_e32 v30, v30
	v_lshrrev_b32_e32 v62, 16, v47
	v_cndmask_b32_e32 v4, v3, v61, vcc
	v_mul_f16_e32 v3, v47, v28
	v_cmp_lt_f16_e32 vcc, 0, v47
	v_cvt_f16_f32_e32 v31, v31
	v_cndmask_b32_e32 v3, v3, v47, vcc
	v_mul_f16_e32 v5, v62, v29
	v_cmp_lt_f16_e32 vcc, 0, v62
	v_cvt_f16_f32_e32 v32, v32
	v_cndmask_b32_e32 v5, v5, v62, vcc
	v_cvt_f16_f32_e32 v33, v33
	v_perm_b32 v3, v5, v3, s15
	v_perm_b32 v2, v4, v2, s15
	s_waitcnt vmcnt(6)
	v_lshrrev_b32_e32 v63, 16, v48
	global_store_dwordx2 v52, v[2:3], s[8:9]
	v_mul_f16_e32 v2, v48, v30
	v_cmp_lt_f16_e32 vcc, 0, v48
	v_cndmask_b32_e32 v2, v2, v48, vcc
	v_mul_f16_e32 v3, v63, v31
	v_cmp_lt_f16_e32 vcc, 0, v63
	v_lshrrev_b32_e32 v6, 16, v49
	v_cndmask_b32_e32 v4, v3, v63, vcc
	v_mul_f16_e32 v3, v49, v32
	v_cmp_lt_f16_e32 vcc, 0, v49
	v_cndmask_b32_e32 v3, v3, v49, vcc
	v_mul_f16_e32 v5, v6, v33
	v_cmp_lt_f16_e32 vcc, 0, v6
	v_cndmask_b32_e32 v5, v5, v6, vcc
	v_perm_b32 v2, v4, v2, s15
	v_add_co_u32_e32 v4, vcc, 0x7000, v1
	v_perm_b32 v3, v5, v3, s15
	v_addc_co_u32_e32 v5, vcc, 0, v8, vcc
	global_store_dwordx2 v[4:5], v[2:3], off
	s_cbranch_execnz .LBB31_2
.LBB31_4:
	s_load_dword s10, s[4:5], 0x24
	s_load_dwordx4 s[20:23], s[4:5], 0x28
	s_add_u32 s8, s4, 56
	s_addc_u32 s9, s5, 0
	v_mov_b32_e32 v31, v0
	s_waitcnt lgkmcnt(0)
	v_lshrrev_b16_e64 v8, 8, s10
	v_mov_b32_e32 v0, s16
	v_mov_b32_e32 v1, s17
	;; [unrolled: 1-line block ×12, first 2 shown]
	s_getpc_b64 s[4:5]
	s_add_u32 s4, s4, _ZN2at6native25elementwise_kernel_helperILb1EZZZNS0_12prelu_kernelERNS_14TensorIteratorEENKUlvE_clEvENKUlvE0_clEvEUlffE_NS0_6memory8policies11unroll_baseILi512ESt5arrayIPcLm3EE23TrivialOffsetCalculatorILi2EjESD_ILi1EjENS7_12LoadWithCastILi2EEENS7_13StoreWithCastILi1EEELi32ELi1EEEEEvT0_T1_@rel32@lo+4
	s_addc_u32 s5, s5, _ZN2at6native25elementwise_kernel_helperILb1EZZZNS0_12prelu_kernelERNS_14TensorIteratorEENKUlvE_clEvENKUlvE0_clEvEUlffE_NS0_6memory8policies11unroll_baseILi512ESt5arrayIPcLm3EE23TrivialOffsetCalculatorILi2EjESD_ILi1EjENS7_12LoadWithCastILi2EEENS7_13StoreWithCastILi1EEELi32ELi1EEEEEvT0_T1_@rel32@hi+12
	s_swappc_b64 s[30:31], s[4:5]
	s_endpgm
	.section	.rodata,"a",@progbits
	.p2align	6, 0x0
	.amdhsa_kernel _ZN2at6native39vectorized_templated_elementwise_kernelILi4EZZZNS0_12prelu_kernelERNS_14TensorIteratorEENKUlvE_clEvENKUlvE0_clEvEUlffE_St5arrayIPcLm3EE23TrivialOffsetCalculatorILi2EjESA_ILi1EjENS0_6memory12LoadWithCastILi2EEENSD_13StoreWithCastILi1EEEN3c104HalfEJSJ_fEEEviT0_T1_T2_T3_T4_T5_
		.amdhsa_group_segment_fixed_size 0
		.amdhsa_private_segment_fixed_size 288
		.amdhsa_kernarg_size 312
		.amdhsa_user_sgpr_count 8
		.amdhsa_user_sgpr_private_segment_buffer 1
		.amdhsa_user_sgpr_dispatch_ptr 0
		.amdhsa_user_sgpr_queue_ptr 0
		.amdhsa_user_sgpr_kernarg_segment_ptr 1
		.amdhsa_user_sgpr_dispatch_id 0
		.amdhsa_user_sgpr_flat_scratch_init 1
		.amdhsa_user_sgpr_kernarg_preload_length 0
		.amdhsa_user_sgpr_kernarg_preload_offset 0
		.amdhsa_user_sgpr_private_segment_size 0
		.amdhsa_uses_dynamic_stack 0
		.amdhsa_system_sgpr_private_segment_wavefront_offset 1
		.amdhsa_system_sgpr_workgroup_id_x 1
		.amdhsa_system_sgpr_workgroup_id_y 0
		.amdhsa_system_sgpr_workgroup_id_z 0
		.amdhsa_system_sgpr_workgroup_info 0
		.amdhsa_system_vgpr_workitem_id 0
		.amdhsa_next_free_vgpr 118
		.amdhsa_next_free_sgpr 98
		.amdhsa_accum_offset 120
		.amdhsa_reserve_vcc 1
		.amdhsa_reserve_flat_scratch 1
		.amdhsa_float_round_mode_32 0
		.amdhsa_float_round_mode_16_64 0
		.amdhsa_float_denorm_mode_32 3
		.amdhsa_float_denorm_mode_16_64 3
		.amdhsa_dx10_clamp 1
		.amdhsa_ieee_mode 1
		.amdhsa_fp16_overflow 0
		.amdhsa_tg_split 0
		.amdhsa_exception_fp_ieee_invalid_op 0
		.amdhsa_exception_fp_denorm_src 0
		.amdhsa_exception_fp_ieee_div_zero 0
		.amdhsa_exception_fp_ieee_overflow 0
		.amdhsa_exception_fp_ieee_underflow 0
		.amdhsa_exception_fp_ieee_inexact 0
		.amdhsa_exception_int_div_zero 0
	.end_amdhsa_kernel
	.section	.text._ZN2at6native39vectorized_templated_elementwise_kernelILi4EZZZNS0_12prelu_kernelERNS_14TensorIteratorEENKUlvE_clEvENKUlvE0_clEvEUlffE_St5arrayIPcLm3EE23TrivialOffsetCalculatorILi2EjESA_ILi1EjENS0_6memory12LoadWithCastILi2EEENSD_13StoreWithCastILi1EEEN3c104HalfEJSJ_fEEEviT0_T1_T2_T3_T4_T5_,"axG",@progbits,_ZN2at6native39vectorized_templated_elementwise_kernelILi4EZZZNS0_12prelu_kernelERNS_14TensorIteratorEENKUlvE_clEvENKUlvE0_clEvEUlffE_St5arrayIPcLm3EE23TrivialOffsetCalculatorILi2EjESA_ILi1EjENS0_6memory12LoadWithCastILi2EEENSD_13StoreWithCastILi1EEEN3c104HalfEJSJ_fEEEviT0_T1_T2_T3_T4_T5_,comdat
.Lfunc_end31:
	.size	_ZN2at6native39vectorized_templated_elementwise_kernelILi4EZZZNS0_12prelu_kernelERNS_14TensorIteratorEENKUlvE_clEvENKUlvE0_clEvEUlffE_St5arrayIPcLm3EE23TrivialOffsetCalculatorILi2EjESA_ILi1EjENS0_6memory12LoadWithCastILi2EEENSD_13StoreWithCastILi1EEEN3c104HalfEJSJ_fEEEviT0_T1_T2_T3_T4_T5_, .Lfunc_end31-_ZN2at6native39vectorized_templated_elementwise_kernelILi4EZZZNS0_12prelu_kernelERNS_14TensorIteratorEENKUlvE_clEvENKUlvE0_clEvEUlffE_St5arrayIPcLm3EE23TrivialOffsetCalculatorILi2EjESA_ILi1EjENS0_6memory12LoadWithCastILi2EEENSD_13StoreWithCastILi1EEEN3c104HalfEJSJ_fEEEviT0_T1_T2_T3_T4_T5_
                                        ; -- End function
	.section	.AMDGPU.csdata,"",@progbits
; Kernel info:
; codeLenInByte = 1452
; NumSgprs: 104
; NumVgprs: 118
; NumAgprs: 0
; TotalNumVgprs: 118
; ScratchSize: 288
; MemoryBound: 0
; FloatMode: 240
; IeeeMode: 1
; LDSByteSize: 0 bytes/workgroup (compile time only)
; SGPRBlocks: 12
; VGPRBlocks: 14
; NumSGPRsForWavesPerEU: 104
; NumVGPRsForWavesPerEU: 118
; AccumOffset: 120
; Occupancy: 4
; WaveLimiterHint : 0
; COMPUTE_PGM_RSRC2:SCRATCH_EN: 1
; COMPUTE_PGM_RSRC2:USER_SGPR: 8
; COMPUTE_PGM_RSRC2:TRAP_HANDLER: 0
; COMPUTE_PGM_RSRC2:TGID_X_EN: 1
; COMPUTE_PGM_RSRC2:TGID_Y_EN: 0
; COMPUTE_PGM_RSRC2:TGID_Z_EN: 0
; COMPUTE_PGM_RSRC2:TIDIG_COMP_CNT: 0
; COMPUTE_PGM_RSRC3_GFX90A:ACCUM_OFFSET: 29
; COMPUTE_PGM_RSRC3_GFX90A:TG_SPLIT: 0
	.section	.text._ZN2at6native39vectorized_templated_elementwise_kernelILi2EZZZNS0_12prelu_kernelERNS_14TensorIteratorEENKUlvE_clEvENKUlvE0_clEvEUlffE_St5arrayIPcLm3EE23TrivialOffsetCalculatorILi2EjESA_ILi1EjENS0_6memory12LoadWithCastILi2EEENSD_13StoreWithCastILi1EEEN3c104HalfEJSJ_fEEEviT0_T1_T2_T3_T4_T5_,"axG",@progbits,_ZN2at6native39vectorized_templated_elementwise_kernelILi2EZZZNS0_12prelu_kernelERNS_14TensorIteratorEENKUlvE_clEvENKUlvE0_clEvEUlffE_St5arrayIPcLm3EE23TrivialOffsetCalculatorILi2EjESA_ILi1EjENS0_6memory12LoadWithCastILi2EEENSD_13StoreWithCastILi1EEEN3c104HalfEJSJ_fEEEviT0_T1_T2_T3_T4_T5_,comdat
	.globl	_ZN2at6native39vectorized_templated_elementwise_kernelILi2EZZZNS0_12prelu_kernelERNS_14TensorIteratorEENKUlvE_clEvENKUlvE0_clEvEUlffE_St5arrayIPcLm3EE23TrivialOffsetCalculatorILi2EjESA_ILi1EjENS0_6memory12LoadWithCastILi2EEENSD_13StoreWithCastILi1EEEN3c104HalfEJSJ_fEEEviT0_T1_T2_T3_T4_T5_ ; -- Begin function _ZN2at6native39vectorized_templated_elementwise_kernelILi2EZZZNS0_12prelu_kernelERNS_14TensorIteratorEENKUlvE_clEvENKUlvE0_clEvEUlffE_St5arrayIPcLm3EE23TrivialOffsetCalculatorILi2EjESA_ILi1EjENS0_6memory12LoadWithCastILi2EEENSD_13StoreWithCastILi1EEEN3c104HalfEJSJ_fEEEviT0_T1_T2_T3_T4_T5_
	.p2align	8
	.type	_ZN2at6native39vectorized_templated_elementwise_kernelILi2EZZZNS0_12prelu_kernelERNS_14TensorIteratorEENKUlvE_clEvENKUlvE0_clEvEUlffE_St5arrayIPcLm3EE23TrivialOffsetCalculatorILi2EjESA_ILi1EjENS0_6memory12LoadWithCastILi2EEENSD_13StoreWithCastILi1EEEN3c104HalfEJSJ_fEEEviT0_T1_T2_T3_T4_T5_,@function
_ZN2at6native39vectorized_templated_elementwise_kernelILi2EZZZNS0_12prelu_kernelERNS_14TensorIteratorEENKUlvE_clEvENKUlvE0_clEvEUlffE_St5arrayIPcLm3EE23TrivialOffsetCalculatorILi2EjESA_ILi1EjENS0_6memory12LoadWithCastILi2EEENSD_13StoreWithCastILi1EEEN3c104HalfEJSJ_fEEEviT0_T1_T2_T3_T4_T5_: ; @_ZN2at6native39vectorized_templated_elementwise_kernelILi2EZZZNS0_12prelu_kernelERNS_14TensorIteratorEENKUlvE_clEvENKUlvE0_clEvEUlffE_St5arrayIPcLm3EE23TrivialOffsetCalculatorILi2EjESA_ILi1EjENS0_6memory12LoadWithCastILi2EEENSD_13StoreWithCastILi1EEEN3c104HalfEJSJ_fEEEviT0_T1_T2_T3_T4_T5_
; %bb.0:
	s_add_u32 flat_scratch_lo, s6, s9
	s_addc_u32 flat_scratch_hi, s7, 0
	s_add_u32 s0, s0, s9
	s_mov_b32 s12, s8
	s_load_dword s8, s[4:5], 0x38
	s_load_dwordx2 s[6:7], s[4:5], 0x18
	s_load_dword s9, s[4:5], 0x0
	s_load_dwordx4 s[16:19], s[4:5], 0x8
	s_addc_u32 s1, s1, 0
	s_not_b32 s10, s12
	s_waitcnt lgkmcnt(0)
	s_add_i32 s8, s8, s10
	s_lshl_b32 s14, s8, 14
	s_sub_i32 s13, s9, s14
	s_cmpk_gt_i32 s13, 0x3fff
	s_mov_b64 s[8:9], -1
	s_mov_b32 s32, 0
	s_cbranch_scc1 .LBB32_3
; %bb.1:
	s_andn2_b64 vcc, exec, s[8:9]
	s_cbranch_vccz .LBB32_4
.LBB32_2:
	s_endpgm
.LBB32_3:
	s_ashr_i32 s15, s14, 31
	s_lshl_b64 s[8:9], s[14:15], 1
	s_add_u32 s10, s18, s8
	s_addc_u32 s11, s19, s9
	v_lshlrev_b32_e32 v1, 2, v0
	v_mov_b32_e32 v2, s11
	v_add_co_u32_e32 v38, vcc, s10, v1
	v_addc_co_u32_e32 v39, vcc, 0, v2, vcc
	s_movk_i32 s24, 0x1000
	v_add_co_u32_e32 v2, vcc, s24, v38
	v_addc_co_u32_e32 v3, vcc, 0, v39, vcc
	s_movk_i32 s23, 0x2000
	;; [unrolled: 3-line block ×3, first 2 shown]
	s_lshl_b64 s[14:15], s[14:15], 2
	v_add_co_u32_e32 v6, vcc, s21, v38
	s_add_u32 s14, s6, s14
	v_or_b32_e32 v8, 0x400, v0
	v_or_b32_e32 v14, 0x800, v0
	;; [unrolled: 1-line block ×3, first 2 shown]
	v_addc_co_u32_e32 v7, vcc, 0, v39, vcc
	s_addc_u32 s15, s7, s15
	v_lshlrev_b32_e32 v16, 3, v0
	v_lshlrev_b32_e32 v40, 2, v8
	;; [unrolled: 1-line block ×4, first 2 shown]
	global_load_dword v43, v1, s[10:11]
	global_load_dword v44, v1, s[10:11] offset:2048
	global_load_dword v45, v40, s[10:11]
	global_load_dword v46, v[2:3], off offset:2048
	global_load_dword v47, v41, s[10:11]
	global_load_dword v48, v[4:5], off offset:2048
	;; [unrolled: 2-line block ×3, first 2 shown]
	v_mov_b32_e32 v2, s15
	v_add_co_u32_e32 v32, vcc, s14, v16
	v_addc_co_u32_e32 v33, vcc, 0, v2, vcc
	v_add_co_u32_e32 v2, vcc, s24, v32
	v_or_b32_e32 v22, 0x1000, v0
	v_addc_co_u32_e32 v3, vcc, 0, v33, vcc
	v_lshlrev_b32_e32 v51, 2, v22
	v_add_co_u32_e32 v4, vcc, s21, v32
	global_load_dword v52, v51, s[10:11]
	v_lshlrev_b32_e32 v17, 3, v8
	v_addc_co_u32_e32 v5, vcc, 0, v33, vcc
	global_load_dwordx2 v[6:7], v16, s[14:15]
	global_load_dwordx2 v[8:9], v[2:3], off
	global_load_dwordx2 v[10:11], v17, s[14:15]
	global_load_dwordx2 v[12:13], v[4:5], off
	s_movk_i32 s20, 0x5000
	v_add_co_u32_e32 v2, vcc, s20, v32
	s_movk_i32 s25, 0x7000
	v_addc_co_u32_e32 v3, vcc, 0, v33, vcc
	v_lshlrev_b32_e32 v23, 3, v14
	v_add_co_u32_e32 v4, vcc, s25, v32
	v_lshlrev_b32_e32 v24, 3, v15
	v_addc_co_u32_e32 v5, vcc, 0, v33, vcc
	global_load_dwordx2 v[14:15], v23, s[14:15]
	global_load_dwordx2 v[16:17], v[2:3], off
	global_load_dwordx2 v[18:19], v24, s[14:15]
	global_load_dwordx2 v[20:21], v[4:5], off
	s_mov_b32 s26, 0x9000
	v_add_co_u32_e32 v2, vcc, s26, v32
	v_addc_co_u32_e32 v3, vcc, 0, v33, vcc
	s_mov_b32 s26, 0xb000
	v_add_co_u32_e32 v4, vcc, s26, v32
	v_or_b32_e32 v36, 0x1400, v0
	v_lshlrev_b32_e32 v30, 3, v22
	v_addc_co_u32_e32 v5, vcc, 0, v33, vcc
	s_mov_b32 s26, 0xd000
	v_or_b32_e32 v53, 0x1800, v0
	v_lshlrev_b32_e32 v31, 3, v36
	global_load_dwordx2 v[22:23], v30, s[14:15]
	global_load_dwordx2 v[24:25], v[2:3], off
	global_load_dwordx2 v[26:27], v31, s[14:15]
	global_load_dwordx2 v[28:29], v[4:5], off
	v_add_co_u32_e32 v2, vcc, s26, v32
	v_or_b32_e32 v54, 0x1c00, v0
	v_lshlrev_b32_e32 v34, 3, v53
	v_addc_co_u32_e32 v3, vcc, 0, v33, vcc
	s_mov_b32 s26, 0xf000
	global_load_dwordx2 v[4:5], v34, s[14:15]
	global_load_dwordx2 v[30:31], v[2:3], off
	v_lshlrev_b32_e32 v37, 3, v54
	v_add_co_u32_e32 v2, vcc, s26, v32
	v_addc_co_u32_e32 v3, vcc, 0, v33, vcc
	global_load_dwordx2 v[32:33], v37, s[14:15]
	global_load_dwordx2 v[34:35], v[2:3], off
	s_movk_i32 s22, 0x4000
	v_add_co_u32_e32 v2, vcc, s22, v38
	v_addc_co_u32_e32 v3, vcc, 0, v39, vcc
	v_lshlrev_b32_e32 v55, 2, v36
	v_add_co_u32_e32 v36, vcc, s20, v38
	v_addc_co_u32_e32 v37, vcc, 0, v39, vcc
	global_load_dword v56, v[2:3], off offset:2048
	global_load_dword v57, v55, s[10:11]
	global_load_dword v58, v[36:37], off offset:2048
	v_lshlrev_b32_e32 v36, 2, v53
	global_load_dword v37, v36, s[10:11]
	s_movk_i32 s14, 0x6000
	v_add_co_u32_e32 v2, vcc, s14, v38
	v_addc_co_u32_e32 v3, vcc, 0, v39, vcc
	v_lshlrev_b32_e32 v53, 2, v54
	global_load_dword v54, v[2:3], off offset:2048
	global_load_dword v59, v53, s[10:11]
	v_add_co_u32_e32 v2, vcc, s25, v38
	v_addc_co_u32_e32 v3, vcc, 0, v39, vcc
	global_load_dword v38, v[2:3], off offset:2048
	s_waitcnt vmcnt(29)
	v_lshrrev_b32_e32 v39, 16, v45
	v_cmp_lt_f16_e32 vcc, 0, v45
	s_mov_b32 s10, 0x5040100
	s_add_u32 s8, s16, s8
	s_addc_u32 s9, s17, s9
	v_lshrrev_b32_e32 v2, 16, v43
	s_waitcnt vmcnt(20)
	v_cvt_f16_f32_e32 v3, v10
	v_cvt_f16_f32_e32 v11, v11
	v_lshrrev_b32_e32 v10, 16, v44
	v_mul_f16_e32 v3, v45, v3
	v_cndmask_b32_e32 v3, v3, v45, vcc
	v_mul_f16_e32 v11, v39, v11
	v_cmp_lt_f16_e32 vcc, 0, v39
	v_cndmask_b32_e32 v11, v11, v39, vcc
	v_perm_b32 v3, v11, v3, s10
	global_store_dword v40, v3, s[8:9]
	v_cvt_f16_f32_e32 v3, v6
	v_cvt_f16_f32_e32 v6, v7
	v_cvt_f16_f32_e32 v7, v8
	v_cmp_lt_f16_e32 vcc, 0, v43
	v_mul_f16_e32 v3, v43, v3
	v_cvt_f16_f32_e32 v8, v9
	v_cndmask_b32_e32 v3, v3, v43, vcc
	v_mul_f16_e32 v6, v2, v6
	v_cmp_lt_f16_e32 vcc, 0, v2
	v_cndmask_b32_e32 v2, v6, v2, vcc
	v_perm_b32 v2, v2, v3, s10
	s_waitcnt vmcnt(20)
	v_cvt_f16_f32_e32 v9, v12
	global_store_dword v1, v2, s[8:9]
	v_mul_f16_e32 v2, v44, v7
	v_cmp_lt_f16_e32 vcc, 0, v44
	v_cndmask_b32_e32 v2, v2, v44, vcc
	v_mul_f16_e32 v3, v10, v8
	v_cmp_lt_f16_e32 vcc, 0, v10
	v_cndmask_b32_e32 v3, v3, v10, vcc
	v_cvt_f16_f32_e32 v12, v13
	v_perm_b32 v2, v3, v2, s10
	global_store_dword v1, v2, s[8:9] offset:2048
	v_mul_f16_e32 v2, v46, v9
	v_cmp_lt_f16_e32 vcc, 0, v46
	v_cndmask_b32_e32 v2, v2, v46, vcc
	v_mov_b32_e32 v3, s9
	v_add_co_u32_e32 v1, vcc, s8, v1
	v_lshrrev_b32_e32 v45, 16, v46
	v_addc_co_u32_e32 v9, vcc, 0, v3, vcc
	s_waitcnt vmcnt(21)
	v_cvt_f16_f32_e32 v13, v14
	v_mul_f16_e32 v3, v45, v12
	v_cmp_lt_f16_e32 vcc, 0, v45
	v_cvt_f16_f32_e32 v14, v15
	v_cndmask_b32_e32 v3, v3, v45, vcc
	v_perm_b32 v12, v3, v2, s10
	v_add_co_u32_e32 v2, vcc, s24, v1
	v_addc_co_u32_e32 v3, vcc, 0, v9, vcc
	v_lshrrev_b32_e32 v39, 16, v47
	s_waitcnt vmcnt(20)
	v_cvt_f16_f32_e32 v15, v16
	global_store_dword v[2:3], v12, off offset:2048
	v_mul_f16_e32 v2, v47, v13
	v_cmp_lt_f16_e32 vcc, 0, v47
	v_cvt_f16_f32_e32 v16, v17
	v_cndmask_b32_e32 v2, v2, v47, vcc
	v_mul_f16_e32 v3, v39, v14
	v_cmp_lt_f16_e32 vcc, 0, v39
	v_cndmask_b32_e32 v3, v3, v39, vcc
	v_perm_b32 v2, v3, v2, s10
	v_lshrrev_b32_e32 v11, 16, v48
	global_store_dword v41, v2, s[8:9]
	v_mul_f16_e32 v2, v48, v15
	v_cmp_lt_f16_e32 vcc, 0, v48
	s_waitcnt vmcnt(21)
	v_cvt_f16_f32_e32 v17, v18
	v_cndmask_b32_e32 v2, v2, v48, vcc
	v_mul_f16_e32 v3, v11, v16
	v_cmp_lt_f16_e32 vcc, 0, v11
	v_cvt_f16_f32_e32 v18, v19
	v_cndmask_b32_e32 v3, v3, v11, vcc
	v_perm_b32 v11, v3, v2, s10
	v_add_co_u32_e32 v2, vcc, s23, v1
	v_addc_co_u32_e32 v3, vcc, 0, v9, vcc
	v_lshrrev_b32_e32 v40, 16, v49
	s_waitcnt vmcnt(20)
	v_cvt_f16_f32_e32 v19, v20
	global_store_dword v[2:3], v11, off offset:2048
	v_mul_f16_e32 v2, v49, v17
	v_cmp_lt_f16_e32 vcc, 0, v49
	v_cvt_f16_f32_e32 v20, v21
	v_cndmask_b32_e32 v2, v2, v49, vcc
	v_mul_f16_e32 v3, v40, v18
	v_cmp_lt_f16_e32 vcc, 0, v40
	v_cndmask_b32_e32 v3, v3, v40, vcc
	v_perm_b32 v2, v3, v2, s10
	s_waitcnt vmcnt(20)
	v_cvt_f16_f32_e32 v21, v22
	v_cvt_f16_f32_e32 v22, v23
	s_waitcnt vmcnt(19)
	v_cvt_f16_f32_e32 v23, v24
	v_cvt_f16_f32_e32 v24, v25
	;; [unrolled: 3-line block ×7, first 2 shown]
	v_lshrrev_b32_e32 v35, 16, v50
	global_store_dword v42, v2, s[8:9]
	v_mul_f16_e32 v2, v50, v19
	v_cmp_lt_f16_e32 vcc, 0, v50
	v_cndmask_b32_e32 v2, v2, v50, vcc
	v_mul_f16_e32 v3, v35, v20
	v_cmp_lt_f16_e32 vcc, 0, v35
	v_cndmask_b32_e32 v3, v3, v35, vcc
	v_perm_b32 v11, v3, v2, s10
	v_add_co_u32_e32 v2, vcc, s21, v1
	v_addc_co_u32_e32 v3, vcc, 0, v9, vcc
	v_lshrrev_b32_e32 v43, 16, v52
	global_store_dword v[2:3], v11, off offset:2048
	v_mul_f16_e32 v2, v52, v21
	v_cmp_lt_f16_e32 vcc, 0, v52
	v_cndmask_b32_e32 v2, v2, v52, vcc
	v_mul_f16_e32 v3, v43, v22
	v_cmp_lt_f16_e32 vcc, 0, v43
	v_cndmask_b32_e32 v3, v3, v43, vcc
	v_perm_b32 v2, v3, v2, s10
	s_waitcnt vmcnt(14)
	v_lshrrev_b32_e32 v6, 16, v56
	global_store_dword v51, v2, s[8:9]
	v_mul_f16_e32 v2, v56, v23
	v_cmp_lt_f16_e32 vcc, 0, v56
	v_cndmask_b32_e32 v2, v2, v56, vcc
	v_mul_f16_e32 v3, v6, v24
	v_cmp_lt_f16_e32 vcc, 0, v6
	v_cndmask_b32_e32 v3, v3, v6, vcc
	v_perm_b32 v6, v3, v2, s10
	v_add_co_u32_e32 v2, vcc, s22, v1
	v_addc_co_u32_e32 v3, vcc, 0, v9, vcc
	s_waitcnt vmcnt(14)
	v_lshrrev_b32_e32 v60, 16, v57
	global_store_dword v[2:3], v6, off offset:2048
	v_mul_f16_e32 v2, v57, v25
	v_cmp_lt_f16_e32 vcc, 0, v57
	v_cndmask_b32_e32 v2, v2, v57, vcc
	v_mul_f16_e32 v3, v60, v26
	v_cmp_lt_f16_e32 vcc, 0, v60
	v_cndmask_b32_e32 v3, v3, v60, vcc
	v_perm_b32 v2, v3, v2, s10
	s_waitcnt vmcnt(14)
	v_lshrrev_b32_e32 v61, 16, v58
	global_store_dword v55, v2, s[8:9]
	v_mul_f16_e32 v2, v58, v27
	v_cmp_lt_f16_e32 vcc, 0, v58
	v_cvt_f16_f32_e32 v4, v4
	v_cndmask_b32_e32 v2, v2, v58, vcc
	v_mul_f16_e32 v3, v61, v28
	v_cmp_lt_f16_e32 vcc, 0, v61
	v_cvt_f16_f32_e32 v5, v5
	v_cndmask_b32_e32 v3, v3, v61, vcc
	v_perm_b32 v6, v3, v2, s10
	v_add_co_u32_e32 v2, vcc, s20, v1
	v_addc_co_u32_e32 v3, vcc, 0, v9, vcc
	s_waitcnt vmcnt(14)
	v_lshrrev_b32_e32 v7, 16, v37
	global_store_dword v[2:3], v6, off offset:2048
	v_mul_f16_e32 v2, v37, v4
	v_cmp_lt_f16_e32 vcc, 0, v37
	v_cndmask_b32_e32 v2, v2, v37, vcc
	v_mul_f16_e32 v3, v7, v5
	v_cmp_lt_f16_e32 vcc, 0, v7
	v_cndmask_b32_e32 v3, v3, v7, vcc
	v_perm_b32 v2, v3, v2, s10
	s_waitcnt vmcnt(14)
	v_lshrrev_b32_e32 v8, 16, v54
	global_store_dword v36, v2, s[8:9]
	v_mul_f16_e32 v2, v54, v29
	v_cmp_lt_f16_e32 vcc, 0, v54
	v_cndmask_b32_e32 v2, v2, v54, vcc
	v_mul_f16_e32 v3, v8, v30
	v_cmp_lt_f16_e32 vcc, 0, v8
	v_cndmask_b32_e32 v3, v3, v8, vcc
	v_perm_b32 v4, v3, v2, s10
	v_add_co_u32_e32 v2, vcc, s14, v1
	v_addc_co_u32_e32 v3, vcc, 0, v9, vcc
	s_waitcnt vmcnt(14)
	v_lshrrev_b32_e32 v10, 16, v59
	global_store_dword v[2:3], v4, off offset:2048
	v_mul_f16_e32 v2, v59, v31
	v_cmp_lt_f16_e32 vcc, 0, v59
	v_cndmask_b32_e32 v2, v2, v59, vcc
	v_mul_f16_e32 v3, v10, v32
	v_cmp_lt_f16_e32 vcc, 0, v10
	v_cndmask_b32_e32 v3, v3, v10, vcc
	v_perm_b32 v2, v3, v2, s10
	s_waitcnt vmcnt(14)
	v_lshrrev_b32_e32 v44, 16, v38
	global_store_dword v53, v2, s[8:9]
	v_mul_f16_e32 v2, v38, v33
	v_cmp_lt_f16_e32 vcc, 0, v38
	v_cndmask_b32_e32 v2, v2, v38, vcc
	v_mul_f16_e32 v3, v44, v34
	v_cmp_lt_f16_e32 vcc, 0, v44
	v_cndmask_b32_e32 v3, v3, v44, vcc
	v_perm_b32 v4, v3, v2, s10
	v_add_co_u32_e32 v2, vcc, 0x7000, v1
	v_addc_co_u32_e32 v3, vcc, 0, v9, vcc
	global_store_dword v[2:3], v4, off offset:2048
	s_cbranch_execnz .LBB32_2
.LBB32_4:
	s_load_dword s10, s[4:5], 0x24
	s_load_dwordx4 s[20:23], s[4:5], 0x28
	s_add_u32 s8, s4, 56
	s_addc_u32 s9, s5, 0
	v_mov_b32_e32 v31, v0
	s_waitcnt lgkmcnt(0)
	v_lshrrev_b16_e64 v8, 8, s10
	v_mov_b32_e32 v0, s16
	v_mov_b32_e32 v1, s17
	;; [unrolled: 1-line block ×12, first 2 shown]
	s_getpc_b64 s[4:5]
	s_add_u32 s4, s4, _ZN2at6native25elementwise_kernel_helperILb1EZZZNS0_12prelu_kernelERNS_14TensorIteratorEENKUlvE_clEvENKUlvE0_clEvEUlffE_NS0_6memory8policies11unroll_baseILi512ESt5arrayIPcLm3EE23TrivialOffsetCalculatorILi2EjESD_ILi1EjENS7_12LoadWithCastILi2EEENS7_13StoreWithCastILi1EEELi32ELi1EEEEEvT0_T1_@rel32@lo+4
	s_addc_u32 s5, s5, _ZN2at6native25elementwise_kernel_helperILb1EZZZNS0_12prelu_kernelERNS_14TensorIteratorEENKUlvE_clEvENKUlvE0_clEvEUlffE_NS0_6memory8policies11unroll_baseILi512ESt5arrayIPcLm3EE23TrivialOffsetCalculatorILi2EjESD_ILi1EjENS7_12LoadWithCastILi2EEENS7_13StoreWithCastILi1EEELi32ELi1EEEEEvT0_T1_@rel32@hi+12
	s_swappc_b64 s[30:31], s[4:5]
	s_endpgm
	.section	.rodata,"a",@progbits
	.p2align	6, 0x0
	.amdhsa_kernel _ZN2at6native39vectorized_templated_elementwise_kernelILi2EZZZNS0_12prelu_kernelERNS_14TensorIteratorEENKUlvE_clEvENKUlvE0_clEvEUlffE_St5arrayIPcLm3EE23TrivialOffsetCalculatorILi2EjESA_ILi1EjENS0_6memory12LoadWithCastILi2EEENSD_13StoreWithCastILi1EEEN3c104HalfEJSJ_fEEEviT0_T1_T2_T3_T4_T5_
		.amdhsa_group_segment_fixed_size 0
		.amdhsa_private_segment_fixed_size 288
		.amdhsa_kernarg_size 312
		.amdhsa_user_sgpr_count 8
		.amdhsa_user_sgpr_private_segment_buffer 1
		.amdhsa_user_sgpr_dispatch_ptr 0
		.amdhsa_user_sgpr_queue_ptr 0
		.amdhsa_user_sgpr_kernarg_segment_ptr 1
		.amdhsa_user_sgpr_dispatch_id 0
		.amdhsa_user_sgpr_flat_scratch_init 1
		.amdhsa_user_sgpr_kernarg_preload_length 0
		.amdhsa_user_sgpr_kernarg_preload_offset 0
		.amdhsa_user_sgpr_private_segment_size 0
		.amdhsa_uses_dynamic_stack 0
		.amdhsa_system_sgpr_private_segment_wavefront_offset 1
		.amdhsa_system_sgpr_workgroup_id_x 1
		.amdhsa_system_sgpr_workgroup_id_y 0
		.amdhsa_system_sgpr_workgroup_id_z 0
		.amdhsa_system_sgpr_workgroup_info 0
		.amdhsa_system_vgpr_workitem_id 0
		.amdhsa_next_free_vgpr 118
		.amdhsa_next_free_sgpr 98
		.amdhsa_accum_offset 120
		.amdhsa_reserve_vcc 1
		.amdhsa_reserve_flat_scratch 1
		.amdhsa_float_round_mode_32 0
		.amdhsa_float_round_mode_16_64 0
		.amdhsa_float_denorm_mode_32 3
		.amdhsa_float_denorm_mode_16_64 3
		.amdhsa_dx10_clamp 1
		.amdhsa_ieee_mode 1
		.amdhsa_fp16_overflow 0
		.amdhsa_tg_split 0
		.amdhsa_exception_fp_ieee_invalid_op 0
		.amdhsa_exception_fp_denorm_src 0
		.amdhsa_exception_fp_ieee_div_zero 0
		.amdhsa_exception_fp_ieee_overflow 0
		.amdhsa_exception_fp_ieee_underflow 0
		.amdhsa_exception_fp_ieee_inexact 0
		.amdhsa_exception_int_div_zero 0
	.end_amdhsa_kernel
	.section	.text._ZN2at6native39vectorized_templated_elementwise_kernelILi2EZZZNS0_12prelu_kernelERNS_14TensorIteratorEENKUlvE_clEvENKUlvE0_clEvEUlffE_St5arrayIPcLm3EE23TrivialOffsetCalculatorILi2EjESA_ILi1EjENS0_6memory12LoadWithCastILi2EEENSD_13StoreWithCastILi1EEEN3c104HalfEJSJ_fEEEviT0_T1_T2_T3_T4_T5_,"axG",@progbits,_ZN2at6native39vectorized_templated_elementwise_kernelILi2EZZZNS0_12prelu_kernelERNS_14TensorIteratorEENKUlvE_clEvENKUlvE0_clEvEUlffE_St5arrayIPcLm3EE23TrivialOffsetCalculatorILi2EjESA_ILi1EjENS0_6memory12LoadWithCastILi2EEENSD_13StoreWithCastILi1EEEN3c104HalfEJSJ_fEEEviT0_T1_T2_T3_T4_T5_,comdat
.Lfunc_end32:
	.size	_ZN2at6native39vectorized_templated_elementwise_kernelILi2EZZZNS0_12prelu_kernelERNS_14TensorIteratorEENKUlvE_clEvENKUlvE0_clEvEUlffE_St5arrayIPcLm3EE23TrivialOffsetCalculatorILi2EjESA_ILi1EjENS0_6memory12LoadWithCastILi2EEENSD_13StoreWithCastILi1EEEN3c104HalfEJSJ_fEEEviT0_T1_T2_T3_T4_T5_, .Lfunc_end32-_ZN2at6native39vectorized_templated_elementwise_kernelILi2EZZZNS0_12prelu_kernelERNS_14TensorIteratorEENKUlvE_clEvENKUlvE0_clEvEUlffE_St5arrayIPcLm3EE23TrivialOffsetCalculatorILi2EjESA_ILi1EjENS0_6memory12LoadWithCastILi2EEENSD_13StoreWithCastILi1EEEN3c104HalfEJSJ_fEEEviT0_T1_T2_T3_T4_T5_
                                        ; -- End function
	.section	.AMDGPU.csdata,"",@progbits
; Kernel info:
; codeLenInByte = 1832
; NumSgprs: 104
; NumVgprs: 118
; NumAgprs: 0
; TotalNumVgprs: 118
; ScratchSize: 288
; MemoryBound: 0
; FloatMode: 240
; IeeeMode: 1
; LDSByteSize: 0 bytes/workgroup (compile time only)
; SGPRBlocks: 12
; VGPRBlocks: 14
; NumSGPRsForWavesPerEU: 104
; NumVGPRsForWavesPerEU: 118
; AccumOffset: 120
; Occupancy: 4
; WaveLimiterHint : 0
; COMPUTE_PGM_RSRC2:SCRATCH_EN: 1
; COMPUTE_PGM_RSRC2:USER_SGPR: 8
; COMPUTE_PGM_RSRC2:TRAP_HANDLER: 0
; COMPUTE_PGM_RSRC2:TGID_X_EN: 1
; COMPUTE_PGM_RSRC2:TGID_Y_EN: 0
; COMPUTE_PGM_RSRC2:TGID_Z_EN: 0
; COMPUTE_PGM_RSRC2:TIDIG_COMP_CNT: 0
; COMPUTE_PGM_RSRC3_GFX90A:ACCUM_OFFSET: 29
; COMPUTE_PGM_RSRC3_GFX90A:TG_SPLIT: 0
	.section	.text._ZN2at6native32elementwise_kernel_manual_unrollILi128ELi4EZNS0_15gpu_kernel_implIZZZNS0_12prelu_kernelERNS_14TensorIteratorEENKUlvE_clEvENKUlvE0_clEvEUlffE_EEvRNS_18TensorIteratorBaseERKT_EUlibE_EEviT1_,"axG",@progbits,_ZN2at6native32elementwise_kernel_manual_unrollILi128ELi4EZNS0_15gpu_kernel_implIZZZNS0_12prelu_kernelERNS_14TensorIteratorEENKUlvE_clEvENKUlvE0_clEvEUlffE_EEvRNS_18TensorIteratorBaseERKT_EUlibE_EEviT1_,comdat
	.globl	_ZN2at6native32elementwise_kernel_manual_unrollILi128ELi4EZNS0_15gpu_kernel_implIZZZNS0_12prelu_kernelERNS_14TensorIteratorEENKUlvE_clEvENKUlvE0_clEvEUlffE_EEvRNS_18TensorIteratorBaseERKT_EUlibE_EEviT1_ ; -- Begin function _ZN2at6native32elementwise_kernel_manual_unrollILi128ELi4EZNS0_15gpu_kernel_implIZZZNS0_12prelu_kernelERNS_14TensorIteratorEENKUlvE_clEvENKUlvE0_clEvEUlffE_EEvRNS_18TensorIteratorBaseERKT_EUlibE_EEviT1_
	.p2align	8
	.type	_ZN2at6native32elementwise_kernel_manual_unrollILi128ELi4EZNS0_15gpu_kernel_implIZZZNS0_12prelu_kernelERNS_14TensorIteratorEENKUlvE_clEvENKUlvE0_clEvEUlffE_EEvRNS_18TensorIteratorBaseERKT_EUlibE_EEviT1_,@function
_ZN2at6native32elementwise_kernel_manual_unrollILi128ELi4EZNS0_15gpu_kernel_implIZZZNS0_12prelu_kernelERNS_14TensorIteratorEENKUlvE_clEvENKUlvE0_clEvEUlffE_EEvRNS_18TensorIteratorBaseERKT_EUlibE_EEviT1_: ; @_ZN2at6native32elementwise_kernel_manual_unrollILi128ELi4EZNS0_15gpu_kernel_implIZZZNS0_12prelu_kernelERNS_14TensorIteratorEENKUlvE_clEvENKUlvE0_clEvEUlffE_EEvRNS_18TensorIteratorBaseERKT_EUlibE_EEviT1_
; %bb.0:
	v_mov_b32_e32 v1, 0
	global_load_ushort v4, v1, s[4:5] offset:45
	global_load_sbyte v6, v1, s[4:5] offset:47
	s_load_dword s33, s[4:5], 0x0
	s_load_dwordx4 s[8:11], s[4:5], 0x8
	s_load_dwordx2 s[2:3], s[4:5], 0x18
	s_load_dwordx4 s[12:15], s[4:5], 0x20
	v_lshl_or_b32 v5, s6, 9, v0
	v_or_b32_e32 v0, 0x180, v5
	s_mov_b64 s[16:17], 0
	s_waitcnt lgkmcnt(0)
	v_cmp_le_i32_e32 vcc, s33, v0
	s_mov_b64 s[6:7], 0
	s_waitcnt vmcnt(1)
	v_lshrrev_b32_e32 v7, 8, v4
	s_and_saveexec_b64 s[0:1], vcc
	s_xor_b64 s[4:5], exec, s[0:1]
	s_cbranch_execz .LBB33_1544
; %bb.1:
	v_cmp_gt_i32_e32 vcc, s33, v5
	s_mov_b64 s[0:1], -1
	s_mov_b64 s[26:27], 0
	s_mov_b64 s[20:21], 0
	;; [unrolled: 1-line block ×3, first 2 shown]
	s_and_saveexec_b64 s[22:23], vcc
	s_cbranch_execz .LBB33_383
; %bb.2:
	v_mul_lo_u32 v0, v5, s13
	v_ashrrev_i32_e32 v1, 31, v0
	v_mov_b32_e32 v2, s11
	v_add_co_u32_e32 v0, vcc, s10, v0
	v_addc_co_u32_e32 v1, vcc, v2, v1, vcc
	v_mov_b32_e32 v2, 11
	v_cmp_lt_i16_sdwa s[0:1], v7, v2 src0_sel:BYTE_0 src1_sel:DWORD
	s_and_b64 vcc, exec, s[0:1]
	s_cbranch_vccnz .LBB33_9
; %bb.3:
	v_mov_b32_e32 v2, 25
	v_cmp_gt_i16_sdwa s[0:1], v7, v2 src0_sel:BYTE_0 src1_sel:DWORD
	s_and_b64 vcc, exec, s[0:1]
	s_cbranch_vccz .LBB33_18
; %bb.4:
	v_mov_b32_e32 v2, 28
	v_cmp_gt_i16_sdwa s[0:1], v7, v2 src0_sel:BYTE_0 src1_sel:DWORD
	s_and_b64 vcc, exec, s[0:1]
	s_cbranch_vccz .LBB33_28
	;; [unrolled: 5-line block ×4, first 2 shown]
; %bb.7:
	v_mov_b32_e32 v2, 46
	v_cmp_eq_u16_sdwa s[0:1], v7, v2 src0_sel:BYTE_0 src1_sel:DWORD
	s_and_b64 vcc, exec, s[0:1]
	s_cbranch_vccz .LBB33_37
; %bb.8:
	global_load_dword v2, v[0:1], off
	s_mov_b64 s[0:1], -1
	s_waitcnt vmcnt(0)
	v_lshlrev_b32_e32 v2, 16, v2
	s_branch .LBB33_39
.LBB33_9:
                                        ; implicit-def: $vgpr2
	s_mov_b64 s[0:1], 0
	s_cbranch_execnz .LBB33_105
.LBB33_10:
	s_andn2_b64 vcc, exec, s[0:1]
	s_cbranch_vccnz .LBB33_152
.LBB33_11:
	v_mul_lo_u32 v0, v5, s14
	v_ashrrev_i32_e32 v1, 31, v0
	v_mov_b32_e32 v3, s3
	v_add_co_u32_e32 v0, vcc, s2, v0
	v_addc_co_u32_e32 v1, vcc, v3, v1, vcc
	v_mov_b32_e32 v3, 11
	s_waitcnt vmcnt(0)
	v_cmp_lt_i16_sdwa s[0:1], v6, v3 src0_sel:BYTE_0 src1_sel:DWORD
	s_and_b64 vcc, exec, s[0:1]
	s_cbranch_vccnz .LBB33_19
; %bb.12:
	v_mov_b32_e32 v3, 25
	v_cmp_gt_i16_sdwa s[0:1], v6, v3 src0_sel:BYTE_0 src1_sel:DWORD
	s_and_b64 vcc, exec, s[0:1]
	s_cbranch_vccz .LBB33_29
; %bb.13:
	v_mov_b32_e32 v3, 28
	v_cmp_gt_i16_sdwa s[0:1], v6, v3 src0_sel:BYTE_0 src1_sel:DWORD
	s_and_b64 vcc, exec, s[0:1]
	s_cbranch_vccz .LBB33_32
	;; [unrolled: 5-line block ×4, first 2 shown]
; %bb.16:
	v_mov_b32_e32 v3, 46
	v_cmp_eq_u16_sdwa s[0:1], v6, v3 src0_sel:BYTE_0 src1_sel:DWORD
	s_mov_b64 s[6:7], 0
	s_and_b64 vcc, exec, s[0:1]
	s_cbranch_vccz .LBB33_153
; %bb.17:
	global_load_dword v3, v[0:1], off
	s_mov_b64 s[0:1], -1
	s_mov_b64 s[18:19], 0
	s_waitcnt vmcnt(0)
	v_lshlrev_b32_e32 v3, 16, v3
	s_branch .LBB33_155
.LBB33_18:
	s_mov_b64 s[0:1], 0
                                        ; implicit-def: $vgpr2
	s_cbranch_execnz .LBB33_70
	s_branch .LBB33_104
.LBB33_19:
	s_mov_b64 s[18:19], 0
                                        ; implicit-def: $vgpr3
	s_mov_b64 s[0:1], 0
	s_cbranch_execnz .LBB33_332
.LBB33_20:
	s_andn2_b64 vcc, exec, s[0:1]
	s_cbranch_vccnz .LBB33_380
.LBB33_21:
	s_waitcnt vmcnt(0)
	v_mul_f32_e32 v0, v2, v3
	v_cmp_lt_f32_e32 vcc, 0, v2
	v_cndmask_b32_e32 v2, v0, v2, vcc
	v_mul_lo_u32 v0, v5, s12
	v_ashrrev_i32_e32 v1, 31, v0
	v_mov_b32_e32 v3, s9
	v_add_co_u32_e32 v0, vcc, s8, v0
	v_addc_co_u32_e32 v1, vcc, v3, v1, vcc
	v_mov_b32_e32 v3, 11
	v_cmp_lt_i16_sdwa s[0:1], v4, v3 src0_sel:BYTE_0 src1_sel:DWORD
	s_and_b64 vcc, exec, s[0:1]
	s_cbranch_vccnz .LBB33_30
; %bb.22:
	v_mov_b32_e32 v3, 25
	v_cmp_gt_i16_sdwa s[0:1], v4, v3 src0_sel:BYTE_0 src1_sel:DWORD
	s_and_b64 vcc, exec, s[0:1]
	s_cbranch_vccz .LBB33_33
; %bb.23:
	v_mov_b32_e32 v3, 28
	v_cmp_gt_i16_sdwa s[0:1], v4, v3 src0_sel:BYTE_0 src1_sel:DWORD
	s_and_b64 vcc, exec, s[0:1]
	s_cbranch_vccz .LBB33_36
	;; [unrolled: 5-line block ×4, first 2 shown]
; %bb.26:
	v_mov_b32_e32 v3, 46
	v_cmp_eq_u16_sdwa s[6:7], v4, v3 src0_sel:BYTE_0 src1_sel:DWORD
	s_mov_b64 s[24:25], 0
	s_mov_b64 s[0:1], -1
	s_and_b64 vcc, exec, s[6:7]
	s_mov_b64 s[6:7], 0
	s_cbranch_vccz .LBB33_159
; %bb.27:
	v_bfe_u32 v3, v2, 16, 1
	s_movk_i32 s0, 0x7fff
	v_add3_u32 v3, v2, v3, s0
	v_lshrrev_b32_e32 v3, 16, v3
	v_mov_b32_e32 v8, 0x7fc0
	v_cmp_o_f32_e32 vcc, v2, v2
	v_cndmask_b32_e32 v3, v8, v3, vcc
	global_store_dword v[0:1], v3, off
	s_mov_b64 s[6:7], -1
	s_mov_b64 s[0:1], 0
	s_branch .LBB33_159
.LBB33_28:
	s_mov_b64 s[6:7], -1
	s_mov_b64 s[0:1], 0
                                        ; implicit-def: $vgpr2
	s_branch .LBB33_51
.LBB33_29:
	s_mov_b64 s[6:7], -1
	s_mov_b64 s[18:19], 0
	s_mov_b64 s[0:1], 0
                                        ; implicit-def: $vgpr3
	s_branch .LBB33_296
.LBB33_30:
	s_mov_b64 s[24:25], -1
	s_mov_b64 s[0:1], 0
	s_mov_b64 s[6:7], 0
	s_branch .LBB33_228
.LBB33_31:
	s_mov_b64 s[6:7], -1
	s_mov_b64 s[0:1], 0
                                        ; implicit-def: $vgpr2
	s_branch .LBB33_46
.LBB33_32:
	s_mov_b64 s[6:7], -1
	s_mov_b64 s[18:19], 0
	s_mov_b64 s[0:1], 0
                                        ; implicit-def: $vgpr3
	s_branch .LBB33_277
.LBB33_33:
	s_mov_b64 s[24:25], -1
	s_mov_b64 s[0:1], 0
	s_mov_b64 s[6:7], 0
	s_branch .LBB33_186
.LBB33_34:
	s_mov_b64 s[6:7], -1
	s_branch .LBB33_38
.LBB33_35:
	s_mov_b64 s[6:7], -1
	s_mov_b64 s[18:19], 0
	s_mov_b64 s[0:1], 0
                                        ; implicit-def: $vgpr3
	s_branch .LBB33_272
.LBB33_36:
	s_mov_b64 s[24:25], -1
	s_mov_b64 s[0:1], 0
	s_mov_b64 s[6:7], 0
	s_branch .LBB33_169
.LBB33_37:
	s_mov_b64 s[20:21], -1
.LBB33_38:
	s_mov_b64 s[0:1], 0
                                        ; implicit-def: $vgpr2
.LBB33_39:
	s_and_b64 vcc, exec, s[6:7]
	s_cbranch_vccz .LBB33_45
; %bb.40:
	v_mov_b32_e32 v2, 44
	v_cmp_eq_u16_sdwa s[6:7], v7, v2 src0_sel:BYTE_0 src1_sel:DWORD
	s_and_b64 vcc, exec, s[6:7]
	s_cbranch_vccz .LBB33_44
; %bb.41:
	global_load_ubyte v2, v[0:1], off
	s_movk_i32 s6, 0xff
	v_mov_b32_e32 v3, 0x7f800001
	v_mov_b32_e32 v8, 0x400000
	s_mov_b64 s[0:1], -1
	s_mov_b64 s[20:21], 0
	s_waitcnt vmcnt(0)
	v_lshlrev_b32_e32 v9, 23, v2
	v_cmp_ne_u32_e32 vcc, s6, v2
	v_cndmask_b32_e32 v3, v3, v9, vcc
	v_cmp_ne_u32_e32 vcc, 0, v2
	v_cndmask_b32_e32 v2, v8, v3, vcc
	s_branch .LBB33_45
.LBB33_42:
	s_mov_b64 s[6:7], -1
	s_mov_b64 s[18:19], 0
	s_branch .LBB33_154
.LBB33_43:
	s_mov_b64 s[24:25], -1
	s_mov_b64 s[0:1], 0
	s_mov_b64 s[6:7], 0
	s_branch .LBB33_165
.LBB33_44:
	s_mov_b64 s[20:21], -1
                                        ; implicit-def: $vgpr2
.LBB33_45:
	s_mov_b64 s[6:7], 0
.LBB33_46:
	s_and_b64 vcc, exec, s[6:7]
	s_cbranch_vccz .LBB33_50
; %bb.47:
	v_mov_b32_e32 v2, 29
	v_cmp_eq_u16_sdwa s[6:7], v7, v2 src0_sel:BYTE_0 src1_sel:DWORD
	s_and_b64 vcc, exec, s[6:7]
	s_cbranch_vccz .LBB33_49
; %bb.48:
	global_load_dwordx2 v[2:3], v[0:1], off
	s_mov_b64 s[0:1], -1
	s_mov_b64 s[20:21], 0
	s_mov_b64 s[6:7], 0
	s_waitcnt vmcnt(0)
	v_ffbh_u32_e32 v8, v3
	v_min_u32_e32 v8, 32, v8
	v_lshlrev_b64 v[2:3], v8, v[2:3]
	v_min_u32_e32 v2, 1, v2
	v_or_b32_e32 v2, v3, v2
	v_cvt_f32_u32_e32 v2, v2
	v_sub_u32_e32 v3, 32, v8
	v_ldexp_f32 v2, v2, v3
	s_branch .LBB33_51
.LBB33_49:
	s_mov_b64 s[20:21], -1
                                        ; implicit-def: $vgpr2
.LBB33_50:
	s_mov_b64 s[6:7], 0
.LBB33_51:
	s_and_b64 vcc, exec, s[6:7]
	s_cbranch_vccz .LBB33_69
; %bb.52:
	v_mov_b32_e32 v2, 27
	v_cmp_lt_i16_sdwa s[0:1], v7, v2 src0_sel:BYTE_0 src1_sel:DWORD
	s_and_b64 vcc, exec, s[0:1]
	s_cbranch_vccnz .LBB33_55
; %bb.53:
	v_cmp_gt_i16_sdwa s[0:1], v7, v2 src0_sel:BYTE_0 src1_sel:DWORD
	s_and_b64 vcc, exec, s[0:1]
	s_cbranch_vccz .LBB33_56
; %bb.54:
	global_load_dword v2, v[0:1], off
	s_mov_b64 s[0:1], 0
	s_waitcnt vmcnt(0)
	v_cvt_f32_u32_e32 v2, v2
	s_branch .LBB33_57
.LBB33_55:
	s_mov_b64 s[0:1], -1
                                        ; implicit-def: $vgpr2
	s_branch .LBB33_60
.LBB33_56:
	s_mov_b64 s[0:1], -1
                                        ; implicit-def: $vgpr2
.LBB33_57:
	s_andn2_b64 vcc, exec, s[0:1]
	s_cbranch_vccnz .LBB33_59
; %bb.58:
	global_load_ushort v2, v[0:1], off
	s_waitcnt vmcnt(0)
	v_cvt_f32_u32_e32 v2, v2
.LBB33_59:
	s_mov_b64 s[0:1], 0
.LBB33_60:
	s_andn2_b64 vcc, exec, s[0:1]
	s_cbranch_vccnz .LBB33_68
; %bb.61:
	global_load_ubyte v3, v[0:1], off
	s_movk_i32 s0, 0x7f
                                        ; implicit-def: $sgpr15
	s_waitcnt vmcnt(0)
	v_cmp_lt_i16_e32 vcc, s0, v3
	s_mov_b64 s[0:1], 0
	s_and_saveexec_b64 s[6:7], vcc
	s_xor_b64 s[6:7], exec, s[6:7]
	s_cbranch_execz .LBB33_81
; %bb.62:
	s_movk_i32 s0, 0x80
	v_cmp_eq_u16_e32 vcc, s0, v3
	s_mov_b64 s[0:1], -1
                                        ; implicit-def: $sgpr15
	s_and_saveexec_b64 s[18:19], vcc
; %bb.63:
	s_mov_b32 s15, 0x7f800001
	s_xor_b64 s[0:1], exec, -1
; %bb.64:
	s_or_b64 exec, exec, s[18:19]
	s_and_b64 s[0:1], s[0:1], exec
	s_or_saveexec_b64 s[6:7], s[6:7]
	v_mov_b32_e32 v2, s15
	s_xor_b64 exec, exec, s[6:7]
	s_cbranch_execnz .LBB33_82
.LBB33_65:
	s_or_b64 exec, exec, s[6:7]
	s_and_saveexec_b64 s[6:7], s[0:1]
	s_cbranch_execz .LBB33_67
.LBB33_66:
	v_lshlrev_b32_e32 v2, 24, v3
	v_and_b32_e32 v3, 0xffff, v3
	v_and_b32_e32 v8, 7, v3
	v_ffbh_u32_e32 v10, v8
	v_min_u32_e32 v10, 32, v10
	v_subrev_u32_e32 v11, 28, v10
	v_bfe_u32 v9, v3, 3, 4
	v_lshlrev_b32_e32 v3, v11, v3
	v_sub_u32_e32 v10, 29, v10
	v_and_b32_e32 v3, 7, v3
	v_cmp_eq_u32_e32 vcc, 0, v9
	v_cndmask_b32_e32 v9, v9, v10, vcc
	v_cndmask_b32_e32 v3, v8, v3, vcc
	v_mov_b32_e32 v8, 0x3b800000
	v_lshlrev_b32_e32 v3, 20, v3
	v_and_b32_e32 v2, 0x80000000, v2
	v_lshl_add_u32 v8, v9, 23, v8
	v_or3_b32 v2, v2, v8, v3
.LBB33_67:
	s_or_b64 exec, exec, s[6:7]
.LBB33_68:
	s_mov_b64 s[0:1], -1
.LBB33_69:
	s_branch .LBB33_104
.LBB33_70:
	v_mov_b32_e32 v2, 22
	v_cmp_gt_i16_sdwa s[6:7], v7, v2 src0_sel:BYTE_0 src1_sel:DWORD
	s_and_b64 vcc, exec, s[6:7]
	s_cbranch_vccz .LBB33_80
; %bb.71:
	v_mov_b32_e32 v2, 24
	v_cmp_lt_i16_sdwa s[0:1], v7, v2 src0_sel:BYTE_0 src1_sel:DWORD
	s_and_b64 vcc, exec, s[0:1]
	s_cbranch_vccnz .LBB33_83
; %bb.72:
	v_cmp_gt_i16_sdwa s[0:1], v7, v2 src0_sel:BYTE_0 src1_sel:DWORD
	s_and_b64 vcc, exec, s[0:1]
	s_cbranch_vccz .LBB33_84
; %bb.73:
	global_load_ubyte v3, v[0:1], off
	s_movk_i32 s0, 0x7f
                                        ; implicit-def: $sgpr15
	s_waitcnt vmcnt(0)
	v_cmp_lt_i16_e32 vcc, s0, v3
	s_mov_b64 s[0:1], 0
	s_and_saveexec_b64 s[6:7], vcc
	s_xor_b64 s[6:7], exec, s[6:7]
	s_cbranch_execz .LBB33_96
; %bb.74:
	s_movk_i32 s0, 0x80
	v_cmp_eq_u16_e32 vcc, s0, v3
	s_mov_b64 s[0:1], -1
                                        ; implicit-def: $sgpr15
	s_and_saveexec_b64 s[18:19], vcc
; %bb.75:
	s_mov_b32 s15, 0x7f800001
	s_xor_b64 s[0:1], exec, -1
; %bb.76:
	s_or_b64 exec, exec, s[18:19]
	s_and_b64 s[0:1], s[0:1], exec
	s_or_saveexec_b64 s[6:7], s[6:7]
	v_mov_b32_e32 v2, s15
	s_xor_b64 exec, exec, s[6:7]
	s_cbranch_execnz .LBB33_97
.LBB33_77:
	s_or_b64 exec, exec, s[6:7]
	s_and_saveexec_b64 s[6:7], s[0:1]
	s_cbranch_execz .LBB33_79
.LBB33_78:
	v_lshlrev_b32_e32 v2, 24, v3
	v_and_b32_e32 v3, 0xffff, v3
	v_and_b32_e32 v8, 3, v3
	v_ffbh_u32_e32 v10, v8
	v_min_u32_e32 v10, 32, v10
	v_subrev_u32_e32 v11, 29, v10
	v_bfe_u32 v9, v3, 2, 5
	v_lshlrev_b32_e32 v3, v11, v3
	v_sub_u32_e32 v10, 30, v10
	v_and_b32_e32 v3, 3, v3
	v_cmp_eq_u32_e32 vcc, 0, v9
	v_cndmask_b32_e32 v9, v9, v10, vcc
	v_cndmask_b32_e32 v3, v8, v3, vcc
	v_mov_b32_e32 v8, 0x37800000
	v_lshlrev_b32_e32 v3, 21, v3
	v_and_b32_e32 v2, 0x80000000, v2
	v_lshl_add_u32 v8, v9, 23, v8
	v_or3_b32 v2, v2, v8, v3
.LBB33_79:
	s_or_b64 exec, exec, s[6:7]
	s_mov_b64 s[0:1], 0
	s_branch .LBB33_85
.LBB33_80:
	s_mov_b64 s[6:7], -1
                                        ; implicit-def: $vgpr2
	s_branch .LBB33_91
.LBB33_81:
	s_or_saveexec_b64 s[6:7], s[6:7]
	v_mov_b32_e32 v2, s15
	s_xor_b64 exec, exec, s[6:7]
	s_cbranch_execz .LBB33_65
.LBB33_82:
	v_cmp_ne_u16_e32 vcc, 0, v3
	s_andn2_b64 s[0:1], s[0:1], exec
	s_and_b64 s[18:19], vcc, exec
	v_mov_b32_e32 v2, 0
	s_or_b64 s[0:1], s[0:1], s[18:19]
	s_or_b64 exec, exec, s[6:7]
	s_and_saveexec_b64 s[6:7], s[0:1]
	s_cbranch_execnz .LBB33_66
	s_branch .LBB33_67
.LBB33_83:
	s_mov_b64 s[0:1], -1
                                        ; implicit-def: $vgpr2
	s_branch .LBB33_88
.LBB33_84:
	s_mov_b64 s[0:1], -1
                                        ; implicit-def: $vgpr2
.LBB33_85:
	s_and_b64 vcc, exec, s[0:1]
	s_cbranch_vccz .LBB33_87
; %bb.86:
	global_load_ubyte v2, v[0:1], off
	s_mov_b32 s0, 0x7f800000
	s_waitcnt vmcnt(0)
	v_lshlrev_b32_e32 v2, 24, v2
	v_and_b32_e32 v3, 0x7f000000, v2
	v_ffbh_u32_e32 v8, v3
	v_min_u32_e32 v8, 32, v8
	v_sub_u32_e64 v8, v8, 4 clamp
	v_lshlrev_b32_e32 v10, v8, v3
	v_lshlrev_b32_e32 v8, 23, v8
	v_lshrrev_b32_e32 v10, 4, v10
	v_add_u32_e32 v9, 0x1000000, v3
	v_sub_u32_e32 v8, v10, v8
	v_ashrrev_i32_e32 v9, 8, v9
	v_add_u32_e32 v8, 0x3c000000, v8
	v_and_or_b32 v8, v9, s0, v8
	v_cmp_ne_u32_e32 vcc, 0, v3
	v_cndmask_b32_e32 v3, 0, v8, vcc
	s_brev_b32 s0, 1
	v_and_or_b32 v2, v2, s0, v3
.LBB33_87:
	s_mov_b64 s[0:1], 0
.LBB33_88:
	s_andn2_b64 vcc, exec, s[0:1]
	s_cbranch_vccnz .LBB33_90
; %bb.89:
	global_load_ubyte v2, v[0:1], off
	s_movk_i32 s0, 0x7f00
	s_brev_b32 s1, 16
	s_waitcnt vmcnt(0)
	v_lshlrev_b16_e32 v3, 8, v2
	v_lshlrev_b32_e32 v2, 25, v2
	v_lshrrev_b32_e32 v8, 4, v2
	v_and_or_b32 v9, v3, s0, 0.5
	v_or_b32_e32 v8, 0x70000000, v8
	v_add_f32_e32 v9, -0.5, v9
	v_mul_f32_e32 v8, 0x7800000, v8
	v_cmp_gt_u32_e32 vcc, s1, v2
	v_bfe_i32 v3, v3, 0, 16
	v_cndmask_b32_e32 v2, v8, v9, vcc
	s_brev_b32 s0, 1
	v_and_or_b32 v2, v3, s0, v2
.LBB33_90:
	s_mov_b64 s[6:7], 0
	s_mov_b64 s[0:1], -1
.LBB33_91:
	s_andn2_b64 vcc, exec, s[6:7]
	s_cbranch_vccnz .LBB33_104
; %bb.92:
	v_mov_b32_e32 v2, 14
	v_cmp_gt_i16_sdwa s[6:7], v7, v2 src0_sel:BYTE_0 src1_sel:DWORD
	s_and_b64 vcc, exec, s[6:7]
	s_cbranch_vccz .LBB33_95
; %bb.93:
	v_mov_b32_e32 v2, 15
	v_cmp_eq_u16_sdwa s[6:7], v7, v2 src0_sel:BYTE_0 src1_sel:DWORD
	s_and_b64 vcc, exec, s[6:7]
	s_cbranch_vccz .LBB33_98
; %bb.94:
	global_load_ushort v2, v[0:1], off
	s_mov_b64 s[0:1], -1
	s_mov_b64 s[20:21], 0
	s_waitcnt vmcnt(0)
	v_lshlrev_b32_e32 v2, 16, v2
	s_branch .LBB33_99
.LBB33_95:
	s_mov_b64 s[6:7], -1
                                        ; implicit-def: $vgpr2
	s_branch .LBB33_100
.LBB33_96:
	s_or_saveexec_b64 s[6:7], s[6:7]
	v_mov_b32_e32 v2, s15
	s_xor_b64 exec, exec, s[6:7]
	s_cbranch_execz .LBB33_77
.LBB33_97:
	v_cmp_ne_u16_e32 vcc, 0, v3
	s_andn2_b64 s[0:1], s[0:1], exec
	s_and_b64 s[18:19], vcc, exec
	v_mov_b32_e32 v2, 0
	s_or_b64 s[0:1], s[0:1], s[18:19]
	s_or_b64 exec, exec, s[6:7]
	s_and_saveexec_b64 s[6:7], s[0:1]
	s_cbranch_execnz .LBB33_78
	s_branch .LBB33_79
.LBB33_98:
	s_mov_b64 s[20:21], -1
                                        ; implicit-def: $vgpr2
.LBB33_99:
	s_mov_b64 s[6:7], 0
.LBB33_100:
	s_and_b64 vcc, exec, s[6:7]
	s_cbranch_vccz .LBB33_104
; %bb.101:
	v_mov_b32_e32 v2, 11
	v_cmp_eq_u16_sdwa s[6:7], v7, v2 src0_sel:BYTE_0 src1_sel:DWORD
	s_and_b64 vcc, exec, s[6:7]
	s_cbranch_vccz .LBB33_103
; %bb.102:
	global_load_ubyte v2, v[0:1], off
	s_mov_b64 s[0:1], -1
	s_mov_b64 s[20:21], 0
	s_waitcnt vmcnt(0)
	v_cmp_ne_u16_e32 vcc, 0, v2
	v_cndmask_b32_e64 v2, 0, 1.0, vcc
	s_branch .LBB33_104
.LBB33_103:
	s_mov_b64 s[20:21], -1
                                        ; implicit-def: $vgpr2
.LBB33_104:
	s_branch .LBB33_10
.LBB33_105:
	v_mov_b32_e32 v2, 5
	v_cmp_lt_i16_sdwa s[0:1], v7, v2 src0_sel:BYTE_0 src1_sel:DWORD
	s_and_b64 vcc, exec, s[0:1]
	s_cbranch_vccnz .LBB33_110
; %bb.106:
	v_mov_b32_e32 v2, 8
	v_cmp_lt_i16_sdwa s[0:1], v7, v2 src0_sel:BYTE_0 src1_sel:DWORD
	s_and_b64 vcc, exec, s[0:1]
	s_cbranch_vccnz .LBB33_111
; %bb.107:
	;; [unrolled: 5-line block ×3, first 2 shown]
	v_cmp_gt_i16_sdwa s[0:1], v7, v2 src0_sel:BYTE_0 src1_sel:DWORD
	s_and_b64 vcc, exec, s[0:1]
	s_cbranch_vccz .LBB33_113
; %bb.109:
	global_load_dwordx2 v[2:3], v[0:1], off
	s_mov_b64 s[0:1], 0
	s_waitcnt vmcnt(0)
	v_cvt_f32_f64_e32 v2, v[2:3]
	s_branch .LBB33_114
.LBB33_110:
                                        ; implicit-def: $vgpr2
	s_branch .LBB33_132
.LBB33_111:
	s_mov_b64 s[0:1], -1
                                        ; implicit-def: $vgpr2
	s_branch .LBB33_120
.LBB33_112:
	s_mov_b64 s[0:1], -1
                                        ; implicit-def: $vgpr2
	s_branch .LBB33_117
.LBB33_113:
	s_mov_b64 s[0:1], -1
                                        ; implicit-def: $vgpr2
.LBB33_114:
	s_andn2_b64 vcc, exec, s[0:1]
	s_cbranch_vccnz .LBB33_116
; %bb.115:
	global_load_dword v2, v[0:1], off
.LBB33_116:
	s_mov_b64 s[0:1], 0
.LBB33_117:
	s_andn2_b64 vcc, exec, s[0:1]
	s_cbranch_vccnz .LBB33_119
; %bb.118:
	global_load_dword v2, v[0:1], off
	s_waitcnt vmcnt(0)
	v_cvt_f32_f16_e32 v2, v2
.LBB33_119:
	s_mov_b64 s[0:1], 0
.LBB33_120:
	s_andn2_b64 vcc, exec, s[0:1]
	s_cbranch_vccnz .LBB33_131
; %bb.121:
	s_waitcnt vmcnt(0)
	v_mov_b32_e32 v2, 6
	v_cmp_lt_i16_sdwa s[0:1], v7, v2 src0_sel:BYTE_0 src1_sel:DWORD
	s_and_b64 vcc, exec, s[0:1]
	s_cbranch_vccnz .LBB33_124
; %bb.122:
	v_cmp_gt_i16_sdwa s[0:1], v7, v2 src0_sel:BYTE_0 src1_sel:DWORD
	s_and_b64 vcc, exec, s[0:1]
	s_cbranch_vccz .LBB33_125
; %bb.123:
	global_load_dwordx2 v[2:3], v[0:1], off
	s_mov_b64 s[0:1], 0
	s_waitcnt vmcnt(0)
	v_cvt_f32_f64_e32 v2, v[2:3]
	s_branch .LBB33_126
.LBB33_124:
	s_mov_b64 s[0:1], -1
                                        ; implicit-def: $vgpr2
	s_branch .LBB33_129
.LBB33_125:
	s_mov_b64 s[0:1], -1
                                        ; implicit-def: $vgpr2
.LBB33_126:
	s_andn2_b64 vcc, exec, s[0:1]
	s_cbranch_vccnz .LBB33_128
; %bb.127:
	global_load_dword v2, v[0:1], off
.LBB33_128:
	s_mov_b64 s[0:1], 0
.LBB33_129:
	s_andn2_b64 vcc, exec, s[0:1]
	s_cbranch_vccnz .LBB33_131
; %bb.130:
	global_load_ushort v2, v[0:1], off
	s_waitcnt vmcnt(0)
	v_cvt_f32_f16_e32 v2, v2
.LBB33_131:
	s_cbranch_execnz .LBB33_151
.LBB33_132:
	s_waitcnt vmcnt(0)
	v_mov_b32_e32 v2, 2
	v_cmp_lt_i16_sdwa s[0:1], v7, v2 src0_sel:BYTE_0 src1_sel:DWORD
	s_and_b64 vcc, exec, s[0:1]
	s_cbranch_vccnz .LBB33_136
; %bb.133:
	v_mov_b32_e32 v2, 3
	v_cmp_lt_i16_sdwa s[0:1], v7, v2 src0_sel:BYTE_0 src1_sel:DWORD
	s_and_b64 vcc, exec, s[0:1]
	s_cbranch_vccnz .LBB33_137
; %bb.134:
	v_cmp_gt_i16_sdwa s[0:1], v7, v2 src0_sel:BYTE_0 src1_sel:DWORD
	s_and_b64 vcc, exec, s[0:1]
	s_cbranch_vccz .LBB33_138
; %bb.135:
	global_load_dwordx2 v[2:3], v[0:1], off
	s_mov_b64 s[0:1], 0
	s_waitcnt vmcnt(0)
	v_xor_b32_e32 v9, v2, v3
	v_ffbh_i32_e32 v8, v3
	v_ashrrev_i32_e32 v9, 31, v9
	v_add_u32_e32 v8, -1, v8
	v_add_u32_e32 v9, 32, v9
	v_min_u32_e32 v8, v8, v9
	v_lshlrev_b64 v[2:3], v8, v[2:3]
	v_min_u32_e32 v2, 1, v2
	v_or_b32_e32 v2, v3, v2
	v_cvt_f32_i32_e32 v2, v2
	v_sub_u32_e32 v3, 32, v8
	v_ldexp_f32 v2, v2, v3
	s_branch .LBB33_139
.LBB33_136:
	s_mov_b64 s[0:1], -1
                                        ; implicit-def: $vgpr2
	s_branch .LBB33_145
.LBB33_137:
	s_mov_b64 s[0:1], -1
                                        ; implicit-def: $vgpr2
	s_branch .LBB33_142
.LBB33_138:
	s_mov_b64 s[0:1], -1
                                        ; implicit-def: $vgpr2
.LBB33_139:
	s_andn2_b64 vcc, exec, s[0:1]
	s_cbranch_vccnz .LBB33_141
; %bb.140:
	global_load_dword v2, v[0:1], off
	s_waitcnt vmcnt(0)
	v_cvt_f32_i32_e32 v2, v2
.LBB33_141:
	s_mov_b64 s[0:1], 0
.LBB33_142:
	s_andn2_b64 vcc, exec, s[0:1]
	s_cbranch_vccnz .LBB33_144
; %bb.143:
	global_load_sshort v2, v[0:1], off
	s_waitcnt vmcnt(0)
	v_cvt_f32_i32_e32 v2, v2
.LBB33_144:
	s_mov_b64 s[0:1], 0
.LBB33_145:
	s_andn2_b64 vcc, exec, s[0:1]
	s_cbranch_vccnz .LBB33_151
; %bb.146:
	v_mov_b32_e32 v2, 0
	v_cmp_gt_i16_sdwa s[0:1], v7, v2 src0_sel:BYTE_0 src1_sel:DWORD
	s_and_b64 vcc, exec, s[0:1]
	s_cbranch_vccz .LBB33_148
; %bb.147:
	global_load_sbyte v2, v[0:1], off
	s_mov_b64 s[0:1], 0
	s_waitcnt vmcnt(0)
	v_cvt_f32_i32_e32 v2, v2
	s_branch .LBB33_149
.LBB33_148:
	s_mov_b64 s[0:1], -1
                                        ; implicit-def: $vgpr2
.LBB33_149:
	s_andn2_b64 vcc, exec, s[0:1]
	s_cbranch_vccnz .LBB33_151
; %bb.150:
	global_load_ubyte v0, v[0:1], off
	s_waitcnt vmcnt(0)
	v_cvt_f32_ubyte0_e32 v2, v0
.LBB33_151:
	s_branch .LBB33_11
.LBB33_152:
	s_mov_b64 s[0:1], 0
	s_mov_b64 s[18:19], 0
	s_branch .LBB33_381
.LBB33_153:
	s_mov_b64 s[18:19], -1
.LBB33_154:
	s_mov_b64 s[0:1], 0
                                        ; implicit-def: $vgpr3
.LBB33_155:
	s_and_b64 vcc, exec, s[6:7]
	s_cbranch_vccz .LBB33_271
; %bb.156:
	v_mov_b32_e32 v3, 44
	v_cmp_eq_u16_sdwa s[6:7], v6, v3 src0_sel:BYTE_0 src1_sel:DWORD
	s_and_b64 vcc, exec, s[6:7]
	s_cbranch_vccz .LBB33_270
; %bb.157:
	global_load_ubyte v3, v[0:1], off
	s_movk_i32 s6, 0xff
	v_mov_b32_e32 v8, 0x7f800001
	v_mov_b32_e32 v9, 0x400000
	s_mov_b64 s[0:1], -1
	s_mov_b64 s[18:19], 0
	s_waitcnt vmcnt(0)
	v_lshlrev_b32_e32 v10, 23, v3
	v_cmp_ne_u32_e32 vcc, s6, v3
	v_cndmask_b32_e32 v8, v8, v10, vcc
	v_cmp_ne_u32_e32 vcc, 0, v3
	v_cndmask_b32_e32 v3, v9, v8, vcc
	s_branch .LBB33_271
.LBB33_158:
	s_mov_b64 s[24:25], -1
	s_mov_b64 s[0:1], 0
	s_mov_b64 s[6:7], 0
.LBB33_159:
	s_and_b64 vcc, exec, s[24:25]
	s_cbranch_vccz .LBB33_164
; %bb.160:
	v_mov_b32_e32 v3, 44
	v_cmp_eq_u16_sdwa s[24:25], v4, v3 src0_sel:BYTE_0 src1_sel:DWORD
	s_mov_b64 s[0:1], -1
	s_and_b64 vcc, exec, s[24:25]
	s_cbranch_vccz .LBB33_164
; %bb.161:
	v_bfe_u32 v3, v2, 23, 8
	s_movk_i32 s0, 0xff
	v_cmp_ne_u32_e32 vcc, s0, v3
	v_mov_b32_e32 v8, 0xff
	s_and_saveexec_b64 s[6:7], vcc
; %bb.162:
	s_mov_b32 s0, 0x3fffff
	v_and_b32_e32 v9, 0x400000, v2
	v_and_or_b32 v3, v2, s0, v3
	v_cmp_ne_u32_e32 vcc, 0, v9
	v_cmp_ne_u32_e64 s[0:1], 0, v3
	s_and_b64 s[0:1], vcc, s[0:1]
	v_lshrrev_b32_e32 v8, 23, v2
	v_cndmask_b32_e64 v3, 0, 1, s[0:1]
	v_add_u32_e32 v8, v8, v3
; %bb.163:
	s_or_b64 exec, exec, s[6:7]
	s_mov_b64 s[6:7], -1
	s_mov_b64 s[0:1], 0
	global_store_byte v[0:1], v8, off
.LBB33_164:
	s_mov_b64 s[24:25], 0
.LBB33_165:
	s_and_b64 vcc, exec, s[24:25]
	s_cbranch_vccz .LBB33_168
; %bb.166:
	v_mov_b32_e32 v3, 29
	v_cmp_eq_u16_sdwa s[24:25], v4, v3 src0_sel:BYTE_0 src1_sel:DWORD
	s_mov_b64 s[0:1], -1
	s_and_b64 vcc, exec, s[24:25]
	s_cbranch_vccz .LBB33_168
; %bb.167:
	v_trunc_f32_e32 v3, v2
	v_mul_f32_e32 v8, 0x2f800000, v3
	v_floor_f32_e32 v8, v8
	v_fmac_f32_e32 v3, 0xcf800000, v8
	v_cvt_u32_f32_e32 v9, v8
	v_cvt_u32_f32_e32 v8, v3
	s_mov_b64 s[6:7], -1
	s_mov_b64 s[0:1], 0
	s_mov_b64 s[24:25], 0
	global_store_dwordx2 v[0:1], v[8:9], off
	s_branch .LBB33_169
.LBB33_168:
	s_mov_b64 s[24:25], 0
.LBB33_169:
	s_and_b64 vcc, exec, s[24:25]
	s_cbranch_vccz .LBB33_185
; %bb.170:
	v_mov_b32_e32 v3, 27
	v_cmp_lt_i16_sdwa s[24:25], v4, v3 src0_sel:BYTE_0 src1_sel:DWORD
	s_mov_b64 s[6:7], -1
	s_and_b64 vcc, exec, s[24:25]
	s_cbranch_vccnz .LBB33_176
; %bb.171:
	v_cmp_gt_i16_sdwa s[24:25], v4, v3 src0_sel:BYTE_0 src1_sel:DWORD
	v_cvt_u32_f32_e32 v3, v2
	s_and_b64 vcc, exec, s[24:25]
	s_cbranch_vccz .LBB33_173
; %bb.172:
	s_mov_b64 s[6:7], 0
	global_store_dword v[0:1], v3, off
.LBB33_173:
	s_andn2_b64 vcc, exec, s[6:7]
	s_cbranch_vccnz .LBB33_175
; %bb.174:
	global_store_short v[0:1], v3, off
.LBB33_175:
	s_mov_b64 s[6:7], 0
.LBB33_176:
	s_andn2_b64 vcc, exec, s[6:7]
	s_cbranch_vccnz .LBB33_184
; %bb.177:
	v_and_b32_e32 v3, 0x7fffffff, v2
	s_mov_b32 s6, 0x43800000
	v_cmp_gt_u32_e32 vcc, s6, v3
	v_mov_b32_e32 v8, 0x80
	s_and_saveexec_b64 s[6:7], vcc
	s_cbranch_execz .LBB33_183
; %bb.178:
	s_mov_b32 s15, 0x3bffffff
	v_cmp_lt_u32_e32 vcc, s15, v3
	s_mov_b64 s[24:25], 0
                                        ; implicit-def: $vgpr3
	s_and_saveexec_b64 s[28:29], vcc
	s_xor_b64 s[28:29], exec, s[28:29]
	s_cbranch_execz .LBB33_412
; %bb.179:
	v_bfe_u32 v3, v2, 20, 1
	s_mov_b32 s15, 0x487ffff
	v_add3_u32 v3, v2, v3, s15
	s_mov_b64 s[24:25], exec
	v_lshrrev_b32_e32 v3, 20, v3
	s_or_saveexec_b64 s[28:29], s[28:29]
                                        ; implicit-def: $sgpr15
	s_xor_b64 exec, exec, s[28:29]
	s_cbranch_execnz .LBB33_413
.LBB33_180:
	s_or_b64 exec, exec, s[28:29]
	v_mov_b32_e32 v8, s15
	s_and_saveexec_b64 s[28:29], s[24:25]
.LBB33_181:
	v_lshrrev_b32_e32 v8, 24, v2
	s_movk_i32 s15, 0x80
	v_and_or_b32 v8, v8, s15, v3
.LBB33_182:
	s_or_b64 exec, exec, s[28:29]
.LBB33_183:
	s_or_b64 exec, exec, s[6:7]
	global_store_byte v[0:1], v8, off
.LBB33_184:
	s_mov_b64 s[6:7], -1
.LBB33_185:
	s_mov_b64 s[24:25], 0
.LBB33_186:
	s_and_b64 vcc, exec, s[24:25]
	s_cbranch_vccz .LBB33_227
; %bb.187:
	v_mov_b32_e32 v3, 22
	v_cmp_gt_i16_sdwa s[28:29], v4, v3 src0_sel:BYTE_0 src1_sel:DWORD
	s_mov_b64 s[24:25], -1
	s_and_b64 vcc, exec, s[28:29]
	s_cbranch_vccz .LBB33_219
; %bb.188:
	v_mov_b32_e32 v3, 24
	v_cmp_lt_i16_sdwa s[24:25], v4, v3 src0_sel:BYTE_0 src1_sel:DWORD
	s_mov_b64 s[6:7], -1
	s_and_b64 vcc, exec, s[24:25]
	s_cbranch_vccnz .LBB33_208
; %bb.189:
	v_cmp_gt_i16_sdwa s[24:25], v4, v3 src0_sel:BYTE_0 src1_sel:DWORD
	s_and_b64 vcc, exec, s[24:25]
	s_cbranch_vccz .LBB33_197
; %bb.190:
	v_and_b32_e32 v3, 0x7fffffff, v2
	s_mov_b32 s6, 0x47800000
	v_cmp_gt_u32_e32 vcc, s6, v3
	v_mov_b32_e32 v8, 0x80
	s_and_saveexec_b64 s[6:7], vcc
	s_cbranch_execz .LBB33_196
; %bb.191:
	s_mov_b32 s15, 0x37ffffff
	v_cmp_lt_u32_e32 vcc, s15, v3
	s_mov_b64 s[24:25], 0
                                        ; implicit-def: $vgpr3
	s_and_saveexec_b64 s[28:29], vcc
	s_xor_b64 s[28:29], exec, s[28:29]
	s_cbranch_execz .LBB33_531
; %bb.192:
	v_bfe_u32 v3, v2, 21, 1
	s_mov_b32 s15, 0x88fffff
	v_add3_u32 v3, v2, v3, s15
	s_mov_b64 s[24:25], exec
	v_lshrrev_b32_e32 v3, 21, v3
	s_or_saveexec_b64 s[28:29], s[28:29]
                                        ; implicit-def: $sgpr15
	s_xor_b64 exec, exec, s[28:29]
	s_cbranch_execnz .LBB33_532
.LBB33_193:
	s_or_b64 exec, exec, s[28:29]
	v_mov_b32_e32 v8, s15
	s_and_saveexec_b64 s[28:29], s[24:25]
.LBB33_194:
	v_lshrrev_b32_e32 v8, 24, v2
	s_movk_i32 s15, 0x80
	v_and_or_b32 v8, v8, s15, v3
.LBB33_195:
	s_or_b64 exec, exec, s[28:29]
.LBB33_196:
	s_or_b64 exec, exec, s[6:7]
	s_mov_b64 s[6:7], 0
	global_store_byte v[0:1], v8, off
.LBB33_197:
	s_and_b64 vcc, exec, s[6:7]
	s_cbranch_vccz .LBB33_207
; %bb.198:
	v_and_b32_e32 v8, 0x7fffffff, v2
	s_mov_b32 s6, 0x43f00000
	v_cmp_gt_u32_e32 vcc, s6, v8
                                        ; implicit-def: $vgpr3
	s_and_saveexec_b64 s[6:7], vcc
	s_xor_b64 s[6:7], exec, s[6:7]
	s_cbranch_execz .LBB33_204
; %bb.199:
	s_mov_b32 s15, 0x3c7fffff
	v_cmp_lt_u32_e32 vcc, s15, v8
                                        ; implicit-def: $vgpr3
	s_and_saveexec_b64 s[24:25], vcc
	s_xor_b64 s[24:25], exec, s[24:25]
; %bb.200:
	v_bfe_u32 v3, v2, 20, 1
	s_mov_b32 s15, 0x407ffff
	v_add3_u32 v3, v2, v3, s15
	v_lshrrev_b32_e32 v8, 20, v3
	v_and_b32_e32 v3, 0xff00000, v3
	s_mov_b32 s15, 0x7f00000
	v_mov_b32_e32 v9, 0x7e
	v_cmp_ne_u32_e32 vcc, s15, v3
	v_cndmask_b32_e32 v3, v9, v8, vcc
; %bb.201:
	s_andn2_saveexec_b64 s[24:25], s[24:25]
; %bb.202:
	s_mov_b32 s15, 0x46800000
	v_add_f32_e64 v3, |v2|, s15
; %bb.203:
	s_or_b64 exec, exec, s[24:25]
                                        ; implicit-def: $vgpr8
.LBB33_204:
	s_andn2_saveexec_b64 s[6:7], s[6:7]
; %bb.205:
	s_mov_b32 s15, 0x7f800000
	v_mov_b32_e32 v3, 0x7e
	v_mov_b32_e32 v9, 0x7f
	v_cmp_lt_u32_e32 vcc, s15, v8
	v_cndmask_b32_e32 v3, v3, v9, vcc
; %bb.206:
	s_or_b64 exec, exec, s[6:7]
	v_lshrrev_b32_e32 v8, 24, v2
	s_movk_i32 s6, 0x80
	v_and_or_b32 v3, v8, s6, v3
	global_store_byte v[0:1], v3, off
.LBB33_207:
	s_mov_b64 s[6:7], 0
.LBB33_208:
	s_andn2_b64 vcc, exec, s[6:7]
	s_cbranch_vccnz .LBB33_218
; %bb.209:
	v_and_b32_e32 v8, 0x7fffffff, v2
	s_mov_b32 s6, 0x47800000
	v_cmp_gt_u32_e32 vcc, s6, v8
                                        ; implicit-def: $vgpr3
	s_and_saveexec_b64 s[6:7], vcc
	s_xor_b64 s[6:7], exec, s[6:7]
	s_cbranch_execz .LBB33_215
; %bb.210:
	s_mov_b32 s15, 0x387fffff
	v_cmp_lt_u32_e32 vcc, s15, v8
                                        ; implicit-def: $vgpr3
	s_and_saveexec_b64 s[24:25], vcc
	s_xor_b64 s[24:25], exec, s[24:25]
; %bb.211:
	v_bfe_u32 v3, v2, 21, 1
	s_mov_b32 s15, 0x80fffff
	v_add3_u32 v3, v2, v3, s15
	v_lshrrev_b32_e32 v3, 21, v3
; %bb.212:
	s_andn2_saveexec_b64 s[24:25], s[24:25]
; %bb.213:
	s_mov_b32 s15, 0x43000000
	v_add_f32_e64 v3, |v2|, s15
; %bb.214:
	s_or_b64 exec, exec, s[24:25]
                                        ; implicit-def: $vgpr8
.LBB33_215:
	s_andn2_saveexec_b64 s[6:7], s[6:7]
; %bb.216:
	s_mov_b32 s15, 0x7f800000
	v_mov_b32_e32 v3, 0x7c
	v_mov_b32_e32 v9, 0x7f
	v_cmp_lt_u32_e32 vcc, s15, v8
	v_cndmask_b32_e32 v3, v3, v9, vcc
; %bb.217:
	s_or_b64 exec, exec, s[6:7]
	v_lshrrev_b32_e32 v8, 24, v2
	s_movk_i32 s6, 0x80
	v_and_or_b32 v3, v8, s6, v3
	global_store_byte v[0:1], v3, off
.LBB33_218:
	s_mov_b64 s[24:25], 0
	s_mov_b64 s[6:7], -1
.LBB33_219:
	s_andn2_b64 vcc, exec, s[24:25]
	s_cbranch_vccnz .LBB33_227
; %bb.220:
	v_mov_b32_e32 v3, 14
	v_cmp_gt_i16_sdwa s[28:29], v4, v3 src0_sel:BYTE_0 src1_sel:DWORD
	s_mov_b64 s[24:25], -1
	s_and_b64 vcc, exec, s[28:29]
	s_cbranch_vccz .LBB33_224
; %bb.221:
	v_mov_b32_e32 v3, 15
	v_cmp_eq_u16_sdwa s[24:25], v4, v3 src0_sel:BYTE_0 src1_sel:DWORD
	s_mov_b64 s[0:1], -1
	s_and_b64 vcc, exec, s[24:25]
	s_cbranch_vccz .LBB33_223
; %bb.222:
	v_bfe_u32 v3, v2, 16, 1
	s_movk_i32 s0, 0x7fff
	v_add3_u32 v3, v2, v3, s0
	v_lshrrev_b32_e32 v3, 16, v3
	v_mov_b32_e32 v8, 0x7fc0
	v_cmp_o_f32_e32 vcc, v2, v2
	v_cndmask_b32_e32 v3, v8, v3, vcc
	global_store_short v[0:1], v3, off
	s_mov_b64 s[6:7], -1
	s_mov_b64 s[0:1], 0
.LBB33_223:
	s_mov_b64 s[24:25], 0
.LBB33_224:
	s_and_b64 vcc, exec, s[24:25]
	s_cbranch_vccz .LBB33_227
; %bb.225:
	v_mov_b32_e32 v3, 11
	v_cmp_eq_u16_sdwa s[24:25], v4, v3 src0_sel:BYTE_0 src1_sel:DWORD
	s_mov_b64 s[0:1], -1
	s_and_b64 vcc, exec, s[24:25]
	s_cbranch_vccz .LBB33_227
; %bb.226:
	v_cmp_neq_f32_e32 vcc, 0, v2
	v_cndmask_b32_e64 v3, 0, 1, vcc
	s_mov_b64 s[6:7], -1
	s_mov_b64 s[0:1], 0
	global_store_byte v[0:1], v3, off
.LBB33_227:
	s_mov_b64 s[24:25], 0
.LBB33_228:
	s_and_b64 vcc, exec, s[24:25]
	s_cbranch_vccz .LBB33_267
; %bb.229:
	v_mov_b32_e32 v3, 5
	v_cmp_lt_i16_sdwa s[24:25], v4, v3 src0_sel:BYTE_0 src1_sel:DWORD
	s_mov_b64 s[6:7], -1
	s_and_b64 vcc, exec, s[24:25]
	s_cbranch_vccnz .LBB33_250
; %bb.230:
	v_mov_b32_e32 v3, 8
	v_cmp_lt_i16_sdwa s[24:25], v4, v3 src0_sel:BYTE_0 src1_sel:DWORD
	s_and_b64 vcc, exec, s[24:25]
	s_cbranch_vccnz .LBB33_240
; %bb.231:
	v_mov_b32_e32 v3, 9
	v_cmp_lt_i16_sdwa s[24:25], v4, v3 src0_sel:BYTE_0 src1_sel:DWORD
	s_and_b64 vcc, exec, s[24:25]
	s_cbranch_vccnz .LBB33_237
; %bb.232:
	v_cmp_gt_i16_sdwa s[24:25], v4, v3 src0_sel:BYTE_0 src1_sel:DWORD
	s_and_b64 vcc, exec, s[24:25]
	s_cbranch_vccz .LBB33_234
; %bb.233:
	v_mov_b32_e32 v10, 0
	v_cvt_f64_f32_e32 v[8:9], v2
	v_mov_b32_e32 v11, v10
	global_store_dwordx4 v[0:1], v[8:11], off
	s_mov_b64 s[6:7], 0
.LBB33_234:
	s_andn2_b64 vcc, exec, s[6:7]
	s_cbranch_vccnz .LBB33_236
; %bb.235:
	v_mov_b32_e32 v3, 0
	global_store_dwordx2 v[0:1], v[2:3], off
.LBB33_236:
	s_mov_b64 s[6:7], 0
.LBB33_237:
	s_andn2_b64 vcc, exec, s[6:7]
	s_cbranch_vccnz .LBB33_239
; %bb.238:
	v_cvt_f16_f32_e32 v3, v2
	global_store_dword v[0:1], v3, off
.LBB33_239:
	s_mov_b64 s[6:7], 0
.LBB33_240:
	s_andn2_b64 vcc, exec, s[6:7]
	s_cbranch_vccnz .LBB33_249
; %bb.241:
	v_mov_b32_e32 v3, 6
	v_cmp_lt_i16_sdwa s[24:25], v4, v3 src0_sel:BYTE_0 src1_sel:DWORD
	s_mov_b64 s[6:7], -1
	s_and_b64 vcc, exec, s[24:25]
	s_cbranch_vccnz .LBB33_247
; %bb.242:
	v_cmp_gt_i16_sdwa s[24:25], v4, v3 src0_sel:BYTE_0 src1_sel:DWORD
	s_and_b64 vcc, exec, s[24:25]
	s_cbranch_vccz .LBB33_244
; %bb.243:
	v_cvt_f64_f32_e32 v[8:9], v2
	global_store_dwordx2 v[0:1], v[8:9], off
	s_mov_b64 s[6:7], 0
.LBB33_244:
	s_andn2_b64 vcc, exec, s[6:7]
	s_cbranch_vccnz .LBB33_246
; %bb.245:
	global_store_dword v[0:1], v2, off
.LBB33_246:
	s_mov_b64 s[6:7], 0
.LBB33_247:
	s_andn2_b64 vcc, exec, s[6:7]
	s_cbranch_vccnz .LBB33_249
; %bb.248:
	v_cvt_f16_f32_e32 v3, v2
	global_store_short v[0:1], v3, off
.LBB33_249:
	s_mov_b64 s[6:7], 0
.LBB33_250:
	s_andn2_b64 vcc, exec, s[6:7]
	s_cbranch_vccnz .LBB33_266
; %bb.251:
	v_mov_b32_e32 v3, 2
	v_cmp_lt_i16_sdwa s[24:25], v4, v3 src0_sel:BYTE_0 src1_sel:DWORD
	s_mov_b64 s[6:7], -1
	s_and_b64 vcc, exec, s[24:25]
	s_cbranch_vccnz .LBB33_261
; %bb.252:
	v_mov_b32_e32 v3, 3
	v_cmp_lt_i16_sdwa s[24:25], v4, v3 src0_sel:BYTE_0 src1_sel:DWORD
	s_and_b64 vcc, exec, s[24:25]
	s_cbranch_vccnz .LBB33_258
; %bb.253:
	v_cmp_gt_i16_sdwa s[24:25], v4, v3 src0_sel:BYTE_0 src1_sel:DWORD
	s_and_b64 vcc, exec, s[24:25]
	s_cbranch_vccz .LBB33_255
; %bb.254:
	v_trunc_f32_e32 v3, v2
	s_mov_b32 s6, 0x2f800000
	v_mul_f32_e64 v8, |v3|, s6
	v_floor_f32_e32 v8, v8
	s_mov_b32 s6, 0xcf800000
	v_cvt_u32_f32_e32 v9, v8
	v_fma_f32 v8, v8, s6, |v3|
	v_cvt_u32_f32_e32 v8, v8
	v_ashrrev_i32_e32 v3, 31, v3
	v_xor_b32_e32 v9, v9, v3
	s_mov_b64 s[6:7], 0
	v_xor_b32_e32 v8, v8, v3
	v_sub_co_u32_e32 v8, vcc, v8, v3
	v_subb_co_u32_e32 v9, vcc, v9, v3, vcc
	global_store_dwordx2 v[0:1], v[8:9], off
.LBB33_255:
	s_andn2_b64 vcc, exec, s[6:7]
	s_cbranch_vccnz .LBB33_257
; %bb.256:
	v_cvt_i32_f32_e32 v3, v2
	global_store_dword v[0:1], v3, off
.LBB33_257:
	s_mov_b64 s[6:7], 0
.LBB33_258:
	s_andn2_b64 vcc, exec, s[6:7]
	s_cbranch_vccnz .LBB33_260
; %bb.259:
	v_cvt_i32_f32_e32 v3, v2
	global_store_short v[0:1], v3, off
.LBB33_260:
	s_mov_b64 s[6:7], 0
.LBB33_261:
	s_andn2_b64 vcc, exec, s[6:7]
	s_cbranch_vccnz .LBB33_266
; %bb.262:
	v_mov_b32_e32 v3, 0
	v_cmp_gt_i16_sdwa s[24:25], v4, v3 src0_sel:BYTE_0 src1_sel:DWORD
	s_mov_b64 s[6:7], -1
	s_and_b64 vcc, exec, s[24:25]
	s_cbranch_vccz .LBB33_264
; %bb.263:
	v_cvt_i32_f32_e32 v3, v2
	s_mov_b64 s[6:7], 0
	global_store_byte v[0:1], v3, off
.LBB33_264:
	s_andn2_b64 vcc, exec, s[6:7]
	s_cbranch_vccnz .LBB33_266
; %bb.265:
	v_trunc_f32_e32 v2, v2
	s_mov_b32 s6, 0x2f800000
	v_mul_f32_e64 v3, |v2|, s6
	v_floor_f32_e32 v3, v3
	s_mov_b32 s6, 0xcf800000
	v_fma_f32 v3, v3, s6, |v2|
	v_cvt_u32_f32_e32 v3, v3
	v_ashrrev_i32_e32 v2, 31, v2
	v_xor_b32_e32 v3, v3, v2
	v_sub_u32_e32 v2, v3, v2
	global_store_byte v[0:1], v2, off
.LBB33_266:
	s_mov_b64 s[6:7], -1
.LBB33_267:
	s_andn2_b64 vcc, exec, s[6:7]
	s_cbranch_vccnz .LBB33_269
; %bb.268:
	v_add_u32_e32 v5, 0x80, v5
	s_mov_b64 s[24:25], -1
	s_branch .LBB33_382
.LBB33_269:
	s_mov_b64 s[24:25], 0
                                        ; implicit-def: $vgpr5
	s_branch .LBB33_382
.LBB33_270:
	s_mov_b64 s[18:19], -1
                                        ; implicit-def: $vgpr3
.LBB33_271:
	s_mov_b64 s[6:7], 0
.LBB33_272:
	s_and_b64 vcc, exec, s[6:7]
	s_cbranch_vccz .LBB33_276
; %bb.273:
	v_mov_b32_e32 v3, 29
	v_cmp_eq_u16_sdwa s[6:7], v6, v3 src0_sel:BYTE_0 src1_sel:DWORD
	s_and_b64 vcc, exec, s[6:7]
	s_cbranch_vccz .LBB33_275
; %bb.274:
	global_load_dwordx2 v[8:9], v[0:1], off
	s_mov_b64 s[0:1], -1
	s_mov_b64 s[18:19], 0
	s_mov_b64 s[6:7], 0
	s_waitcnt vmcnt(0)
	v_ffbh_u32_e32 v3, v9
	v_min_u32_e32 v3, 32, v3
	v_lshlrev_b64 v[8:9], v3, v[8:9]
	v_min_u32_e32 v8, 1, v8
	v_or_b32_e32 v8, v9, v8
	v_cvt_f32_u32_e32 v8, v8
	v_sub_u32_e32 v3, 32, v3
	v_ldexp_f32 v3, v8, v3
	s_branch .LBB33_277
.LBB33_275:
	s_mov_b64 s[18:19], -1
                                        ; implicit-def: $vgpr3
.LBB33_276:
	s_mov_b64 s[6:7], 0
.LBB33_277:
	s_and_b64 vcc, exec, s[6:7]
	s_cbranch_vccz .LBB33_295
; %bb.278:
	v_mov_b32_e32 v3, 27
	v_cmp_lt_i16_sdwa s[0:1], v6, v3 src0_sel:BYTE_0 src1_sel:DWORD
	s_and_b64 vcc, exec, s[0:1]
	s_cbranch_vccnz .LBB33_281
; %bb.279:
	v_cmp_gt_i16_sdwa s[0:1], v6, v3 src0_sel:BYTE_0 src1_sel:DWORD
	s_and_b64 vcc, exec, s[0:1]
	s_cbranch_vccz .LBB33_282
; %bb.280:
	global_load_dword v3, v[0:1], off
	s_mov_b64 s[0:1], 0
	s_waitcnt vmcnt(0)
	v_cvt_f32_u32_e32 v3, v3
	s_branch .LBB33_283
.LBB33_281:
	s_mov_b64 s[0:1], -1
                                        ; implicit-def: $vgpr3
	s_branch .LBB33_286
.LBB33_282:
	s_mov_b64 s[0:1], -1
                                        ; implicit-def: $vgpr3
.LBB33_283:
	s_andn2_b64 vcc, exec, s[0:1]
	s_cbranch_vccnz .LBB33_285
; %bb.284:
	global_load_ushort v3, v[0:1], off
	s_waitcnt vmcnt(0)
	v_cvt_f32_u32_e32 v3, v3
.LBB33_285:
	s_mov_b64 s[0:1], 0
.LBB33_286:
	s_andn2_b64 vcc, exec, s[0:1]
	s_cbranch_vccnz .LBB33_294
; %bb.287:
	global_load_ubyte v8, v[0:1], off
	s_movk_i32 s0, 0x7f
                                        ; implicit-def: $sgpr15
	s_waitcnt vmcnt(0)
	v_cmp_lt_i16_e32 vcc, s0, v8
	s_mov_b64 s[0:1], 0
	s_and_saveexec_b64 s[6:7], vcc
	s_xor_b64 s[6:7], exec, s[6:7]
	s_cbranch_execz .LBB33_308
; %bb.288:
	s_movk_i32 s0, 0x80
	v_cmp_eq_u16_e32 vcc, s0, v8
	s_mov_b64 s[0:1], -1
                                        ; implicit-def: $sgpr15
	s_and_saveexec_b64 s[24:25], vcc
; %bb.289:
	s_mov_b32 s15, 0x7f800001
	s_xor_b64 s[0:1], exec, -1
; %bb.290:
	s_or_b64 exec, exec, s[24:25]
	s_and_b64 s[0:1], s[0:1], exec
	s_or_saveexec_b64 s[6:7], s[6:7]
	v_mov_b32_e32 v3, s15
	s_xor_b64 exec, exec, s[6:7]
	s_cbranch_execnz .LBB33_309
.LBB33_291:
	s_or_b64 exec, exec, s[6:7]
	s_and_saveexec_b64 s[6:7], s[0:1]
	s_cbranch_execz .LBB33_293
.LBB33_292:
	v_lshlrev_b32_e32 v3, 24, v8
	v_and_b32_e32 v8, 0xffff, v8
	v_and_b32_e32 v9, 7, v8
	v_ffbh_u32_e32 v11, v9
	v_min_u32_e32 v11, 32, v11
	v_subrev_u32_e32 v12, 28, v11
	v_bfe_u32 v10, v8, 3, 4
	v_lshlrev_b32_e32 v8, v12, v8
	v_sub_u32_e32 v11, 29, v11
	v_and_b32_e32 v8, 7, v8
	v_cmp_eq_u32_e32 vcc, 0, v10
	v_cndmask_b32_e32 v10, v10, v11, vcc
	v_cndmask_b32_e32 v8, v9, v8, vcc
	v_mov_b32_e32 v9, 0x3b800000
	v_lshlrev_b32_e32 v8, 20, v8
	v_and_b32_e32 v3, 0x80000000, v3
	v_lshl_add_u32 v9, v10, 23, v9
	v_or3_b32 v3, v3, v9, v8
.LBB33_293:
	s_or_b64 exec, exec, s[6:7]
.LBB33_294:
	s_mov_b64 s[0:1], -1
.LBB33_295:
	s_mov_b64 s[6:7], 0
.LBB33_296:
	s_and_b64 vcc, exec, s[6:7]
	s_cbranch_vccz .LBB33_331
; %bb.297:
	v_mov_b32_e32 v3, 22
	v_cmp_gt_i16_sdwa s[6:7], v6, v3 src0_sel:BYTE_0 src1_sel:DWORD
	s_and_b64 vcc, exec, s[6:7]
	s_cbranch_vccz .LBB33_307
; %bb.298:
	v_mov_b32_e32 v3, 24
	v_cmp_lt_i16_sdwa s[0:1], v6, v3 src0_sel:BYTE_0 src1_sel:DWORD
	s_and_b64 vcc, exec, s[0:1]
	s_cbranch_vccnz .LBB33_310
; %bb.299:
	v_cmp_gt_i16_sdwa s[0:1], v6, v3 src0_sel:BYTE_0 src1_sel:DWORD
	s_and_b64 vcc, exec, s[0:1]
	s_cbranch_vccz .LBB33_311
; %bb.300:
	global_load_ubyte v8, v[0:1], off
	s_movk_i32 s0, 0x7f
                                        ; implicit-def: $sgpr15
	s_waitcnt vmcnt(0)
	v_cmp_lt_i16_e32 vcc, s0, v8
	s_mov_b64 s[0:1], 0
	s_and_saveexec_b64 s[6:7], vcc
	s_xor_b64 s[6:7], exec, s[6:7]
	s_cbranch_execz .LBB33_323
; %bb.301:
	s_movk_i32 s0, 0x80
	v_cmp_eq_u16_e32 vcc, s0, v8
	s_mov_b64 s[0:1], -1
                                        ; implicit-def: $sgpr15
	s_and_saveexec_b64 s[24:25], vcc
; %bb.302:
	s_mov_b32 s15, 0x7f800001
	s_xor_b64 s[0:1], exec, -1
; %bb.303:
	s_or_b64 exec, exec, s[24:25]
	s_and_b64 s[0:1], s[0:1], exec
	s_or_saveexec_b64 s[6:7], s[6:7]
	v_mov_b32_e32 v3, s15
	s_xor_b64 exec, exec, s[6:7]
	s_cbranch_execnz .LBB33_324
.LBB33_304:
	s_or_b64 exec, exec, s[6:7]
	s_and_saveexec_b64 s[6:7], s[0:1]
	s_cbranch_execz .LBB33_306
.LBB33_305:
	v_lshlrev_b32_e32 v3, 24, v8
	v_and_b32_e32 v8, 0xffff, v8
	v_and_b32_e32 v9, 3, v8
	v_ffbh_u32_e32 v11, v9
	v_min_u32_e32 v11, 32, v11
	v_subrev_u32_e32 v12, 29, v11
	v_bfe_u32 v10, v8, 2, 5
	v_lshlrev_b32_e32 v8, v12, v8
	v_sub_u32_e32 v11, 30, v11
	v_and_b32_e32 v8, 3, v8
	v_cmp_eq_u32_e32 vcc, 0, v10
	v_cndmask_b32_e32 v10, v10, v11, vcc
	v_cndmask_b32_e32 v8, v9, v8, vcc
	v_mov_b32_e32 v9, 0x37800000
	v_lshlrev_b32_e32 v8, 21, v8
	v_and_b32_e32 v3, 0x80000000, v3
	v_lshl_add_u32 v9, v10, 23, v9
	v_or3_b32 v3, v3, v9, v8
.LBB33_306:
	s_or_b64 exec, exec, s[6:7]
	s_mov_b64 s[0:1], 0
	s_branch .LBB33_312
.LBB33_307:
	s_mov_b64 s[6:7], -1
                                        ; implicit-def: $vgpr3
	s_branch .LBB33_318
.LBB33_308:
	s_or_saveexec_b64 s[6:7], s[6:7]
	v_mov_b32_e32 v3, s15
	s_xor_b64 exec, exec, s[6:7]
	s_cbranch_execz .LBB33_291
.LBB33_309:
	v_cmp_ne_u16_e32 vcc, 0, v8
	s_andn2_b64 s[0:1], s[0:1], exec
	s_and_b64 s[24:25], vcc, exec
	v_mov_b32_e32 v3, 0
	s_or_b64 s[0:1], s[0:1], s[24:25]
	s_or_b64 exec, exec, s[6:7]
	s_and_saveexec_b64 s[6:7], s[0:1]
	s_cbranch_execnz .LBB33_292
	s_branch .LBB33_293
.LBB33_310:
	s_mov_b64 s[0:1], -1
                                        ; implicit-def: $vgpr3
	s_branch .LBB33_315
.LBB33_311:
	s_mov_b64 s[0:1], -1
                                        ; implicit-def: $vgpr3
.LBB33_312:
	s_and_b64 vcc, exec, s[0:1]
	s_cbranch_vccz .LBB33_314
; %bb.313:
	global_load_ubyte v3, v[0:1], off
	s_mov_b32 s0, 0x7f800000
	s_waitcnt vmcnt(0)
	v_lshlrev_b32_e32 v3, 24, v3
	v_and_b32_e32 v8, 0x7f000000, v3
	v_ffbh_u32_e32 v9, v8
	v_min_u32_e32 v9, 32, v9
	v_sub_u32_e64 v9, v9, 4 clamp
	v_lshlrev_b32_e32 v11, v9, v8
	v_lshlrev_b32_e32 v9, 23, v9
	v_lshrrev_b32_e32 v11, 4, v11
	v_add_u32_e32 v10, 0x1000000, v8
	v_sub_u32_e32 v9, v11, v9
	v_ashrrev_i32_e32 v10, 8, v10
	v_add_u32_e32 v9, 0x3c000000, v9
	v_and_or_b32 v9, v10, s0, v9
	v_cmp_ne_u32_e32 vcc, 0, v8
	v_cndmask_b32_e32 v8, 0, v9, vcc
	s_brev_b32 s0, 1
	v_and_or_b32 v3, v3, s0, v8
.LBB33_314:
	s_mov_b64 s[0:1], 0
.LBB33_315:
	s_andn2_b64 vcc, exec, s[0:1]
	s_cbranch_vccnz .LBB33_317
; %bb.316:
	global_load_ubyte v3, v[0:1], off
	s_movk_i32 s0, 0x7f00
	s_brev_b32 s1, 16
	s_waitcnt vmcnt(0)
	v_lshlrev_b16_e32 v8, 8, v3
	v_lshlrev_b32_e32 v3, 25, v3
	v_lshrrev_b32_e32 v9, 4, v3
	v_and_or_b32 v10, v8, s0, 0.5
	v_or_b32_e32 v9, 0x70000000, v9
	v_add_f32_e32 v10, -0.5, v10
	v_mul_f32_e32 v9, 0x7800000, v9
	v_cmp_gt_u32_e32 vcc, s1, v3
	v_bfe_i32 v8, v8, 0, 16
	v_cndmask_b32_e32 v3, v9, v10, vcc
	s_brev_b32 s0, 1
	v_and_or_b32 v3, v8, s0, v3
.LBB33_317:
	s_mov_b64 s[6:7], 0
	s_mov_b64 s[0:1], -1
.LBB33_318:
	s_andn2_b64 vcc, exec, s[6:7]
	s_cbranch_vccnz .LBB33_331
; %bb.319:
	v_mov_b32_e32 v3, 14
	v_cmp_gt_i16_sdwa s[6:7], v6, v3 src0_sel:BYTE_0 src1_sel:DWORD
	s_and_b64 vcc, exec, s[6:7]
	s_cbranch_vccz .LBB33_322
; %bb.320:
	v_mov_b32_e32 v3, 15
	v_cmp_eq_u16_sdwa s[6:7], v6, v3 src0_sel:BYTE_0 src1_sel:DWORD
	s_and_b64 vcc, exec, s[6:7]
	s_cbranch_vccz .LBB33_325
; %bb.321:
	global_load_ushort v3, v[0:1], off
	s_mov_b64 s[0:1], -1
	s_mov_b64 s[18:19], 0
	s_waitcnt vmcnt(0)
	v_lshlrev_b32_e32 v3, 16, v3
	s_branch .LBB33_326
.LBB33_322:
	s_mov_b64 s[6:7], -1
                                        ; implicit-def: $vgpr3
	s_branch .LBB33_327
.LBB33_323:
	s_or_saveexec_b64 s[6:7], s[6:7]
	v_mov_b32_e32 v3, s15
	s_xor_b64 exec, exec, s[6:7]
	s_cbranch_execz .LBB33_304
.LBB33_324:
	v_cmp_ne_u16_e32 vcc, 0, v8
	s_andn2_b64 s[0:1], s[0:1], exec
	s_and_b64 s[24:25], vcc, exec
	v_mov_b32_e32 v3, 0
	s_or_b64 s[0:1], s[0:1], s[24:25]
	s_or_b64 exec, exec, s[6:7]
	s_and_saveexec_b64 s[6:7], s[0:1]
	s_cbranch_execnz .LBB33_305
	s_branch .LBB33_306
.LBB33_325:
	s_mov_b64 s[18:19], -1
                                        ; implicit-def: $vgpr3
.LBB33_326:
	s_mov_b64 s[6:7], 0
.LBB33_327:
	s_and_b64 vcc, exec, s[6:7]
	s_cbranch_vccz .LBB33_331
; %bb.328:
	v_mov_b32_e32 v3, 11
	v_cmp_eq_u16_sdwa s[6:7], v6, v3 src0_sel:BYTE_0 src1_sel:DWORD
	s_and_b64 vcc, exec, s[6:7]
	s_cbranch_vccz .LBB33_330
; %bb.329:
	global_load_ubyte v3, v[0:1], off
	s_mov_b64 s[0:1], -1
	s_mov_b64 s[18:19], 0
	s_waitcnt vmcnt(0)
	v_cmp_ne_u16_e32 vcc, 0, v3
	v_cndmask_b32_e64 v3, 0, 1.0, vcc
	s_branch .LBB33_331
.LBB33_330:
	s_mov_b64 s[18:19], -1
                                        ; implicit-def: $vgpr3
.LBB33_331:
	s_branch .LBB33_20
.LBB33_332:
	v_mov_b32_e32 v3, 5
	v_cmp_lt_i16_sdwa s[0:1], v6, v3 src0_sel:BYTE_0 src1_sel:DWORD
	s_and_b64 vcc, exec, s[0:1]
	s_cbranch_vccnz .LBB33_337
; %bb.333:
	v_mov_b32_e32 v3, 8
	v_cmp_lt_i16_sdwa s[0:1], v6, v3 src0_sel:BYTE_0 src1_sel:DWORD
	s_and_b64 vcc, exec, s[0:1]
	s_cbranch_vccnz .LBB33_338
; %bb.334:
	v_mov_b32_e32 v3, 9
	v_cmp_lt_i16_sdwa s[0:1], v6, v3 src0_sel:BYTE_0 src1_sel:DWORD
	s_and_b64 vcc, exec, s[0:1]
	s_cbranch_vccnz .LBB33_339
; %bb.335:
	v_cmp_gt_i16_sdwa s[0:1], v6, v3 src0_sel:BYTE_0 src1_sel:DWORD
	s_and_b64 vcc, exec, s[0:1]
	s_cbranch_vccz .LBB33_340
; %bb.336:
	global_load_dwordx2 v[8:9], v[0:1], off
	s_mov_b64 s[0:1], 0
	s_waitcnt vmcnt(0)
	v_cvt_f32_f64_e32 v3, v[8:9]
	s_branch .LBB33_341
.LBB33_337:
	s_mov_b64 s[0:1], -1
                                        ; implicit-def: $vgpr3
	s_branch .LBB33_359
.LBB33_338:
	s_mov_b64 s[0:1], -1
                                        ; implicit-def: $vgpr3
	s_branch .LBB33_347
.LBB33_339:
	s_mov_b64 s[0:1], -1
                                        ; implicit-def: $vgpr3
	s_branch .LBB33_344
.LBB33_340:
	s_mov_b64 s[0:1], -1
                                        ; implicit-def: $vgpr3
.LBB33_341:
	s_andn2_b64 vcc, exec, s[0:1]
	s_cbranch_vccnz .LBB33_343
; %bb.342:
	global_load_dword v3, v[0:1], off
.LBB33_343:
	s_mov_b64 s[0:1], 0
.LBB33_344:
	s_andn2_b64 vcc, exec, s[0:1]
	s_cbranch_vccnz .LBB33_346
; %bb.345:
	global_load_dword v3, v[0:1], off
	s_waitcnt vmcnt(0)
	v_cvt_f32_f16_e32 v3, v3
.LBB33_346:
	s_mov_b64 s[0:1], 0
.LBB33_347:
	s_andn2_b64 vcc, exec, s[0:1]
	s_cbranch_vccnz .LBB33_358
; %bb.348:
	s_waitcnt vmcnt(0)
	v_mov_b32_e32 v3, 6
	v_cmp_lt_i16_sdwa s[0:1], v6, v3 src0_sel:BYTE_0 src1_sel:DWORD
	s_and_b64 vcc, exec, s[0:1]
	s_cbranch_vccnz .LBB33_351
; %bb.349:
	v_cmp_gt_i16_sdwa s[0:1], v6, v3 src0_sel:BYTE_0 src1_sel:DWORD
	s_and_b64 vcc, exec, s[0:1]
	s_cbranch_vccz .LBB33_352
; %bb.350:
	global_load_dwordx2 v[8:9], v[0:1], off
	s_mov_b64 s[0:1], 0
	s_waitcnt vmcnt(0)
	v_cvt_f32_f64_e32 v3, v[8:9]
	s_branch .LBB33_353
.LBB33_351:
	s_mov_b64 s[0:1], -1
                                        ; implicit-def: $vgpr3
	s_branch .LBB33_356
.LBB33_352:
	s_mov_b64 s[0:1], -1
                                        ; implicit-def: $vgpr3
.LBB33_353:
	s_andn2_b64 vcc, exec, s[0:1]
	s_cbranch_vccnz .LBB33_355
; %bb.354:
	global_load_dword v3, v[0:1], off
.LBB33_355:
	s_mov_b64 s[0:1], 0
.LBB33_356:
	s_andn2_b64 vcc, exec, s[0:1]
	s_cbranch_vccnz .LBB33_358
; %bb.357:
	global_load_ushort v3, v[0:1], off
	s_waitcnt vmcnt(0)
	v_cvt_f32_f16_e32 v3, v3
.LBB33_358:
	s_mov_b64 s[0:1], 0
.LBB33_359:
	s_andn2_b64 vcc, exec, s[0:1]
	s_cbranch_vccnz .LBB33_379
; %bb.360:
	s_waitcnt vmcnt(0)
	v_mov_b32_e32 v3, 2
	v_cmp_lt_i16_sdwa s[0:1], v6, v3 src0_sel:BYTE_0 src1_sel:DWORD
	s_and_b64 vcc, exec, s[0:1]
	s_cbranch_vccnz .LBB33_364
; %bb.361:
	v_mov_b32_e32 v3, 3
	v_cmp_lt_i16_sdwa s[0:1], v6, v3 src0_sel:BYTE_0 src1_sel:DWORD
	s_and_b64 vcc, exec, s[0:1]
	s_cbranch_vccnz .LBB33_365
; %bb.362:
	v_cmp_gt_i16_sdwa s[0:1], v6, v3 src0_sel:BYTE_0 src1_sel:DWORD
	s_and_b64 vcc, exec, s[0:1]
	s_cbranch_vccz .LBB33_366
; %bb.363:
	global_load_dwordx2 v[8:9], v[0:1], off
	s_mov_b64 s[0:1], 0
	s_waitcnt vmcnt(0)
	v_xor_b32_e32 v10, v8, v9
	v_ffbh_i32_e32 v3, v9
	v_ashrrev_i32_e32 v10, 31, v10
	v_add_u32_e32 v3, -1, v3
	v_add_u32_e32 v10, 32, v10
	v_min_u32_e32 v3, v3, v10
	v_lshlrev_b64 v[8:9], v3, v[8:9]
	v_min_u32_e32 v8, 1, v8
	v_or_b32_e32 v8, v9, v8
	v_cvt_f32_i32_e32 v8, v8
	v_sub_u32_e32 v3, 32, v3
	v_ldexp_f32 v3, v8, v3
	s_branch .LBB33_367
.LBB33_364:
	s_mov_b64 s[0:1], -1
                                        ; implicit-def: $vgpr3
	s_branch .LBB33_373
.LBB33_365:
	s_mov_b64 s[0:1], -1
                                        ; implicit-def: $vgpr3
	s_branch .LBB33_370
.LBB33_366:
	s_mov_b64 s[0:1], -1
                                        ; implicit-def: $vgpr3
.LBB33_367:
	s_andn2_b64 vcc, exec, s[0:1]
	s_cbranch_vccnz .LBB33_369
; %bb.368:
	global_load_dword v3, v[0:1], off
	s_waitcnt vmcnt(0)
	v_cvt_f32_i32_e32 v3, v3
.LBB33_369:
	s_mov_b64 s[0:1], 0
.LBB33_370:
	s_andn2_b64 vcc, exec, s[0:1]
	s_cbranch_vccnz .LBB33_372
; %bb.371:
	global_load_sshort v3, v[0:1], off
	s_waitcnt vmcnt(0)
	v_cvt_f32_i32_e32 v3, v3
.LBB33_372:
	s_mov_b64 s[0:1], 0
.LBB33_373:
	s_andn2_b64 vcc, exec, s[0:1]
	s_cbranch_vccnz .LBB33_379
; %bb.374:
	v_mov_b32_e32 v3, 0
	v_cmp_gt_i16_sdwa s[0:1], v6, v3 src0_sel:BYTE_0 src1_sel:DWORD
	s_and_b64 vcc, exec, s[0:1]
	s_cbranch_vccz .LBB33_376
; %bb.375:
	global_load_sbyte v3, v[0:1], off
	s_mov_b64 s[0:1], 0
	s_waitcnt vmcnt(0)
	v_cvt_f32_i32_e32 v3, v3
	s_branch .LBB33_377
.LBB33_376:
	s_mov_b64 s[0:1], -1
                                        ; implicit-def: $vgpr3
.LBB33_377:
	s_andn2_b64 vcc, exec, s[0:1]
	s_cbranch_vccnz .LBB33_379
; %bb.378:
	global_load_ubyte v0, v[0:1], off
	s_waitcnt vmcnt(0)
	v_cvt_f32_ubyte0_e32 v3, v0
.LBB33_379:
	s_branch .LBB33_21
.LBB33_380:
	s_mov_b64 s[0:1], 0
.LBB33_381:
                                        ; implicit-def: $vgpr5
	s_mov_b64 s[24:25], 0
.LBB33_382:
	s_and_b64 s[6:7], s[0:1], exec
	s_and_b64 s[18:19], s[18:19], exec
	;; [unrolled: 1-line block ×3, first 2 shown]
	s_orn2_b64 s[0:1], s[24:25], exec
.LBB33_383:
	s_or_b64 exec, exec, s[22:23]
	s_mov_b64 s[30:31], 0
	s_mov_b64 s[28:29], 0
                                        ; implicit-def: $vgpr2
                                        ; implicit-def: $vgpr0_vgpr1
                                        ; implicit-def: $vgpr3
	s_and_saveexec_b64 s[22:23], s[0:1]
	s_cbranch_execz .LBB33_392
; %bb.384:
	v_cmp_gt_i32_e32 vcc, s33, v5
	s_mov_b64 s[0:1], -1
	s_mov_b64 s[24:25], s[20:21]
	s_mov_b64 s[26:27], s[18:19]
	;; [unrolled: 1-line block ×3, first 2 shown]
	s_and_saveexec_b64 s[30:31], vcc
	s_cbranch_execz .LBB33_773
; %bb.385:
	v_mul_lo_u32 v0, v5, s13
	v_ashrrev_i32_e32 v1, 31, v0
	s_waitcnt vmcnt(0)
	v_mov_b32_e32 v2, s11
	v_add_co_u32_e32 v0, vcc, s10, v0
	v_addc_co_u32_e32 v1, vcc, v2, v1, vcc
	v_mov_b32_e32 v2, 11
	v_cmp_lt_i16_sdwa s[0:1], v7, v2 src0_sel:BYTE_0 src1_sel:DWORD
	s_and_b64 vcc, exec, s[0:1]
	s_cbranch_vccnz .LBB33_395
; %bb.386:
	v_mov_b32_e32 v2, 25
	v_cmp_gt_i16_sdwa s[0:1], v7, v2 src0_sel:BYTE_0 src1_sel:DWORD
	s_and_b64 vcc, exec, s[0:1]
	s_cbranch_vccz .LBB33_404
; %bb.387:
	v_mov_b32_e32 v2, 28
	v_cmp_gt_i16_sdwa s[0:1], v7, v2 src0_sel:BYTE_0 src1_sel:DWORD
	s_and_b64 vcc, exec, s[0:1]
	s_cbranch_vccz .LBB33_406
; %bb.388:
	v_mov_b32_e32 v2, 43
	v_cmp_gt_i16_sdwa s[0:1], v7, v2 src0_sel:BYTE_0 src1_sel:DWORD
	s_and_b64 vcc, exec, s[0:1]
	s_cbranch_vccz .LBB33_408
; %bb.389:
	v_mov_b32_e32 v2, 45
	v_cmp_gt_i16_sdwa s[0:1], v7, v2 src0_sel:BYTE_0 src1_sel:DWORD
	s_and_b64 vcc, exec, s[0:1]
	s_cbranch_vccz .LBB33_410
; %bb.390:
	v_mov_b32_e32 v2, 46
	v_cmp_eq_u16_sdwa s[0:1], v7, v2 src0_sel:BYTE_0 src1_sel:DWORD
	s_mov_b64 s[26:27], 0
	s_and_b64 vcc, exec, s[0:1]
	s_cbranch_vccz .LBB33_414
; %bb.391:
	global_load_dword v2, v[0:1], off
	s_mov_b64 s[0:1], -1
	s_mov_b64 s[24:25], 0
	s_waitcnt vmcnt(0)
	v_lshlrev_b32_e32 v2, 16, v2
	s_branch .LBB33_415
.LBB33_392:
	s_or_b64 exec, exec, s[22:23]
	s_mov_b64 s[22:23], 0
	s_and_saveexec_b64 s[0:1], s[20:21]
	s_cbranch_execnz .LBB33_1248
.LBB33_393:
	s_or_b64 exec, exec, s[0:1]
	s_and_saveexec_b64 s[0:1], s[26:27]
	s_xor_b64 s[0:1], exec, s[0:1]
	s_cbranch_execz .LBB33_1249
.LBB33_394:
	global_load_ubyte v3, v[0:1], off
	s_or_b64 s[28:29], s[28:29], exec
	s_waitcnt vmcnt(0)
	v_cmp_ne_u16_e32 vcc, 0, v3
	v_cndmask_b32_e64 v3, 0, 1.0, vcc
	s_or_b64 exec, exec, s[0:1]
	s_and_saveexec_b64 s[0:1], s[30:31]
	s_cbranch_execz .LBB33_1295
	s_branch .LBB33_1250
.LBB33_395:
	s_mov_b64 s[0:1], 0
                                        ; implicit-def: $vgpr2
	s_mov_b64 s[24:25], s[20:21]
	s_cbranch_execnz .LBB33_481
.LBB33_396:
	s_andn2_b64 vcc, exec, s[0:1]
	s_cbranch_vccnz .LBB33_529
.LBB33_397:
	v_mul_lo_u32 v0, v5, s14
	v_ashrrev_i32_e32 v1, 31, v0
	v_mov_b32_e32 v3, s3
	v_add_co_u32_e32 v0, vcc, s2, v0
	v_addc_co_u32_e32 v1, vcc, v3, v1, vcc
	v_mov_b32_e32 v3, 11
	v_cmp_lt_i16_sdwa s[0:1], v6, v3 src0_sel:BYTE_0 src1_sel:DWORD
	s_and_b64 vcc, exec, s[0:1]
	s_cbranch_vccnz .LBB33_405
; %bb.398:
	v_mov_b32_e32 v3, 25
	v_cmp_gt_i16_sdwa s[0:1], v6, v3 src0_sel:BYTE_0 src1_sel:DWORD
	s_and_b64 vcc, exec, s[0:1]
	s_cbranch_vccz .LBB33_407
; %bb.399:
	v_mov_b32_e32 v3, 28
	v_cmp_gt_i16_sdwa s[0:1], v6, v3 src0_sel:BYTE_0 src1_sel:DWORD
	s_and_b64 vcc, exec, s[0:1]
	s_cbranch_vccz .LBB33_409
	;; [unrolled: 5-line block ×4, first 2 shown]
; %bb.402:
	v_mov_b32_e32 v3, 46
	v_cmp_eq_u16_sdwa s[0:1], v6, v3 src0_sel:BYTE_0 src1_sel:DWORD
	s_mov_b64 s[28:29], 0
	s_and_b64 vcc, exec, s[0:1]
	s_cbranch_vccz .LBB33_533
; %bb.403:
	global_load_dword v3, v[0:1], off
	s_mov_b64 s[0:1], -1
	s_mov_b64 s[26:27], 0
	s_waitcnt vmcnt(0)
	v_lshlrev_b32_e32 v3, 16, v3
	s_branch .LBB33_534
.LBB33_404:
	s_mov_b64 s[26:27], -1
	s_mov_b64 s[0:1], 0
	s_mov_b64 s[24:25], s[20:21]
                                        ; implicit-def: $vgpr2
	s_branch .LBB33_445
.LBB33_405:
	s_mov_b64 s[28:29], -1
	s_mov_b64 s[0:1], 0
                                        ; implicit-def: $vgpr3
	s_mov_b64 s[26:27], s[18:19]
	s_branch .LBB33_599
.LBB33_406:
	s_mov_b64 s[26:27], -1
	s_mov_b64 s[0:1], 0
	s_mov_b64 s[24:25], s[20:21]
                                        ; implicit-def: $vgpr2
	s_branch .LBB33_426
.LBB33_407:
	s_mov_b64 s[28:29], -1
	s_mov_b64 s[0:1], 0
	s_mov_b64 s[26:27], s[18:19]
                                        ; implicit-def: $vgpr3
	s_branch .LBB33_563
.LBB33_408:
	s_mov_b64 s[26:27], -1
	s_mov_b64 s[0:1], 0
	s_mov_b64 s[24:25], s[20:21]
                                        ; implicit-def: $vgpr2
	s_branch .LBB33_421
.LBB33_409:
	s_mov_b64 s[28:29], -1
	s_mov_b64 s[0:1], 0
	s_mov_b64 s[26:27], s[18:19]
                                        ; implicit-def: $vgpr3
	s_branch .LBB33_544
.LBB33_410:
	s_mov_b64 s[26:27], -1
	s_mov_b64 s[0:1], 0
	s_mov_b64 s[24:25], s[20:21]
                                        ; implicit-def: $vgpr2
	s_branch .LBB33_415
.LBB33_411:
	s_mov_b64 s[28:29], -1
	s_mov_b64 s[0:1], 0
	s_mov_b64 s[26:27], s[18:19]
                                        ; implicit-def: $vgpr3
	s_branch .LBB33_539
.LBB33_412:
	s_or_saveexec_b64 s[28:29], s[28:29]
                                        ; implicit-def: $sgpr15
	s_xor_b64 exec, exec, s[28:29]
	s_cbranch_execz .LBB33_180
.LBB33_413:
	s_mov_b32 s15, 0x46000000
	v_add_f32_e64 v3, |v2|, s15
	v_and_b32_e32 v3, 0xff, v3
	v_cmp_ne_u32_e32 vcc, 0, v3
	s_andn2_b64 s[24:25], s[24:25], exec
	s_and_b64 s[30:31], vcc, exec
	s_mov_b32 s15, 0
	s_or_b64 s[24:25], s[24:25], s[30:31]
	s_or_b64 exec, exec, s[28:29]
	v_mov_b32_e32 v8, s15
	s_and_saveexec_b64 s[28:29], s[24:25]
	s_cbranch_execnz .LBB33_181
	s_branch .LBB33_182
.LBB33_414:
	s_mov_b64 s[24:25], -1
                                        ; implicit-def: $vgpr2
	s_mov_b64 s[0:1], 0
.LBB33_415:
	s_and_b64 vcc, exec, s[26:27]
	s_cbranch_vccz .LBB33_420
; %bb.416:
	v_mov_b32_e32 v2, 44
	v_cmp_eq_u16_sdwa s[24:25], v7, v2 src0_sel:BYTE_0 src1_sel:DWORD
	s_and_b64 vcc, exec, s[24:25]
	s_cbranch_vccz .LBB33_419
; %bb.417:
	global_load_ubyte v2, v[0:1], off
	s_movk_i32 s15, 0xff
	v_mov_b32_e32 v3, 0x7f800001
	v_mov_b32_e32 v8, 0x400000
	s_mov_b64 s[0:1], -1
	s_mov_b64 s[24:25], 0
	s_waitcnt vmcnt(0)
	v_lshlrev_b32_e32 v9, 23, v2
	v_cmp_ne_u32_e32 vcc, s15, v2
	v_cndmask_b32_e32 v3, v3, v9, vcc
	v_cmp_ne_u32_e32 vcc, 0, v2
	v_cndmask_b32_e32 v2, v8, v3, vcc
	s_branch .LBB33_420
.LBB33_418:
	s_mov_b64 s[28:29], -1
	s_mov_b64 s[0:1], 0
	s_mov_b64 s[26:27], s[18:19]
                                        ; implicit-def: $vgpr3
	s_branch .LBB33_534
.LBB33_419:
	s_mov_b64 s[24:25], -1
                                        ; implicit-def: $vgpr2
.LBB33_420:
	s_mov_b64 s[26:27], 0
.LBB33_421:
	s_and_b64 vcc, exec, s[26:27]
	s_cbranch_vccz .LBB33_425
; %bb.422:
	v_mov_b32_e32 v2, 29
	v_cmp_eq_u16_sdwa s[24:25], v7, v2 src0_sel:BYTE_0 src1_sel:DWORD
	s_and_b64 vcc, exec, s[24:25]
	s_cbranch_vccz .LBB33_424
; %bb.423:
	global_load_dwordx2 v[2:3], v[0:1], off
	s_mov_b64 s[0:1], -1
	s_mov_b64 s[24:25], 0
	s_mov_b64 s[26:27], 0
	s_waitcnt vmcnt(0)
	v_ffbh_u32_e32 v8, v3
	v_min_u32_e32 v8, 32, v8
	v_lshlrev_b64 v[2:3], v8, v[2:3]
	v_min_u32_e32 v2, 1, v2
	v_or_b32_e32 v2, v3, v2
	v_cvt_f32_u32_e32 v2, v2
	v_sub_u32_e32 v3, 32, v8
	v_ldexp_f32 v2, v2, v3
	s_branch .LBB33_426
.LBB33_424:
	s_mov_b64 s[24:25], -1
                                        ; implicit-def: $vgpr2
.LBB33_425:
	s_mov_b64 s[26:27], 0
.LBB33_426:
	s_and_b64 vcc, exec, s[26:27]
	s_cbranch_vccz .LBB33_444
; %bb.427:
	v_mov_b32_e32 v2, 27
	v_cmp_lt_i16_sdwa s[0:1], v7, v2 src0_sel:BYTE_0 src1_sel:DWORD
	s_and_b64 vcc, exec, s[0:1]
	s_cbranch_vccnz .LBB33_430
; %bb.428:
	v_cmp_gt_i16_sdwa s[0:1], v7, v2 src0_sel:BYTE_0 src1_sel:DWORD
	s_and_b64 vcc, exec, s[0:1]
	s_cbranch_vccz .LBB33_431
; %bb.429:
	global_load_dword v2, v[0:1], off
	s_mov_b64 s[0:1], 0
	s_waitcnt vmcnt(0)
	v_cvt_f32_u32_e32 v2, v2
	s_branch .LBB33_432
.LBB33_430:
	s_mov_b64 s[0:1], -1
                                        ; implicit-def: $vgpr2
	s_branch .LBB33_435
.LBB33_431:
	s_mov_b64 s[0:1], -1
                                        ; implicit-def: $vgpr2
.LBB33_432:
	s_andn2_b64 vcc, exec, s[0:1]
	s_cbranch_vccnz .LBB33_434
; %bb.433:
	global_load_ushort v2, v[0:1], off
	s_waitcnt vmcnt(0)
	v_cvt_f32_u32_e32 v2, v2
.LBB33_434:
	s_mov_b64 s[0:1], 0
.LBB33_435:
	s_andn2_b64 vcc, exec, s[0:1]
	s_cbranch_vccnz .LBB33_443
; %bb.436:
	global_load_ubyte v3, v[0:1], off
	s_movk_i32 s0, 0x7f
                                        ; implicit-def: $sgpr15
	s_waitcnt vmcnt(0)
	v_cmp_lt_i16_e32 vcc, s0, v3
	s_mov_b64 s[0:1], 0
	s_and_saveexec_b64 s[26:27], vcc
	s_xor_b64 s[26:27], exec, s[26:27]
	s_cbranch_execz .LBB33_457
; %bb.437:
	s_movk_i32 s0, 0x80
	v_cmp_eq_u16_e32 vcc, s0, v3
	s_mov_b64 s[0:1], -1
                                        ; implicit-def: $sgpr15
	s_and_saveexec_b64 s[28:29], vcc
; %bb.438:
	s_mov_b32 s15, 0x7f800001
	s_xor_b64 s[0:1], exec, -1
; %bb.439:
	s_or_b64 exec, exec, s[28:29]
	s_and_b64 s[0:1], s[0:1], exec
	s_or_saveexec_b64 s[26:27], s[26:27]
	v_mov_b32_e32 v2, s15
	s_xor_b64 exec, exec, s[26:27]
	s_cbranch_execnz .LBB33_458
.LBB33_440:
	s_or_b64 exec, exec, s[26:27]
	s_and_saveexec_b64 s[26:27], s[0:1]
	s_cbranch_execz .LBB33_442
.LBB33_441:
	v_lshlrev_b32_e32 v2, 24, v3
	v_and_b32_e32 v3, 0xffff, v3
	v_and_b32_e32 v8, 7, v3
	v_ffbh_u32_e32 v10, v8
	v_min_u32_e32 v10, 32, v10
	v_subrev_u32_e32 v11, 28, v10
	v_bfe_u32 v9, v3, 3, 4
	v_lshlrev_b32_e32 v3, v11, v3
	v_sub_u32_e32 v10, 29, v10
	v_and_b32_e32 v3, 7, v3
	v_cmp_eq_u32_e32 vcc, 0, v9
	v_cndmask_b32_e32 v9, v9, v10, vcc
	v_cndmask_b32_e32 v3, v8, v3, vcc
	v_mov_b32_e32 v8, 0x3b800000
	v_lshlrev_b32_e32 v3, 20, v3
	v_and_b32_e32 v2, 0x80000000, v2
	v_lshl_add_u32 v8, v9, 23, v8
	v_or3_b32 v2, v2, v8, v3
.LBB33_442:
	s_or_b64 exec, exec, s[26:27]
.LBB33_443:
	s_mov_b64 s[0:1], -1
.LBB33_444:
	s_mov_b64 s[26:27], 0
.LBB33_445:
	s_and_b64 vcc, exec, s[26:27]
	s_cbranch_vccz .LBB33_480
; %bb.446:
	v_mov_b32_e32 v2, 22
	v_cmp_gt_i16_sdwa s[26:27], v7, v2 src0_sel:BYTE_0 src1_sel:DWORD
	s_and_b64 vcc, exec, s[26:27]
	s_cbranch_vccz .LBB33_456
; %bb.447:
	v_mov_b32_e32 v2, 24
	v_cmp_lt_i16_sdwa s[0:1], v7, v2 src0_sel:BYTE_0 src1_sel:DWORD
	s_and_b64 vcc, exec, s[0:1]
	s_cbranch_vccnz .LBB33_459
; %bb.448:
	v_cmp_gt_i16_sdwa s[0:1], v7, v2 src0_sel:BYTE_0 src1_sel:DWORD
	s_and_b64 vcc, exec, s[0:1]
	s_cbranch_vccz .LBB33_460
; %bb.449:
	global_load_ubyte v3, v[0:1], off
	s_movk_i32 s0, 0x7f
                                        ; implicit-def: $sgpr15
	s_waitcnt vmcnt(0)
	v_cmp_lt_i16_e32 vcc, s0, v3
	s_mov_b64 s[0:1], 0
	s_and_saveexec_b64 s[26:27], vcc
	s_xor_b64 s[26:27], exec, s[26:27]
	s_cbranch_execz .LBB33_472
; %bb.450:
	s_movk_i32 s0, 0x80
	v_cmp_eq_u16_e32 vcc, s0, v3
	s_mov_b64 s[0:1], -1
                                        ; implicit-def: $sgpr15
	s_and_saveexec_b64 s[28:29], vcc
; %bb.451:
	s_mov_b32 s15, 0x7f800001
	s_xor_b64 s[0:1], exec, -1
; %bb.452:
	s_or_b64 exec, exec, s[28:29]
	s_and_b64 s[0:1], s[0:1], exec
	s_or_saveexec_b64 s[26:27], s[26:27]
	v_mov_b32_e32 v2, s15
	s_xor_b64 exec, exec, s[26:27]
	s_cbranch_execnz .LBB33_473
.LBB33_453:
	s_or_b64 exec, exec, s[26:27]
	s_and_saveexec_b64 s[26:27], s[0:1]
	s_cbranch_execz .LBB33_455
.LBB33_454:
	v_lshlrev_b32_e32 v2, 24, v3
	v_and_b32_e32 v3, 0xffff, v3
	v_and_b32_e32 v8, 3, v3
	v_ffbh_u32_e32 v10, v8
	v_min_u32_e32 v10, 32, v10
	v_subrev_u32_e32 v11, 29, v10
	v_bfe_u32 v9, v3, 2, 5
	v_lshlrev_b32_e32 v3, v11, v3
	v_sub_u32_e32 v10, 30, v10
	v_and_b32_e32 v3, 3, v3
	v_cmp_eq_u32_e32 vcc, 0, v9
	v_cndmask_b32_e32 v9, v9, v10, vcc
	v_cndmask_b32_e32 v3, v8, v3, vcc
	v_mov_b32_e32 v8, 0x37800000
	v_lshlrev_b32_e32 v3, 21, v3
	v_and_b32_e32 v2, 0x80000000, v2
	v_lshl_add_u32 v8, v9, 23, v8
	v_or3_b32 v2, v2, v8, v3
.LBB33_455:
	s_or_b64 exec, exec, s[26:27]
	s_mov_b64 s[0:1], 0
	s_branch .LBB33_461
.LBB33_456:
	s_mov_b64 s[26:27], -1
                                        ; implicit-def: $vgpr2
	s_branch .LBB33_467
.LBB33_457:
	s_or_saveexec_b64 s[26:27], s[26:27]
	v_mov_b32_e32 v2, s15
	s_xor_b64 exec, exec, s[26:27]
	s_cbranch_execz .LBB33_440
.LBB33_458:
	v_cmp_ne_u16_e32 vcc, 0, v3
	s_andn2_b64 s[0:1], s[0:1], exec
	s_and_b64 s[28:29], vcc, exec
	v_mov_b32_e32 v2, 0
	s_or_b64 s[0:1], s[0:1], s[28:29]
	s_or_b64 exec, exec, s[26:27]
	s_and_saveexec_b64 s[26:27], s[0:1]
	s_cbranch_execnz .LBB33_441
	s_branch .LBB33_442
.LBB33_459:
	s_mov_b64 s[0:1], -1
                                        ; implicit-def: $vgpr2
	s_branch .LBB33_464
.LBB33_460:
	s_mov_b64 s[0:1], -1
                                        ; implicit-def: $vgpr2
.LBB33_461:
	s_and_b64 vcc, exec, s[0:1]
	s_cbranch_vccz .LBB33_463
; %bb.462:
	global_load_ubyte v2, v[0:1], off
	s_mov_b32 s0, 0x7f800000
	s_waitcnt vmcnt(0)
	v_lshlrev_b32_e32 v2, 24, v2
	v_and_b32_e32 v3, 0x7f000000, v2
	v_ffbh_u32_e32 v8, v3
	v_min_u32_e32 v8, 32, v8
	v_sub_u32_e64 v8, v8, 4 clamp
	v_lshlrev_b32_e32 v10, v8, v3
	v_lshlrev_b32_e32 v8, 23, v8
	v_lshrrev_b32_e32 v10, 4, v10
	v_add_u32_e32 v9, 0x1000000, v3
	v_sub_u32_e32 v8, v10, v8
	v_ashrrev_i32_e32 v9, 8, v9
	v_add_u32_e32 v8, 0x3c000000, v8
	v_and_or_b32 v8, v9, s0, v8
	v_cmp_ne_u32_e32 vcc, 0, v3
	v_cndmask_b32_e32 v3, 0, v8, vcc
	s_brev_b32 s0, 1
	v_and_or_b32 v2, v2, s0, v3
.LBB33_463:
	s_mov_b64 s[0:1], 0
.LBB33_464:
	s_andn2_b64 vcc, exec, s[0:1]
	s_cbranch_vccnz .LBB33_466
; %bb.465:
	global_load_ubyte v2, v[0:1], off
	s_movk_i32 s0, 0x7f00
	s_brev_b32 s1, 16
	s_waitcnt vmcnt(0)
	v_lshlrev_b16_e32 v3, 8, v2
	v_lshlrev_b32_e32 v2, 25, v2
	v_lshrrev_b32_e32 v8, 4, v2
	v_and_or_b32 v9, v3, s0, 0.5
	v_or_b32_e32 v8, 0x70000000, v8
	v_add_f32_e32 v9, -0.5, v9
	v_mul_f32_e32 v8, 0x7800000, v8
	v_cmp_gt_u32_e32 vcc, s1, v2
	v_bfe_i32 v3, v3, 0, 16
	v_cndmask_b32_e32 v2, v8, v9, vcc
	s_brev_b32 s0, 1
	v_and_or_b32 v2, v3, s0, v2
.LBB33_466:
	s_mov_b64 s[26:27], 0
	s_mov_b64 s[0:1], -1
.LBB33_467:
	s_andn2_b64 vcc, exec, s[26:27]
	s_cbranch_vccnz .LBB33_480
; %bb.468:
	v_mov_b32_e32 v2, 14
	v_cmp_gt_i16_sdwa s[26:27], v7, v2 src0_sel:BYTE_0 src1_sel:DWORD
	s_and_b64 vcc, exec, s[26:27]
	s_cbranch_vccz .LBB33_471
; %bb.469:
	v_mov_b32_e32 v2, 15
	v_cmp_eq_u16_sdwa s[24:25], v7, v2 src0_sel:BYTE_0 src1_sel:DWORD
	s_and_b64 vcc, exec, s[24:25]
	s_cbranch_vccz .LBB33_474
; %bb.470:
	global_load_ushort v2, v[0:1], off
	s_mov_b64 s[0:1], -1
	s_mov_b64 s[24:25], 0
	s_waitcnt vmcnt(0)
	v_lshlrev_b32_e32 v2, 16, v2
	s_branch .LBB33_475
.LBB33_471:
	s_mov_b64 s[26:27], -1
                                        ; implicit-def: $vgpr2
	s_branch .LBB33_476
.LBB33_472:
	s_or_saveexec_b64 s[26:27], s[26:27]
	v_mov_b32_e32 v2, s15
	s_xor_b64 exec, exec, s[26:27]
	s_cbranch_execz .LBB33_453
.LBB33_473:
	v_cmp_ne_u16_e32 vcc, 0, v3
	s_andn2_b64 s[0:1], s[0:1], exec
	s_and_b64 s[28:29], vcc, exec
	v_mov_b32_e32 v2, 0
	s_or_b64 s[0:1], s[0:1], s[28:29]
	s_or_b64 exec, exec, s[26:27]
	s_and_saveexec_b64 s[26:27], s[0:1]
	s_cbranch_execnz .LBB33_454
	s_branch .LBB33_455
.LBB33_474:
	s_mov_b64 s[24:25], -1
                                        ; implicit-def: $vgpr2
.LBB33_475:
	s_mov_b64 s[26:27], 0
.LBB33_476:
	s_and_b64 vcc, exec, s[26:27]
	s_cbranch_vccz .LBB33_480
; %bb.477:
	v_mov_b32_e32 v2, 11
	v_cmp_eq_u16_sdwa s[24:25], v7, v2 src0_sel:BYTE_0 src1_sel:DWORD
	s_and_b64 vcc, exec, s[24:25]
	s_cbranch_vccz .LBB33_479
; %bb.478:
	global_load_ubyte v2, v[0:1], off
	s_mov_b64 s[0:1], -1
	s_mov_b64 s[24:25], 0
	s_waitcnt vmcnt(0)
	v_cmp_ne_u16_e32 vcc, 0, v2
	v_cndmask_b32_e64 v2, 0, 1.0, vcc
	s_branch .LBB33_480
.LBB33_479:
	s_mov_b64 s[24:25], -1
                                        ; implicit-def: $vgpr2
.LBB33_480:
	s_branch .LBB33_396
.LBB33_481:
	v_mov_b32_e32 v2, 5
	v_cmp_lt_i16_sdwa s[0:1], v7, v2 src0_sel:BYTE_0 src1_sel:DWORD
	s_and_b64 vcc, exec, s[0:1]
	s_cbranch_vccnz .LBB33_486
; %bb.482:
	v_mov_b32_e32 v2, 8
	v_cmp_lt_i16_sdwa s[0:1], v7, v2 src0_sel:BYTE_0 src1_sel:DWORD
	s_and_b64 vcc, exec, s[0:1]
	s_cbranch_vccnz .LBB33_487
; %bb.483:
	;; [unrolled: 5-line block ×3, first 2 shown]
	v_cmp_gt_i16_sdwa s[0:1], v7, v2 src0_sel:BYTE_0 src1_sel:DWORD
	s_and_b64 vcc, exec, s[0:1]
	s_cbranch_vccz .LBB33_489
; %bb.485:
	global_load_dwordx2 v[2:3], v[0:1], off
	s_mov_b64 s[0:1], 0
	s_waitcnt vmcnt(0)
	v_cvt_f32_f64_e32 v2, v[2:3]
	s_branch .LBB33_490
.LBB33_486:
	s_mov_b64 s[0:1], -1
                                        ; implicit-def: $vgpr2
	s_branch .LBB33_508
.LBB33_487:
	s_mov_b64 s[0:1], -1
                                        ; implicit-def: $vgpr2
	s_branch .LBB33_496
.LBB33_488:
	s_mov_b64 s[0:1], -1
                                        ; implicit-def: $vgpr2
	s_branch .LBB33_493
.LBB33_489:
	s_mov_b64 s[0:1], -1
                                        ; implicit-def: $vgpr2
.LBB33_490:
	s_andn2_b64 vcc, exec, s[0:1]
	s_cbranch_vccnz .LBB33_492
; %bb.491:
	global_load_dword v2, v[0:1], off
.LBB33_492:
	s_mov_b64 s[0:1], 0
.LBB33_493:
	s_andn2_b64 vcc, exec, s[0:1]
	s_cbranch_vccnz .LBB33_495
; %bb.494:
	global_load_dword v2, v[0:1], off
	s_waitcnt vmcnt(0)
	v_cvt_f32_f16_e32 v2, v2
.LBB33_495:
	s_mov_b64 s[0:1], 0
.LBB33_496:
	s_andn2_b64 vcc, exec, s[0:1]
	s_cbranch_vccnz .LBB33_507
; %bb.497:
	s_waitcnt vmcnt(0)
	v_mov_b32_e32 v2, 6
	v_cmp_lt_i16_sdwa s[0:1], v7, v2 src0_sel:BYTE_0 src1_sel:DWORD
	s_and_b64 vcc, exec, s[0:1]
	s_cbranch_vccnz .LBB33_500
; %bb.498:
	v_cmp_gt_i16_sdwa s[0:1], v7, v2 src0_sel:BYTE_0 src1_sel:DWORD
	s_and_b64 vcc, exec, s[0:1]
	s_cbranch_vccz .LBB33_501
; %bb.499:
	global_load_dwordx2 v[2:3], v[0:1], off
	s_mov_b64 s[0:1], 0
	s_waitcnt vmcnt(0)
	v_cvt_f32_f64_e32 v2, v[2:3]
	s_branch .LBB33_502
.LBB33_500:
	s_mov_b64 s[0:1], -1
                                        ; implicit-def: $vgpr2
	s_branch .LBB33_505
.LBB33_501:
	s_mov_b64 s[0:1], -1
                                        ; implicit-def: $vgpr2
.LBB33_502:
	s_andn2_b64 vcc, exec, s[0:1]
	s_cbranch_vccnz .LBB33_504
; %bb.503:
	global_load_dword v2, v[0:1], off
.LBB33_504:
	s_mov_b64 s[0:1], 0
.LBB33_505:
	s_andn2_b64 vcc, exec, s[0:1]
	s_cbranch_vccnz .LBB33_507
; %bb.506:
	global_load_ushort v2, v[0:1], off
	s_waitcnt vmcnt(0)
	v_cvt_f32_f16_e32 v2, v2
.LBB33_507:
	s_mov_b64 s[0:1], 0
.LBB33_508:
	s_andn2_b64 vcc, exec, s[0:1]
	s_cbranch_vccnz .LBB33_528
; %bb.509:
	s_waitcnt vmcnt(0)
	v_mov_b32_e32 v2, 2
	v_cmp_lt_i16_sdwa s[0:1], v7, v2 src0_sel:BYTE_0 src1_sel:DWORD
	s_and_b64 vcc, exec, s[0:1]
	s_cbranch_vccnz .LBB33_513
; %bb.510:
	v_mov_b32_e32 v2, 3
	v_cmp_lt_i16_sdwa s[0:1], v7, v2 src0_sel:BYTE_0 src1_sel:DWORD
	s_and_b64 vcc, exec, s[0:1]
	s_cbranch_vccnz .LBB33_514
; %bb.511:
	v_cmp_gt_i16_sdwa s[0:1], v7, v2 src0_sel:BYTE_0 src1_sel:DWORD
	s_and_b64 vcc, exec, s[0:1]
	s_cbranch_vccz .LBB33_515
; %bb.512:
	global_load_dwordx2 v[2:3], v[0:1], off
	s_mov_b64 s[0:1], 0
	s_waitcnt vmcnt(0)
	v_xor_b32_e32 v9, v2, v3
	v_ffbh_i32_e32 v8, v3
	v_ashrrev_i32_e32 v9, 31, v9
	v_add_u32_e32 v8, -1, v8
	v_add_u32_e32 v9, 32, v9
	v_min_u32_e32 v8, v8, v9
	v_lshlrev_b64 v[2:3], v8, v[2:3]
	v_min_u32_e32 v2, 1, v2
	v_or_b32_e32 v2, v3, v2
	v_cvt_f32_i32_e32 v2, v2
	v_sub_u32_e32 v3, 32, v8
	v_ldexp_f32 v2, v2, v3
	s_branch .LBB33_516
.LBB33_513:
	s_mov_b64 s[0:1], -1
                                        ; implicit-def: $vgpr2
	s_branch .LBB33_522
.LBB33_514:
	s_mov_b64 s[0:1], -1
                                        ; implicit-def: $vgpr2
	s_branch .LBB33_519
.LBB33_515:
	s_mov_b64 s[0:1], -1
                                        ; implicit-def: $vgpr2
.LBB33_516:
	s_andn2_b64 vcc, exec, s[0:1]
	s_cbranch_vccnz .LBB33_518
; %bb.517:
	global_load_dword v2, v[0:1], off
	s_waitcnt vmcnt(0)
	v_cvt_f32_i32_e32 v2, v2
.LBB33_518:
	s_mov_b64 s[0:1], 0
.LBB33_519:
	s_andn2_b64 vcc, exec, s[0:1]
	s_cbranch_vccnz .LBB33_521
; %bb.520:
	global_load_sshort v2, v[0:1], off
	s_waitcnt vmcnt(0)
	v_cvt_f32_i32_e32 v2, v2
.LBB33_521:
	s_mov_b64 s[0:1], 0
.LBB33_522:
	s_andn2_b64 vcc, exec, s[0:1]
	s_cbranch_vccnz .LBB33_528
; %bb.523:
	v_mov_b32_e32 v2, 0
	v_cmp_gt_i16_sdwa s[0:1], v7, v2 src0_sel:BYTE_0 src1_sel:DWORD
	s_and_b64 vcc, exec, s[0:1]
	s_cbranch_vccz .LBB33_525
; %bb.524:
	global_load_sbyte v2, v[0:1], off
	s_mov_b64 s[0:1], 0
	s_waitcnt vmcnt(0)
	v_cvt_f32_i32_e32 v2, v2
	s_branch .LBB33_526
.LBB33_525:
	s_mov_b64 s[0:1], -1
                                        ; implicit-def: $vgpr2
.LBB33_526:
	s_andn2_b64 vcc, exec, s[0:1]
	s_cbranch_vccnz .LBB33_528
; %bb.527:
	global_load_ubyte v0, v[0:1], off
	s_waitcnt vmcnt(0)
	v_cvt_f32_ubyte0_e32 v2, v0
.LBB33_528:
	s_branch .LBB33_397
.LBB33_529:
	s_mov_b64 s[34:35], 0
	s_mov_b64 s[0:1], s[6:7]
	;; [unrolled: 1-line block ×3, first 2 shown]
.LBB33_530:
                                        ; implicit-def: $vgpr5
	s_branch .LBB33_772
.LBB33_531:
	s_or_saveexec_b64 s[28:29], s[28:29]
                                        ; implicit-def: $sgpr15
	s_xor_b64 exec, exec, s[28:29]
	s_cbranch_execz .LBB33_193
.LBB33_532:
	s_mov_b32 s15, 0x42800000
	v_add_f32_e64 v3, |v2|, s15
	v_and_b32_e32 v3, 0xff, v3
	v_cmp_ne_u32_e32 vcc, 0, v3
	s_andn2_b64 s[24:25], s[24:25], exec
	s_and_b64 s[30:31], vcc, exec
	s_mov_b32 s15, 0
	s_or_b64 s[24:25], s[24:25], s[30:31]
	s_or_b64 exec, exec, s[28:29]
	v_mov_b32_e32 v8, s15
	s_and_saveexec_b64 s[28:29], s[24:25]
	s_cbranch_execnz .LBB33_194
	s_branch .LBB33_195
.LBB33_533:
	s_mov_b64 s[26:27], -1
                                        ; implicit-def: $vgpr3
	s_mov_b64 s[0:1], 0
.LBB33_534:
	s_and_b64 vcc, exec, s[28:29]
	s_cbranch_vccz .LBB33_538
; %bb.535:
	v_mov_b32_e32 v3, 44
	v_cmp_eq_u16_sdwa s[26:27], v6, v3 src0_sel:BYTE_0 src1_sel:DWORD
	s_and_b64 vcc, exec, s[26:27]
	s_cbranch_vccz .LBB33_537
; %bb.536:
	global_load_ubyte v3, v[0:1], off
	s_movk_i32 s15, 0xff
	v_mov_b32_e32 v8, 0x7f800001
	v_mov_b32_e32 v9, 0x400000
	s_mov_b64 s[0:1], -1
	s_mov_b64 s[26:27], 0
	s_waitcnt vmcnt(0)
	v_lshlrev_b32_e32 v10, 23, v3
	v_cmp_ne_u32_e32 vcc, s15, v3
	v_cndmask_b32_e32 v8, v8, v10, vcc
	v_cmp_ne_u32_e32 vcc, 0, v3
	v_cndmask_b32_e32 v3, v9, v8, vcc
	s_branch .LBB33_538
.LBB33_537:
	s_mov_b64 s[26:27], -1
                                        ; implicit-def: $vgpr3
.LBB33_538:
	s_mov_b64 s[28:29], 0
.LBB33_539:
	s_and_b64 vcc, exec, s[28:29]
	s_cbranch_vccz .LBB33_543
; %bb.540:
	v_mov_b32_e32 v3, 29
	v_cmp_eq_u16_sdwa s[26:27], v6, v3 src0_sel:BYTE_0 src1_sel:DWORD
	s_and_b64 vcc, exec, s[26:27]
	s_cbranch_vccz .LBB33_542
; %bb.541:
	global_load_dwordx2 v[8:9], v[0:1], off
	s_mov_b64 s[0:1], -1
	s_mov_b64 s[26:27], 0
	s_mov_b64 s[28:29], 0
	s_waitcnt vmcnt(0)
	v_ffbh_u32_e32 v3, v9
	v_min_u32_e32 v3, 32, v3
	v_lshlrev_b64 v[8:9], v3, v[8:9]
	v_min_u32_e32 v8, 1, v8
	v_or_b32_e32 v8, v9, v8
	v_cvt_f32_u32_e32 v8, v8
	v_sub_u32_e32 v3, 32, v3
	v_ldexp_f32 v3, v8, v3
	s_branch .LBB33_544
.LBB33_542:
	s_mov_b64 s[26:27], -1
                                        ; implicit-def: $vgpr3
.LBB33_543:
	s_mov_b64 s[28:29], 0
.LBB33_544:
	s_and_b64 vcc, exec, s[28:29]
	s_cbranch_vccz .LBB33_562
; %bb.545:
	v_mov_b32_e32 v3, 27
	v_cmp_lt_i16_sdwa s[0:1], v6, v3 src0_sel:BYTE_0 src1_sel:DWORD
	s_and_b64 vcc, exec, s[0:1]
	s_cbranch_vccnz .LBB33_548
; %bb.546:
	v_cmp_gt_i16_sdwa s[0:1], v6, v3 src0_sel:BYTE_0 src1_sel:DWORD
	s_and_b64 vcc, exec, s[0:1]
	s_cbranch_vccz .LBB33_549
; %bb.547:
	global_load_dword v3, v[0:1], off
	s_mov_b64 s[0:1], 0
	s_waitcnt vmcnt(0)
	v_cvt_f32_u32_e32 v3, v3
	s_branch .LBB33_550
.LBB33_548:
	s_mov_b64 s[0:1], -1
                                        ; implicit-def: $vgpr3
	s_branch .LBB33_553
.LBB33_549:
	s_mov_b64 s[0:1], -1
                                        ; implicit-def: $vgpr3
.LBB33_550:
	s_andn2_b64 vcc, exec, s[0:1]
	s_cbranch_vccnz .LBB33_552
; %bb.551:
	global_load_ushort v3, v[0:1], off
	s_waitcnt vmcnt(0)
	v_cvt_f32_u32_e32 v3, v3
.LBB33_552:
	s_mov_b64 s[0:1], 0
.LBB33_553:
	s_andn2_b64 vcc, exec, s[0:1]
	s_cbranch_vccnz .LBB33_561
; %bb.554:
	global_load_ubyte v8, v[0:1], off
	s_movk_i32 s0, 0x7f
                                        ; implicit-def: $sgpr15
	s_waitcnt vmcnt(0)
	v_cmp_lt_i16_e32 vcc, s0, v8
	s_mov_b64 s[0:1], 0
	s_and_saveexec_b64 s[28:29], vcc
	s_xor_b64 s[28:29], exec, s[28:29]
	s_cbranch_execz .LBB33_575
; %bb.555:
	s_movk_i32 s0, 0x80
	v_cmp_eq_u16_e32 vcc, s0, v8
	s_mov_b64 s[0:1], -1
                                        ; implicit-def: $sgpr15
	s_and_saveexec_b64 s[34:35], vcc
; %bb.556:
	s_mov_b32 s15, 0x7f800001
	s_xor_b64 s[0:1], exec, -1
; %bb.557:
	s_or_b64 exec, exec, s[34:35]
	s_and_b64 s[0:1], s[0:1], exec
	s_or_saveexec_b64 s[28:29], s[28:29]
	v_mov_b32_e32 v3, s15
	s_xor_b64 exec, exec, s[28:29]
	s_cbranch_execnz .LBB33_576
.LBB33_558:
	s_or_b64 exec, exec, s[28:29]
	s_and_saveexec_b64 s[28:29], s[0:1]
	s_cbranch_execz .LBB33_560
.LBB33_559:
	v_lshlrev_b32_e32 v3, 24, v8
	v_and_b32_e32 v8, 0xffff, v8
	v_and_b32_e32 v9, 7, v8
	v_ffbh_u32_e32 v11, v9
	v_min_u32_e32 v11, 32, v11
	v_subrev_u32_e32 v12, 28, v11
	v_bfe_u32 v10, v8, 3, 4
	v_lshlrev_b32_e32 v8, v12, v8
	v_sub_u32_e32 v11, 29, v11
	v_and_b32_e32 v8, 7, v8
	v_cmp_eq_u32_e32 vcc, 0, v10
	v_cndmask_b32_e32 v10, v10, v11, vcc
	v_cndmask_b32_e32 v8, v9, v8, vcc
	v_mov_b32_e32 v9, 0x3b800000
	v_lshlrev_b32_e32 v8, 20, v8
	v_and_b32_e32 v3, 0x80000000, v3
	v_lshl_add_u32 v9, v10, 23, v9
	v_or3_b32 v3, v3, v9, v8
.LBB33_560:
	s_or_b64 exec, exec, s[28:29]
.LBB33_561:
	s_mov_b64 s[0:1], -1
.LBB33_562:
	s_mov_b64 s[28:29], 0
.LBB33_563:
	s_and_b64 vcc, exec, s[28:29]
	s_cbranch_vccz .LBB33_598
; %bb.564:
	v_mov_b32_e32 v3, 22
	v_cmp_gt_i16_sdwa s[28:29], v6, v3 src0_sel:BYTE_0 src1_sel:DWORD
	s_and_b64 vcc, exec, s[28:29]
	s_cbranch_vccz .LBB33_574
; %bb.565:
	v_mov_b32_e32 v3, 24
	v_cmp_lt_i16_sdwa s[0:1], v6, v3 src0_sel:BYTE_0 src1_sel:DWORD
	s_and_b64 vcc, exec, s[0:1]
	s_cbranch_vccnz .LBB33_577
; %bb.566:
	v_cmp_gt_i16_sdwa s[0:1], v6, v3 src0_sel:BYTE_0 src1_sel:DWORD
	s_and_b64 vcc, exec, s[0:1]
	s_cbranch_vccz .LBB33_578
; %bb.567:
	global_load_ubyte v8, v[0:1], off
	s_movk_i32 s0, 0x7f
                                        ; implicit-def: $sgpr15
	s_waitcnt vmcnt(0)
	v_cmp_lt_i16_e32 vcc, s0, v8
	s_mov_b64 s[0:1], 0
	s_and_saveexec_b64 s[28:29], vcc
	s_xor_b64 s[28:29], exec, s[28:29]
	s_cbranch_execz .LBB33_590
; %bb.568:
	s_movk_i32 s0, 0x80
	v_cmp_eq_u16_e32 vcc, s0, v8
	s_mov_b64 s[0:1], -1
                                        ; implicit-def: $sgpr15
	s_and_saveexec_b64 s[34:35], vcc
; %bb.569:
	s_mov_b32 s15, 0x7f800001
	s_xor_b64 s[0:1], exec, -1
; %bb.570:
	s_or_b64 exec, exec, s[34:35]
	s_and_b64 s[0:1], s[0:1], exec
	s_or_saveexec_b64 s[28:29], s[28:29]
	v_mov_b32_e32 v3, s15
	s_xor_b64 exec, exec, s[28:29]
	s_cbranch_execnz .LBB33_591
.LBB33_571:
	s_or_b64 exec, exec, s[28:29]
	s_and_saveexec_b64 s[28:29], s[0:1]
	s_cbranch_execz .LBB33_573
.LBB33_572:
	v_lshlrev_b32_e32 v3, 24, v8
	v_and_b32_e32 v8, 0xffff, v8
	v_and_b32_e32 v9, 3, v8
	v_ffbh_u32_e32 v11, v9
	v_min_u32_e32 v11, 32, v11
	v_subrev_u32_e32 v12, 29, v11
	v_bfe_u32 v10, v8, 2, 5
	v_lshlrev_b32_e32 v8, v12, v8
	v_sub_u32_e32 v11, 30, v11
	v_and_b32_e32 v8, 3, v8
	v_cmp_eq_u32_e32 vcc, 0, v10
	v_cndmask_b32_e32 v10, v10, v11, vcc
	v_cndmask_b32_e32 v8, v9, v8, vcc
	v_mov_b32_e32 v9, 0x37800000
	v_lshlrev_b32_e32 v8, 21, v8
	v_and_b32_e32 v3, 0x80000000, v3
	v_lshl_add_u32 v9, v10, 23, v9
	v_or3_b32 v3, v3, v9, v8
.LBB33_573:
	s_or_b64 exec, exec, s[28:29]
	s_mov_b64 s[0:1], 0
	s_branch .LBB33_579
.LBB33_574:
	s_mov_b64 s[28:29], -1
                                        ; implicit-def: $vgpr3
	s_branch .LBB33_585
.LBB33_575:
	s_or_saveexec_b64 s[28:29], s[28:29]
	v_mov_b32_e32 v3, s15
	s_xor_b64 exec, exec, s[28:29]
	s_cbranch_execz .LBB33_558
.LBB33_576:
	v_cmp_ne_u16_e32 vcc, 0, v8
	s_andn2_b64 s[0:1], s[0:1], exec
	s_and_b64 s[34:35], vcc, exec
	v_mov_b32_e32 v3, 0
	s_or_b64 s[0:1], s[0:1], s[34:35]
	s_or_b64 exec, exec, s[28:29]
	s_and_saveexec_b64 s[28:29], s[0:1]
	s_cbranch_execnz .LBB33_559
	s_branch .LBB33_560
.LBB33_577:
	s_mov_b64 s[0:1], -1
                                        ; implicit-def: $vgpr3
	s_branch .LBB33_582
.LBB33_578:
	s_mov_b64 s[0:1], -1
                                        ; implicit-def: $vgpr3
.LBB33_579:
	s_and_b64 vcc, exec, s[0:1]
	s_cbranch_vccz .LBB33_581
; %bb.580:
	global_load_ubyte v3, v[0:1], off
	s_mov_b32 s0, 0x7f800000
	s_waitcnt vmcnt(0)
	v_lshlrev_b32_e32 v3, 24, v3
	v_and_b32_e32 v8, 0x7f000000, v3
	v_ffbh_u32_e32 v9, v8
	v_min_u32_e32 v9, 32, v9
	v_sub_u32_e64 v9, v9, 4 clamp
	v_lshlrev_b32_e32 v11, v9, v8
	v_lshlrev_b32_e32 v9, 23, v9
	v_lshrrev_b32_e32 v11, 4, v11
	v_add_u32_e32 v10, 0x1000000, v8
	v_sub_u32_e32 v9, v11, v9
	v_ashrrev_i32_e32 v10, 8, v10
	v_add_u32_e32 v9, 0x3c000000, v9
	v_and_or_b32 v9, v10, s0, v9
	v_cmp_ne_u32_e32 vcc, 0, v8
	v_cndmask_b32_e32 v8, 0, v9, vcc
	s_brev_b32 s0, 1
	v_and_or_b32 v3, v3, s0, v8
.LBB33_581:
	s_mov_b64 s[0:1], 0
.LBB33_582:
	s_andn2_b64 vcc, exec, s[0:1]
	s_cbranch_vccnz .LBB33_584
; %bb.583:
	global_load_ubyte v3, v[0:1], off
	s_movk_i32 s0, 0x7f00
	s_brev_b32 s1, 16
	s_waitcnt vmcnt(0)
	v_lshlrev_b16_e32 v8, 8, v3
	v_lshlrev_b32_e32 v3, 25, v3
	v_lshrrev_b32_e32 v9, 4, v3
	v_and_or_b32 v10, v8, s0, 0.5
	v_or_b32_e32 v9, 0x70000000, v9
	v_add_f32_e32 v10, -0.5, v10
	v_mul_f32_e32 v9, 0x7800000, v9
	v_cmp_gt_u32_e32 vcc, s1, v3
	v_bfe_i32 v8, v8, 0, 16
	v_cndmask_b32_e32 v3, v9, v10, vcc
	s_brev_b32 s0, 1
	v_and_or_b32 v3, v8, s0, v3
.LBB33_584:
	s_mov_b64 s[28:29], 0
	s_mov_b64 s[0:1], -1
.LBB33_585:
	s_andn2_b64 vcc, exec, s[28:29]
	s_cbranch_vccnz .LBB33_598
; %bb.586:
	v_mov_b32_e32 v3, 14
	v_cmp_gt_i16_sdwa s[28:29], v6, v3 src0_sel:BYTE_0 src1_sel:DWORD
	s_and_b64 vcc, exec, s[28:29]
	s_cbranch_vccz .LBB33_589
; %bb.587:
	v_mov_b32_e32 v3, 15
	v_cmp_eq_u16_sdwa s[26:27], v6, v3 src0_sel:BYTE_0 src1_sel:DWORD
	s_and_b64 vcc, exec, s[26:27]
	s_cbranch_vccz .LBB33_592
; %bb.588:
	global_load_ushort v3, v[0:1], off
	s_mov_b64 s[0:1], -1
	s_mov_b64 s[26:27], 0
	s_waitcnt vmcnt(0)
	v_lshlrev_b32_e32 v3, 16, v3
	s_branch .LBB33_593
.LBB33_589:
	s_mov_b64 s[28:29], -1
                                        ; implicit-def: $vgpr3
	s_branch .LBB33_594
.LBB33_590:
	s_or_saveexec_b64 s[28:29], s[28:29]
	v_mov_b32_e32 v3, s15
	s_xor_b64 exec, exec, s[28:29]
	s_cbranch_execz .LBB33_571
.LBB33_591:
	v_cmp_ne_u16_e32 vcc, 0, v8
	s_andn2_b64 s[0:1], s[0:1], exec
	s_and_b64 s[34:35], vcc, exec
	v_mov_b32_e32 v3, 0
	s_or_b64 s[0:1], s[0:1], s[34:35]
	s_or_b64 exec, exec, s[28:29]
	s_and_saveexec_b64 s[28:29], s[0:1]
	s_cbranch_execnz .LBB33_572
	s_branch .LBB33_573
.LBB33_592:
	s_mov_b64 s[26:27], -1
                                        ; implicit-def: $vgpr3
.LBB33_593:
	s_mov_b64 s[28:29], 0
.LBB33_594:
	s_and_b64 vcc, exec, s[28:29]
	s_cbranch_vccz .LBB33_598
; %bb.595:
	v_mov_b32_e32 v3, 11
	v_cmp_eq_u16_sdwa s[26:27], v6, v3 src0_sel:BYTE_0 src1_sel:DWORD
	s_and_b64 vcc, exec, s[26:27]
	s_cbranch_vccz .LBB33_597
; %bb.596:
	global_load_ubyte v3, v[0:1], off
	s_mov_b64 s[0:1], -1
	s_mov_b64 s[26:27], 0
	s_waitcnt vmcnt(0)
	v_cmp_ne_u16_e32 vcc, 0, v3
	v_cndmask_b32_e64 v3, 0, 1.0, vcc
	s_branch .LBB33_598
.LBB33_597:
	s_mov_b64 s[26:27], -1
                                        ; implicit-def: $vgpr3
.LBB33_598:
	s_mov_b64 s[28:29], 0
.LBB33_599:
	s_and_b64 vcc, exec, s[28:29]
	s_cbranch_vccz .LBB33_648
; %bb.600:
	v_mov_b32_e32 v3, 5
	v_cmp_lt_i16_sdwa s[0:1], v6, v3 src0_sel:BYTE_0 src1_sel:DWORD
	s_and_b64 vcc, exec, s[0:1]
	s_cbranch_vccnz .LBB33_605
; %bb.601:
	v_mov_b32_e32 v3, 8
	v_cmp_lt_i16_sdwa s[0:1], v6, v3 src0_sel:BYTE_0 src1_sel:DWORD
	s_and_b64 vcc, exec, s[0:1]
	s_cbranch_vccnz .LBB33_606
	;; [unrolled: 5-line block ×3, first 2 shown]
; %bb.603:
	v_cmp_gt_i16_sdwa s[0:1], v6, v3 src0_sel:BYTE_0 src1_sel:DWORD
	s_and_b64 vcc, exec, s[0:1]
	s_cbranch_vccz .LBB33_608
; %bb.604:
	global_load_dwordx2 v[8:9], v[0:1], off
	s_mov_b64 s[0:1], 0
	s_waitcnt vmcnt(0)
	v_cvt_f32_f64_e32 v3, v[8:9]
	s_branch .LBB33_609
.LBB33_605:
	s_mov_b64 s[0:1], -1
                                        ; implicit-def: $vgpr3
	s_branch .LBB33_627
.LBB33_606:
	s_mov_b64 s[0:1], -1
                                        ; implicit-def: $vgpr3
	s_branch .LBB33_615
.LBB33_607:
	s_mov_b64 s[0:1], -1
                                        ; implicit-def: $vgpr3
	s_branch .LBB33_612
.LBB33_608:
	s_mov_b64 s[0:1], -1
                                        ; implicit-def: $vgpr3
.LBB33_609:
	s_andn2_b64 vcc, exec, s[0:1]
	s_cbranch_vccnz .LBB33_611
; %bb.610:
	global_load_dword v3, v[0:1], off
.LBB33_611:
	s_mov_b64 s[0:1], 0
.LBB33_612:
	s_andn2_b64 vcc, exec, s[0:1]
	s_cbranch_vccnz .LBB33_614
; %bb.613:
	global_load_dword v3, v[0:1], off
	s_waitcnt vmcnt(0)
	v_cvt_f32_f16_e32 v3, v3
.LBB33_614:
	s_mov_b64 s[0:1], 0
.LBB33_615:
	s_andn2_b64 vcc, exec, s[0:1]
	s_cbranch_vccnz .LBB33_626
; %bb.616:
	s_waitcnt vmcnt(0)
	v_mov_b32_e32 v3, 6
	v_cmp_lt_i16_sdwa s[0:1], v6, v3 src0_sel:BYTE_0 src1_sel:DWORD
	s_and_b64 vcc, exec, s[0:1]
	s_cbranch_vccnz .LBB33_619
; %bb.617:
	v_cmp_gt_i16_sdwa s[0:1], v6, v3 src0_sel:BYTE_0 src1_sel:DWORD
	s_and_b64 vcc, exec, s[0:1]
	s_cbranch_vccz .LBB33_620
; %bb.618:
	global_load_dwordx2 v[8:9], v[0:1], off
	s_mov_b64 s[0:1], 0
	s_waitcnt vmcnt(0)
	v_cvt_f32_f64_e32 v3, v[8:9]
	s_branch .LBB33_621
.LBB33_619:
	s_mov_b64 s[0:1], -1
                                        ; implicit-def: $vgpr3
	s_branch .LBB33_624
.LBB33_620:
	s_mov_b64 s[0:1], -1
                                        ; implicit-def: $vgpr3
.LBB33_621:
	s_andn2_b64 vcc, exec, s[0:1]
	s_cbranch_vccnz .LBB33_623
; %bb.622:
	global_load_dword v3, v[0:1], off
.LBB33_623:
	s_mov_b64 s[0:1], 0
.LBB33_624:
	s_andn2_b64 vcc, exec, s[0:1]
	s_cbranch_vccnz .LBB33_626
; %bb.625:
	global_load_ushort v3, v[0:1], off
	s_waitcnt vmcnt(0)
	v_cvt_f32_f16_e32 v3, v3
.LBB33_626:
	s_mov_b64 s[0:1], 0
.LBB33_627:
	s_andn2_b64 vcc, exec, s[0:1]
	s_cbranch_vccnz .LBB33_647
; %bb.628:
	s_waitcnt vmcnt(0)
	v_mov_b32_e32 v3, 2
	v_cmp_lt_i16_sdwa s[0:1], v6, v3 src0_sel:BYTE_0 src1_sel:DWORD
	s_and_b64 vcc, exec, s[0:1]
	s_cbranch_vccnz .LBB33_632
; %bb.629:
	v_mov_b32_e32 v3, 3
	v_cmp_lt_i16_sdwa s[0:1], v6, v3 src0_sel:BYTE_0 src1_sel:DWORD
	s_and_b64 vcc, exec, s[0:1]
	s_cbranch_vccnz .LBB33_633
; %bb.630:
	v_cmp_gt_i16_sdwa s[0:1], v6, v3 src0_sel:BYTE_0 src1_sel:DWORD
	s_and_b64 vcc, exec, s[0:1]
	s_cbranch_vccz .LBB33_634
; %bb.631:
	global_load_dwordx2 v[8:9], v[0:1], off
	s_mov_b64 s[0:1], 0
	s_waitcnt vmcnt(0)
	v_xor_b32_e32 v10, v8, v9
	v_ffbh_i32_e32 v3, v9
	v_ashrrev_i32_e32 v10, 31, v10
	v_add_u32_e32 v3, -1, v3
	v_add_u32_e32 v10, 32, v10
	v_min_u32_e32 v3, v3, v10
	v_lshlrev_b64 v[8:9], v3, v[8:9]
	v_min_u32_e32 v8, 1, v8
	v_or_b32_e32 v8, v9, v8
	v_cvt_f32_i32_e32 v8, v8
	v_sub_u32_e32 v3, 32, v3
	v_ldexp_f32 v3, v8, v3
	s_branch .LBB33_635
.LBB33_632:
	s_mov_b64 s[0:1], -1
                                        ; implicit-def: $vgpr3
	s_branch .LBB33_641
.LBB33_633:
	s_mov_b64 s[0:1], -1
                                        ; implicit-def: $vgpr3
	s_branch .LBB33_638
.LBB33_634:
	s_mov_b64 s[0:1], -1
                                        ; implicit-def: $vgpr3
.LBB33_635:
	s_andn2_b64 vcc, exec, s[0:1]
	s_cbranch_vccnz .LBB33_637
; %bb.636:
	global_load_dword v3, v[0:1], off
	s_waitcnt vmcnt(0)
	v_cvt_f32_i32_e32 v3, v3
.LBB33_637:
	s_mov_b64 s[0:1], 0
.LBB33_638:
	s_andn2_b64 vcc, exec, s[0:1]
	s_cbranch_vccnz .LBB33_640
; %bb.639:
	global_load_sshort v3, v[0:1], off
	s_waitcnt vmcnt(0)
	v_cvt_f32_i32_e32 v3, v3
.LBB33_640:
	s_mov_b64 s[0:1], 0
.LBB33_641:
	s_andn2_b64 vcc, exec, s[0:1]
	s_cbranch_vccnz .LBB33_647
; %bb.642:
	v_mov_b32_e32 v3, 0
	v_cmp_gt_i16_sdwa s[0:1], v6, v3 src0_sel:BYTE_0 src1_sel:DWORD
	s_and_b64 vcc, exec, s[0:1]
	s_cbranch_vccz .LBB33_644
; %bb.643:
	global_load_sbyte v3, v[0:1], off
	s_mov_b64 s[0:1], 0
	s_waitcnt vmcnt(0)
	v_cvt_f32_i32_e32 v3, v3
	s_branch .LBB33_645
.LBB33_644:
	s_mov_b64 s[0:1], -1
                                        ; implicit-def: $vgpr3
.LBB33_645:
	s_andn2_b64 vcc, exec, s[0:1]
	s_cbranch_vccnz .LBB33_647
; %bb.646:
	global_load_ubyte v0, v[0:1], off
	s_waitcnt vmcnt(0)
	v_cvt_f32_ubyte0_e32 v3, v0
.LBB33_647:
	s_mov_b64 s[0:1], -1
.LBB33_648:
	s_andn2_b64 vcc, exec, s[0:1]
	s_cbranch_vccnz .LBB33_656
; %bb.649:
	s_waitcnt vmcnt(0)
	v_mul_f32_e32 v0, v2, v3
	v_cmp_lt_f32_e32 vcc, 0, v2
	v_cndmask_b32_e32 v2, v0, v2, vcc
	v_mul_lo_u32 v0, v5, s12
	v_ashrrev_i32_e32 v1, 31, v0
	v_mov_b32_e32 v3, s9
	v_add_co_u32_e32 v0, vcc, s8, v0
	v_addc_co_u32_e32 v1, vcc, v3, v1, vcc
	v_mov_b32_e32 v3, 11
	v_cmp_lt_i16_sdwa s[0:1], v4, v3 src0_sel:BYTE_0 src1_sel:DWORD
	s_and_b64 vcc, exec, s[0:1]
	s_cbranch_vccnz .LBB33_657
; %bb.650:
	v_mov_b32_e32 v3, 25
	v_cmp_gt_i16_sdwa s[0:1], v4, v3 src0_sel:BYTE_0 src1_sel:DWORD
	s_and_b64 vcc, exec, s[0:1]
	s_cbranch_vccz .LBB33_658
; %bb.651:
	v_mov_b32_e32 v3, 28
	v_cmp_gt_i16_sdwa s[0:1], v4, v3 src0_sel:BYTE_0 src1_sel:DWORD
	s_and_b64 vcc, exec, s[0:1]
	s_cbranch_vccz .LBB33_659
	;; [unrolled: 5-line block ×4, first 2 shown]
; %bb.654:
	v_mov_b32_e32 v3, 46
	v_cmp_eq_u16_sdwa s[28:29], v4, v3 src0_sel:BYTE_0 src1_sel:DWORD
	s_mov_b64 s[34:35], 0
	s_mov_b64 s[0:1], -1
	s_and_b64 vcc, exec, s[28:29]
	s_mov_b64 s[28:29], 0
	s_cbranch_vccz .LBB33_662
; %bb.655:
	v_bfe_u32 v3, v2, 16, 1
	s_movk_i32 s0, 0x7fff
	v_add3_u32 v3, v2, v3, s0
	v_lshrrev_b32_e32 v3, 16, v3
	v_mov_b32_e32 v8, 0x7fc0
	v_cmp_o_f32_e32 vcc, v2, v2
	v_cndmask_b32_e32 v3, v8, v3, vcc
	global_store_dword v[0:1], v3, off
	s_mov_b64 s[28:29], -1
	s_mov_b64 s[0:1], 0
	s_branch .LBB33_662
.LBB33_656:
	s_mov_b64 s[34:35], 0
                                        ; implicit-def: $vgpr5
	s_mov_b64 s[0:1], s[6:7]
	s_branch .LBB33_772
.LBB33_657:
	s_mov_b64 s[34:35], -1
	s_mov_b64 s[28:29], 0
	s_mov_b64 s[0:1], s[6:7]
	s_branch .LBB33_731
.LBB33_658:
	s_mov_b64 s[34:35], -1
	s_mov_b64 s[28:29], 0
	s_mov_b64 s[0:1], s[6:7]
	s_branch .LBB33_689
.LBB33_659:
	s_mov_b64 s[34:35], -1
	s_mov_b64 s[28:29], 0
	s_mov_b64 s[0:1], s[6:7]
	s_branch .LBB33_672
.LBB33_660:
	s_mov_b64 s[34:35], -1
	s_mov_b64 s[28:29], 0
	s_mov_b64 s[0:1], s[6:7]
	s_branch .LBB33_668
.LBB33_661:
	s_mov_b64 s[34:35], -1
	s_mov_b64 s[28:29], 0
	s_mov_b64 s[0:1], s[6:7]
.LBB33_662:
	s_and_b64 vcc, exec, s[34:35]
	s_cbranch_vccz .LBB33_667
; %bb.663:
	v_mov_b32_e32 v3, 44
	v_cmp_eq_u16_sdwa s[34:35], v4, v3 src0_sel:BYTE_0 src1_sel:DWORD
	s_mov_b64 s[0:1], -1
	s_and_b64 vcc, exec, s[34:35]
	s_cbranch_vccz .LBB33_667
; %bb.664:
	v_bfe_u32 v3, v2, 23, 8
	s_movk_i32 s0, 0xff
	v_cmp_ne_u32_e32 vcc, s0, v3
	v_mov_b32_e32 v8, 0xff
	s_and_saveexec_b64 s[28:29], vcc
; %bb.665:
	s_mov_b32 s0, 0x3fffff
	v_and_b32_e32 v9, 0x400000, v2
	v_and_or_b32 v3, v2, s0, v3
	v_cmp_ne_u32_e32 vcc, 0, v9
	v_cmp_ne_u32_e64 s[0:1], 0, v3
	s_and_b64 s[0:1], vcc, s[0:1]
	v_lshrrev_b32_e32 v8, 23, v2
	v_cndmask_b32_e64 v3, 0, 1, s[0:1]
	v_add_u32_e32 v8, v8, v3
; %bb.666:
	s_or_b64 exec, exec, s[28:29]
	s_mov_b64 s[28:29], -1
	s_mov_b64 s[0:1], 0
	global_store_byte v[0:1], v8, off
.LBB33_667:
	s_mov_b64 s[34:35], 0
.LBB33_668:
	s_and_b64 vcc, exec, s[34:35]
	s_cbranch_vccz .LBB33_671
; %bb.669:
	v_mov_b32_e32 v3, 29
	v_cmp_eq_u16_sdwa s[34:35], v4, v3 src0_sel:BYTE_0 src1_sel:DWORD
	s_mov_b64 s[0:1], -1
	s_and_b64 vcc, exec, s[34:35]
	s_cbranch_vccz .LBB33_671
; %bb.670:
	v_trunc_f32_e32 v3, v2
	v_mul_f32_e32 v8, 0x2f800000, v3
	v_floor_f32_e32 v8, v8
	v_fmac_f32_e32 v3, 0xcf800000, v8
	v_cvt_u32_f32_e32 v9, v8
	v_cvt_u32_f32_e32 v8, v3
	s_mov_b64 s[28:29], -1
	s_mov_b64 s[0:1], 0
	s_mov_b64 s[34:35], 0
	global_store_dwordx2 v[0:1], v[8:9], off
	s_branch .LBB33_672
.LBB33_671:
	s_mov_b64 s[34:35], 0
.LBB33_672:
	s_and_b64 vcc, exec, s[34:35]
	s_cbranch_vccz .LBB33_688
; %bb.673:
	v_mov_b32_e32 v3, 27
	v_cmp_lt_i16_sdwa s[34:35], v4, v3 src0_sel:BYTE_0 src1_sel:DWORD
	s_mov_b64 s[28:29], -1
	s_and_b64 vcc, exec, s[34:35]
	s_cbranch_vccnz .LBB33_679
; %bb.674:
	v_cmp_gt_i16_sdwa s[34:35], v4, v3 src0_sel:BYTE_0 src1_sel:DWORD
	v_cvt_u32_f32_e32 v3, v2
	s_and_b64 vcc, exec, s[34:35]
	s_cbranch_vccz .LBB33_676
; %bb.675:
	s_mov_b64 s[28:29], 0
	global_store_dword v[0:1], v3, off
.LBB33_676:
	s_andn2_b64 vcc, exec, s[28:29]
	s_cbranch_vccnz .LBB33_678
; %bb.677:
	global_store_short v[0:1], v3, off
.LBB33_678:
	s_mov_b64 s[28:29], 0
.LBB33_679:
	s_andn2_b64 vcc, exec, s[28:29]
	s_cbranch_vccnz .LBB33_687
; %bb.680:
	v_and_b32_e32 v3, 0x7fffffff, v2
	s_mov_b32 s15, 0x43800000
	v_cmp_gt_u32_e32 vcc, s15, v3
	v_mov_b32_e32 v8, 0x80
	s_and_saveexec_b64 s[28:29], vcc
	s_cbranch_execz .LBB33_686
; %bb.681:
	s_mov_b32 s15, 0x3bffffff
	v_cmp_lt_u32_e32 vcc, s15, v3
	s_mov_b64 s[34:35], 0
                                        ; implicit-def: $vgpr3
	s_and_saveexec_b64 s[36:37], vcc
	s_xor_b64 s[36:37], exec, s[36:37]
	s_cbranch_execz .LBB33_788
; %bb.682:
	v_bfe_u32 v3, v2, 20, 1
	s_mov_b32 s15, 0x487ffff
	v_add3_u32 v3, v2, v3, s15
	s_mov_b64 s[34:35], exec
	v_lshrrev_b32_e32 v3, 20, v3
	s_or_saveexec_b64 s[36:37], s[36:37]
                                        ; implicit-def: $sgpr15
	s_xor_b64 exec, exec, s[36:37]
	s_cbranch_execnz .LBB33_789
.LBB33_683:
	s_or_b64 exec, exec, s[36:37]
	v_mov_b32_e32 v8, s15
	s_and_saveexec_b64 s[36:37], s[34:35]
.LBB33_684:
	v_lshrrev_b32_e32 v8, 24, v2
	s_movk_i32 s15, 0x80
	v_and_or_b32 v8, v8, s15, v3
.LBB33_685:
	s_or_b64 exec, exec, s[36:37]
.LBB33_686:
	s_or_b64 exec, exec, s[28:29]
	global_store_byte v[0:1], v8, off
.LBB33_687:
	s_mov_b64 s[28:29], -1
.LBB33_688:
	s_mov_b64 s[34:35], 0
.LBB33_689:
	s_and_b64 vcc, exec, s[34:35]
	s_cbranch_vccz .LBB33_730
; %bb.690:
	v_mov_b32_e32 v3, 22
	v_cmp_gt_i16_sdwa s[36:37], v4, v3 src0_sel:BYTE_0 src1_sel:DWORD
	s_mov_b64 s[34:35], -1
	s_and_b64 vcc, exec, s[36:37]
	s_cbranch_vccz .LBB33_722
; %bb.691:
	v_mov_b32_e32 v3, 24
	v_cmp_lt_i16_sdwa s[34:35], v4, v3 src0_sel:BYTE_0 src1_sel:DWORD
	s_mov_b64 s[28:29], -1
	s_and_b64 vcc, exec, s[34:35]
	s_cbranch_vccnz .LBB33_711
; %bb.692:
	v_cmp_gt_i16_sdwa s[34:35], v4, v3 src0_sel:BYTE_0 src1_sel:DWORD
	s_and_b64 vcc, exec, s[34:35]
	s_cbranch_vccz .LBB33_700
; %bb.693:
	v_and_b32_e32 v3, 0x7fffffff, v2
	s_mov_b32 s15, 0x47800000
	v_cmp_gt_u32_e32 vcc, s15, v3
	v_mov_b32_e32 v8, 0x80
	s_and_saveexec_b64 s[28:29], vcc
	s_cbranch_execz .LBB33_699
; %bb.694:
	s_mov_b32 s15, 0x37ffffff
	v_cmp_lt_u32_e32 vcc, s15, v3
	s_mov_b64 s[34:35], 0
                                        ; implicit-def: $vgpr3
	s_and_saveexec_b64 s[36:37], vcc
	s_xor_b64 s[36:37], exec, s[36:37]
	s_cbranch_execz .LBB33_920
; %bb.695:
	v_bfe_u32 v3, v2, 21, 1
	s_mov_b32 s15, 0x88fffff
	v_add3_u32 v3, v2, v3, s15
	s_mov_b64 s[34:35], exec
	v_lshrrev_b32_e32 v3, 21, v3
	s_or_saveexec_b64 s[36:37], s[36:37]
                                        ; implicit-def: $sgpr15
	s_xor_b64 exec, exec, s[36:37]
	s_cbranch_execnz .LBB33_921
.LBB33_696:
	s_or_b64 exec, exec, s[36:37]
	v_mov_b32_e32 v8, s15
	s_and_saveexec_b64 s[36:37], s[34:35]
.LBB33_697:
	v_lshrrev_b32_e32 v8, 24, v2
	s_movk_i32 s15, 0x80
	v_and_or_b32 v8, v8, s15, v3
.LBB33_698:
	s_or_b64 exec, exec, s[36:37]
.LBB33_699:
	s_or_b64 exec, exec, s[28:29]
	s_mov_b64 s[28:29], 0
	global_store_byte v[0:1], v8, off
.LBB33_700:
	s_and_b64 vcc, exec, s[28:29]
	s_cbranch_vccz .LBB33_710
; %bb.701:
	v_and_b32_e32 v8, 0x7fffffff, v2
	s_mov_b32 s15, 0x43f00000
	v_cmp_gt_u32_e32 vcc, s15, v8
                                        ; implicit-def: $vgpr3
	s_and_saveexec_b64 s[28:29], vcc
	s_xor_b64 s[28:29], exec, s[28:29]
	s_cbranch_execz .LBB33_707
; %bb.702:
	s_mov_b32 s15, 0x3c7fffff
	v_cmp_lt_u32_e32 vcc, s15, v8
                                        ; implicit-def: $vgpr3
	s_and_saveexec_b64 s[34:35], vcc
	s_xor_b64 s[34:35], exec, s[34:35]
; %bb.703:
	v_bfe_u32 v3, v2, 20, 1
	s_mov_b32 s15, 0x407ffff
	v_add3_u32 v3, v2, v3, s15
	v_lshrrev_b32_e32 v8, 20, v3
	v_and_b32_e32 v3, 0xff00000, v3
	s_mov_b32 s15, 0x7f00000
	v_mov_b32_e32 v9, 0x7e
	v_cmp_ne_u32_e32 vcc, s15, v3
	v_cndmask_b32_e32 v3, v9, v8, vcc
; %bb.704:
	s_andn2_saveexec_b64 s[34:35], s[34:35]
; %bb.705:
	s_mov_b32 s15, 0x46800000
	v_add_f32_e64 v3, |v2|, s15
; %bb.706:
	s_or_b64 exec, exec, s[34:35]
                                        ; implicit-def: $vgpr8
.LBB33_707:
	s_andn2_saveexec_b64 s[28:29], s[28:29]
; %bb.708:
	s_mov_b32 s15, 0x7f800000
	v_mov_b32_e32 v3, 0x7e
	v_mov_b32_e32 v9, 0x7f
	v_cmp_lt_u32_e32 vcc, s15, v8
	v_cndmask_b32_e32 v3, v3, v9, vcc
; %bb.709:
	s_or_b64 exec, exec, s[28:29]
	v_lshrrev_b32_e32 v8, 24, v2
	s_movk_i32 s15, 0x80
	v_and_or_b32 v3, v8, s15, v3
	global_store_byte v[0:1], v3, off
.LBB33_710:
	s_mov_b64 s[28:29], 0
.LBB33_711:
	s_andn2_b64 vcc, exec, s[28:29]
	s_cbranch_vccnz .LBB33_721
; %bb.712:
	v_and_b32_e32 v8, 0x7fffffff, v2
	s_mov_b32 s15, 0x47800000
	v_cmp_gt_u32_e32 vcc, s15, v8
                                        ; implicit-def: $vgpr3
	s_and_saveexec_b64 s[28:29], vcc
	s_xor_b64 s[28:29], exec, s[28:29]
	s_cbranch_execz .LBB33_718
; %bb.713:
	s_mov_b32 s15, 0x387fffff
	v_cmp_lt_u32_e32 vcc, s15, v8
                                        ; implicit-def: $vgpr3
	s_and_saveexec_b64 s[34:35], vcc
	s_xor_b64 s[34:35], exec, s[34:35]
; %bb.714:
	v_bfe_u32 v3, v2, 21, 1
	s_mov_b32 s15, 0x80fffff
	v_add3_u32 v3, v2, v3, s15
	v_lshrrev_b32_e32 v3, 21, v3
; %bb.715:
	s_andn2_saveexec_b64 s[34:35], s[34:35]
; %bb.716:
	s_mov_b32 s15, 0x43000000
	v_add_f32_e64 v3, |v2|, s15
; %bb.717:
	s_or_b64 exec, exec, s[34:35]
                                        ; implicit-def: $vgpr8
.LBB33_718:
	s_andn2_saveexec_b64 s[28:29], s[28:29]
; %bb.719:
	s_mov_b32 s15, 0x7f800000
	v_mov_b32_e32 v3, 0x7c
	v_mov_b32_e32 v9, 0x7f
	v_cmp_lt_u32_e32 vcc, s15, v8
	v_cndmask_b32_e32 v3, v3, v9, vcc
; %bb.720:
	s_or_b64 exec, exec, s[28:29]
	v_lshrrev_b32_e32 v8, 24, v2
	s_movk_i32 s15, 0x80
	v_and_or_b32 v3, v8, s15, v3
	global_store_byte v[0:1], v3, off
.LBB33_721:
	s_mov_b64 s[34:35], 0
	s_mov_b64 s[28:29], -1
.LBB33_722:
	s_andn2_b64 vcc, exec, s[34:35]
	s_cbranch_vccnz .LBB33_730
; %bb.723:
	v_mov_b32_e32 v3, 14
	v_cmp_gt_i16_sdwa s[36:37], v4, v3 src0_sel:BYTE_0 src1_sel:DWORD
	s_mov_b64 s[34:35], -1
	s_and_b64 vcc, exec, s[36:37]
	s_cbranch_vccz .LBB33_727
; %bb.724:
	v_mov_b32_e32 v3, 15
	v_cmp_eq_u16_sdwa s[34:35], v4, v3 src0_sel:BYTE_0 src1_sel:DWORD
	s_mov_b64 s[0:1], -1
	s_and_b64 vcc, exec, s[34:35]
	s_cbranch_vccz .LBB33_726
; %bb.725:
	v_bfe_u32 v3, v2, 16, 1
	s_movk_i32 s0, 0x7fff
	v_add3_u32 v3, v2, v3, s0
	v_lshrrev_b32_e32 v3, 16, v3
	v_mov_b32_e32 v8, 0x7fc0
	v_cmp_o_f32_e32 vcc, v2, v2
	v_cndmask_b32_e32 v3, v8, v3, vcc
	global_store_short v[0:1], v3, off
	s_mov_b64 s[28:29], -1
	s_mov_b64 s[0:1], 0
.LBB33_726:
	s_mov_b64 s[34:35], 0
.LBB33_727:
	s_and_b64 vcc, exec, s[34:35]
	s_cbranch_vccz .LBB33_730
; %bb.728:
	v_mov_b32_e32 v3, 11
	v_cmp_eq_u16_sdwa s[34:35], v4, v3 src0_sel:BYTE_0 src1_sel:DWORD
	s_mov_b64 s[0:1], -1
	s_and_b64 vcc, exec, s[34:35]
	s_cbranch_vccz .LBB33_730
; %bb.729:
	v_cmp_neq_f32_e32 vcc, 0, v2
	v_cndmask_b32_e64 v3, 0, 1, vcc
	s_mov_b64 s[28:29], -1
	s_mov_b64 s[0:1], 0
	global_store_byte v[0:1], v3, off
.LBB33_730:
	s_mov_b64 s[34:35], 0
.LBB33_731:
	s_and_b64 vcc, exec, s[34:35]
	s_cbranch_vccz .LBB33_770
; %bb.732:
	v_mov_b32_e32 v3, 5
	v_cmp_lt_i16_sdwa s[34:35], v4, v3 src0_sel:BYTE_0 src1_sel:DWORD
	s_mov_b64 s[28:29], -1
	s_and_b64 vcc, exec, s[34:35]
	s_cbranch_vccnz .LBB33_753
; %bb.733:
	v_mov_b32_e32 v3, 8
	v_cmp_lt_i16_sdwa s[34:35], v4, v3 src0_sel:BYTE_0 src1_sel:DWORD
	s_and_b64 vcc, exec, s[34:35]
	s_cbranch_vccnz .LBB33_743
; %bb.734:
	v_mov_b32_e32 v3, 9
	v_cmp_lt_i16_sdwa s[34:35], v4, v3 src0_sel:BYTE_0 src1_sel:DWORD
	s_and_b64 vcc, exec, s[34:35]
	s_cbranch_vccnz .LBB33_740
; %bb.735:
	v_cmp_gt_i16_sdwa s[34:35], v4, v3 src0_sel:BYTE_0 src1_sel:DWORD
	s_and_b64 vcc, exec, s[34:35]
	s_cbranch_vccz .LBB33_737
; %bb.736:
	v_mov_b32_e32 v10, 0
	v_cvt_f64_f32_e32 v[8:9], v2
	v_mov_b32_e32 v11, v10
	s_mov_b64 s[28:29], 0
	global_store_dwordx4 v[0:1], v[8:11], off
.LBB33_737:
	s_andn2_b64 vcc, exec, s[28:29]
	s_cbranch_vccnz .LBB33_739
; %bb.738:
	v_mov_b32_e32 v3, 0
	global_store_dwordx2 v[0:1], v[2:3], off
.LBB33_739:
	s_mov_b64 s[28:29], 0
.LBB33_740:
	s_andn2_b64 vcc, exec, s[28:29]
	s_cbranch_vccnz .LBB33_742
; %bb.741:
	v_cvt_f16_f32_e32 v3, v2
	global_store_dword v[0:1], v3, off
.LBB33_742:
	s_mov_b64 s[28:29], 0
.LBB33_743:
	s_andn2_b64 vcc, exec, s[28:29]
	s_cbranch_vccnz .LBB33_752
; %bb.744:
	v_mov_b32_e32 v3, 6
	v_cmp_lt_i16_sdwa s[34:35], v4, v3 src0_sel:BYTE_0 src1_sel:DWORD
	s_mov_b64 s[28:29], -1
	s_and_b64 vcc, exec, s[34:35]
	s_cbranch_vccnz .LBB33_750
; %bb.745:
	v_cmp_gt_i16_sdwa s[34:35], v4, v3 src0_sel:BYTE_0 src1_sel:DWORD
	s_and_b64 vcc, exec, s[34:35]
	s_cbranch_vccz .LBB33_747
; %bb.746:
	v_cvt_f64_f32_e32 v[8:9], v2
	s_mov_b64 s[28:29], 0
	global_store_dwordx2 v[0:1], v[8:9], off
.LBB33_747:
	s_andn2_b64 vcc, exec, s[28:29]
	s_cbranch_vccnz .LBB33_749
; %bb.748:
	global_store_dword v[0:1], v2, off
.LBB33_749:
	s_mov_b64 s[28:29], 0
.LBB33_750:
	s_andn2_b64 vcc, exec, s[28:29]
	s_cbranch_vccnz .LBB33_752
; %bb.751:
	v_cvt_f16_f32_e32 v3, v2
	global_store_short v[0:1], v3, off
.LBB33_752:
	s_mov_b64 s[28:29], 0
.LBB33_753:
	s_andn2_b64 vcc, exec, s[28:29]
	s_cbranch_vccnz .LBB33_769
; %bb.754:
	v_mov_b32_e32 v3, 2
	v_cmp_lt_i16_sdwa s[34:35], v4, v3 src0_sel:BYTE_0 src1_sel:DWORD
	s_mov_b64 s[28:29], -1
	s_and_b64 vcc, exec, s[34:35]
	s_cbranch_vccnz .LBB33_764
; %bb.755:
	v_mov_b32_e32 v3, 3
	v_cmp_lt_i16_sdwa s[34:35], v4, v3 src0_sel:BYTE_0 src1_sel:DWORD
	s_and_b64 vcc, exec, s[34:35]
	s_cbranch_vccnz .LBB33_761
; %bb.756:
	v_cmp_gt_i16_sdwa s[34:35], v4, v3 src0_sel:BYTE_0 src1_sel:DWORD
	s_and_b64 vcc, exec, s[34:35]
	s_cbranch_vccz .LBB33_758
; %bb.757:
	v_trunc_f32_e32 v3, v2
	s_mov_b32 s15, 0x2f800000
	v_mul_f32_e64 v8, |v3|, s15
	v_floor_f32_e32 v8, v8
	s_mov_b32 s15, 0xcf800000
	v_cvt_u32_f32_e32 v9, v8
	v_fma_f32 v8, v8, s15, |v3|
	v_cvt_u32_f32_e32 v8, v8
	v_ashrrev_i32_e32 v3, 31, v3
	v_xor_b32_e32 v9, v9, v3
	s_mov_b64 s[28:29], 0
	v_xor_b32_e32 v8, v8, v3
	v_sub_co_u32_e32 v8, vcc, v8, v3
	v_subb_co_u32_e32 v9, vcc, v9, v3, vcc
	global_store_dwordx2 v[0:1], v[8:9], off
.LBB33_758:
	s_andn2_b64 vcc, exec, s[28:29]
	s_cbranch_vccnz .LBB33_760
; %bb.759:
	v_cvt_i32_f32_e32 v3, v2
	global_store_dword v[0:1], v3, off
.LBB33_760:
	s_mov_b64 s[28:29], 0
.LBB33_761:
	s_andn2_b64 vcc, exec, s[28:29]
	s_cbranch_vccnz .LBB33_763
; %bb.762:
	v_cvt_i32_f32_e32 v3, v2
	global_store_short v[0:1], v3, off
.LBB33_763:
	s_mov_b64 s[28:29], 0
.LBB33_764:
	s_andn2_b64 vcc, exec, s[28:29]
	s_cbranch_vccnz .LBB33_769
; %bb.765:
	v_mov_b32_e32 v3, 0
	v_cmp_gt_i16_sdwa s[34:35], v4, v3 src0_sel:BYTE_0 src1_sel:DWORD
	s_mov_b64 s[28:29], -1
	s_and_b64 vcc, exec, s[34:35]
	s_cbranch_vccz .LBB33_767
; %bb.766:
	v_cvt_i32_f32_e32 v3, v2
	s_mov_b64 s[28:29], 0
	global_store_byte v[0:1], v3, off
.LBB33_767:
	s_andn2_b64 vcc, exec, s[28:29]
	s_cbranch_vccnz .LBB33_769
; %bb.768:
	v_trunc_f32_e32 v2, v2
	s_mov_b32 s15, 0x2f800000
	v_mul_f32_e64 v3, |v2|, s15
	v_floor_f32_e32 v3, v3
	s_mov_b32 s15, 0xcf800000
	v_fma_f32 v3, v3, s15, |v2|
	v_cvt_u32_f32_e32 v3, v3
	v_ashrrev_i32_e32 v2, 31, v2
	v_xor_b32_e32 v3, v3, v2
	v_sub_u32_e32 v2, v3, v2
	global_store_byte v[0:1], v2, off
.LBB33_769:
	s_mov_b64 s[28:29], -1
.LBB33_770:
	s_andn2_b64 vcc, exec, s[28:29]
	s_cbranch_vccnz .LBB33_783
; %bb.771:
	v_add_u32_e32 v5, 0x80, v5
	s_mov_b64 s[34:35], -1
.LBB33_772:
	s_andn2_b64 s[28:29], s[6:7], exec
	s_and_b64 s[0:1], s[0:1], exec
	s_or_b64 s[28:29], s[28:29], s[0:1]
	s_andn2_b64 s[0:1], s[18:19], exec
	s_and_b64 s[26:27], s[26:27], exec
	s_or_b64 s[26:27], s[0:1], s[26:27]
	;; [unrolled: 3-line block ×3, first 2 shown]
	s_orn2_b64 s[0:1], s[34:35], exec
.LBB33_773:
	s_or_b64 exec, exec, s[30:31]
	s_mov_b64 s[34:35], 0
	s_mov_b64 s[36:37], 0
	;; [unrolled: 1-line block ×3, first 2 shown]
                                        ; implicit-def: $vgpr2
                                        ; implicit-def: $vgpr0_vgpr1
                                        ; implicit-def: $vgpr3
	s_and_saveexec_b64 s[30:31], s[0:1]
	s_cbranch_execz .LBB33_1247
; %bb.774:
	v_cmp_gt_i32_e32 vcc, s33, v5
	s_mov_b64 s[46:47], -1
	s_mov_b64 s[0:1], s[24:25]
	s_mov_b64 s[38:39], s[26:27]
	;; [unrolled: 1-line block ×3, first 2 shown]
	s_and_saveexec_b64 s[34:35], vcc
	s_cbranch_execz .LBB33_1162
; %bb.775:
	v_mul_lo_u32 v0, v5, s13
	v_ashrrev_i32_e32 v1, 31, v0
	s_waitcnt vmcnt(0)
	v_mov_b32_e32 v2, s11
	v_add_co_u32_e32 v0, vcc, s10, v0
	v_addc_co_u32_e32 v1, vcc, v2, v1, vcc
	v_mov_b32_e32 v2, 11
	v_cmp_lt_i16_sdwa s[0:1], v7, v2 src0_sel:BYTE_0 src1_sel:DWORD
	s_and_b64 vcc, exec, s[0:1]
	s_cbranch_vccnz .LBB33_782
; %bb.776:
	v_mov_b32_e32 v2, 25
	v_cmp_gt_i16_sdwa s[0:1], v7, v2 src0_sel:BYTE_0 src1_sel:DWORD
	s_and_b64 vcc, exec, s[0:1]
	s_cbranch_vccz .LBB33_784
; %bb.777:
	v_mov_b32_e32 v2, 28
	v_cmp_gt_i16_sdwa s[0:1], v7, v2 src0_sel:BYTE_0 src1_sel:DWORD
	s_and_b64 vcc, exec, s[0:1]
	s_cbranch_vccz .LBB33_785
	;; [unrolled: 5-line block ×4, first 2 shown]
; %bb.780:
	v_mov_b32_e32 v2, 46
	v_cmp_eq_u16_sdwa s[0:1], v7, v2 src0_sel:BYTE_0 src1_sel:DWORD
	s_mov_b64 s[38:39], 0
	s_and_b64 vcc, exec, s[0:1]
	s_cbranch_vccz .LBB33_790
; %bb.781:
	global_load_dword v2, v[0:1], off
	s_mov_b64 s[0:1], -1
	s_waitcnt vmcnt(0)
	v_lshlrev_b32_e32 v2, 16, v2
	s_branch .LBB33_791
.LBB33_782:
	s_mov_b64 s[38:39], -1
	s_mov_b64 s[0:1], 0
                                        ; implicit-def: $vgpr2
	s_mov_b64 s[36:37], s[24:25]
	s_branch .LBB33_856
.LBB33_783:
	s_mov_b64 s[34:35], 0
	s_branch .LBB33_530
.LBB33_784:
	s_mov_b64 s[38:39], -1
	s_mov_b64 s[0:1], 0
	s_mov_b64 s[36:37], s[24:25]
                                        ; implicit-def: $vgpr2
	s_branch .LBB33_820
.LBB33_785:
	s_mov_b64 s[38:39], -1
	s_mov_b64 s[0:1], 0
	s_mov_b64 s[36:37], s[24:25]
                                        ; implicit-def: $vgpr2
	s_branch .LBB33_801
.LBB33_786:
	s_mov_b64 s[38:39], -1
	s_mov_b64 s[0:1], 0
	s_mov_b64 s[36:37], s[24:25]
                                        ; implicit-def: $vgpr2
	s_branch .LBB33_796
.LBB33_787:
	s_mov_b64 s[38:39], -1
	s_mov_b64 s[0:1], 0
	s_mov_b64 s[36:37], s[24:25]
                                        ; implicit-def: $vgpr2
	s_branch .LBB33_791
.LBB33_788:
	s_or_saveexec_b64 s[36:37], s[36:37]
                                        ; implicit-def: $sgpr15
	s_xor_b64 exec, exec, s[36:37]
	s_cbranch_execz .LBB33_683
.LBB33_789:
	s_mov_b32 s15, 0x46000000
	v_add_f32_e64 v3, |v2|, s15
	v_and_b32_e32 v3, 0xff, v3
	v_cmp_ne_u32_e32 vcc, 0, v3
	s_andn2_b64 s[34:35], s[34:35], exec
	s_and_b64 s[38:39], vcc, exec
	s_mov_b32 s15, 0
	s_or_b64 s[34:35], s[34:35], s[38:39]
	s_or_b64 exec, exec, s[36:37]
	v_mov_b32_e32 v8, s15
	s_and_saveexec_b64 s[36:37], s[34:35]
	s_cbranch_execnz .LBB33_684
	s_branch .LBB33_685
.LBB33_790:
	s_mov_b64 s[36:37], -1
                                        ; implicit-def: $vgpr2
	s_mov_b64 s[0:1], 0
.LBB33_791:
	s_and_b64 vcc, exec, s[38:39]
	s_cbranch_vccz .LBB33_795
; %bb.792:
	v_mov_b32_e32 v2, 44
	v_cmp_eq_u16_sdwa s[36:37], v7, v2 src0_sel:BYTE_0 src1_sel:DWORD
	s_and_b64 vcc, exec, s[36:37]
	s_cbranch_vccz .LBB33_794
; %bb.793:
	global_load_ubyte v2, v[0:1], off
	s_movk_i32 s15, 0xff
	v_mov_b32_e32 v3, 0x7f800001
	v_mov_b32_e32 v8, 0x400000
	s_mov_b64 s[0:1], -1
	s_mov_b64 s[36:37], 0
	s_waitcnt vmcnt(0)
	v_lshlrev_b32_e32 v9, 23, v2
	v_cmp_ne_u32_e32 vcc, s15, v2
	v_cndmask_b32_e32 v3, v3, v9, vcc
	v_cmp_ne_u32_e32 vcc, 0, v2
	v_cndmask_b32_e32 v2, v8, v3, vcc
	s_branch .LBB33_795
.LBB33_794:
	s_mov_b64 s[36:37], -1
                                        ; implicit-def: $vgpr2
.LBB33_795:
	s_mov_b64 s[38:39], 0
.LBB33_796:
	s_and_b64 vcc, exec, s[38:39]
	s_cbranch_vccz .LBB33_800
; %bb.797:
	v_mov_b32_e32 v2, 29
	v_cmp_eq_u16_sdwa s[36:37], v7, v2 src0_sel:BYTE_0 src1_sel:DWORD
	s_and_b64 vcc, exec, s[36:37]
	s_cbranch_vccz .LBB33_799
; %bb.798:
	global_load_dwordx2 v[2:3], v[0:1], off
	s_mov_b64 s[0:1], -1
	s_mov_b64 s[36:37], 0
	s_mov_b64 s[38:39], 0
	s_waitcnt vmcnt(0)
	v_ffbh_u32_e32 v8, v3
	v_min_u32_e32 v8, 32, v8
	v_lshlrev_b64 v[2:3], v8, v[2:3]
	v_min_u32_e32 v2, 1, v2
	v_or_b32_e32 v2, v3, v2
	v_cvt_f32_u32_e32 v2, v2
	v_sub_u32_e32 v3, 32, v8
	v_ldexp_f32 v2, v2, v3
	s_branch .LBB33_801
.LBB33_799:
	s_mov_b64 s[36:37], -1
                                        ; implicit-def: $vgpr2
.LBB33_800:
	s_mov_b64 s[38:39], 0
.LBB33_801:
	s_and_b64 vcc, exec, s[38:39]
	s_cbranch_vccz .LBB33_819
; %bb.802:
	v_mov_b32_e32 v2, 27
	v_cmp_lt_i16_sdwa s[0:1], v7, v2 src0_sel:BYTE_0 src1_sel:DWORD
	s_and_b64 vcc, exec, s[0:1]
	s_cbranch_vccnz .LBB33_805
; %bb.803:
	v_cmp_gt_i16_sdwa s[0:1], v7, v2 src0_sel:BYTE_0 src1_sel:DWORD
	s_and_b64 vcc, exec, s[0:1]
	s_cbranch_vccz .LBB33_806
; %bb.804:
	global_load_dword v2, v[0:1], off
	s_mov_b64 s[0:1], 0
	s_waitcnt vmcnt(0)
	v_cvt_f32_u32_e32 v2, v2
	s_branch .LBB33_807
.LBB33_805:
	s_mov_b64 s[0:1], -1
                                        ; implicit-def: $vgpr2
	s_branch .LBB33_810
.LBB33_806:
	s_mov_b64 s[0:1], -1
                                        ; implicit-def: $vgpr2
.LBB33_807:
	s_andn2_b64 vcc, exec, s[0:1]
	s_cbranch_vccnz .LBB33_809
; %bb.808:
	global_load_ushort v2, v[0:1], off
	s_waitcnt vmcnt(0)
	v_cvt_f32_u32_e32 v2, v2
.LBB33_809:
	s_mov_b64 s[0:1], 0
.LBB33_810:
	s_andn2_b64 vcc, exec, s[0:1]
	s_cbranch_vccnz .LBB33_818
; %bb.811:
	global_load_ubyte v3, v[0:1], off
	s_movk_i32 s0, 0x7f
                                        ; implicit-def: $sgpr15
	s_waitcnt vmcnt(0)
	v_cmp_lt_i16_e32 vcc, s0, v3
	s_mov_b64 s[0:1], 0
	s_and_saveexec_b64 s[38:39], vcc
	s_xor_b64 s[38:39], exec, s[38:39]
	s_cbranch_execz .LBB33_832
; %bb.812:
	s_movk_i32 s0, 0x80
	v_cmp_eq_u16_e32 vcc, s0, v3
	s_mov_b64 s[0:1], -1
                                        ; implicit-def: $sgpr15
	s_and_saveexec_b64 s[40:41], vcc
; %bb.813:
	s_mov_b32 s15, 0x7f800001
	s_xor_b64 s[0:1], exec, -1
; %bb.814:
	s_or_b64 exec, exec, s[40:41]
	s_and_b64 s[0:1], s[0:1], exec
	s_or_saveexec_b64 s[38:39], s[38:39]
	v_mov_b32_e32 v2, s15
	s_xor_b64 exec, exec, s[38:39]
	s_cbranch_execnz .LBB33_833
.LBB33_815:
	s_or_b64 exec, exec, s[38:39]
	s_and_saveexec_b64 s[38:39], s[0:1]
	s_cbranch_execz .LBB33_817
.LBB33_816:
	v_lshlrev_b32_e32 v2, 24, v3
	v_and_b32_e32 v3, 0xffff, v3
	v_and_b32_e32 v8, 7, v3
	v_ffbh_u32_e32 v10, v8
	v_min_u32_e32 v10, 32, v10
	v_subrev_u32_e32 v11, 28, v10
	v_bfe_u32 v9, v3, 3, 4
	v_lshlrev_b32_e32 v3, v11, v3
	v_sub_u32_e32 v10, 29, v10
	v_and_b32_e32 v3, 7, v3
	v_cmp_eq_u32_e32 vcc, 0, v9
	v_cndmask_b32_e32 v9, v9, v10, vcc
	v_cndmask_b32_e32 v3, v8, v3, vcc
	v_mov_b32_e32 v8, 0x3b800000
	v_lshlrev_b32_e32 v3, 20, v3
	v_and_b32_e32 v2, 0x80000000, v2
	v_lshl_add_u32 v8, v9, 23, v8
	v_or3_b32 v2, v2, v8, v3
.LBB33_817:
	s_or_b64 exec, exec, s[38:39]
.LBB33_818:
	s_mov_b64 s[0:1], -1
.LBB33_819:
	s_mov_b64 s[38:39], 0
.LBB33_820:
	s_and_b64 vcc, exec, s[38:39]
	s_cbranch_vccz .LBB33_855
; %bb.821:
	v_mov_b32_e32 v2, 22
	v_cmp_gt_i16_sdwa s[38:39], v7, v2 src0_sel:BYTE_0 src1_sel:DWORD
	s_and_b64 vcc, exec, s[38:39]
	s_cbranch_vccz .LBB33_831
; %bb.822:
	v_mov_b32_e32 v2, 24
	v_cmp_lt_i16_sdwa s[0:1], v7, v2 src0_sel:BYTE_0 src1_sel:DWORD
	s_and_b64 vcc, exec, s[0:1]
	s_cbranch_vccnz .LBB33_834
; %bb.823:
	v_cmp_gt_i16_sdwa s[0:1], v7, v2 src0_sel:BYTE_0 src1_sel:DWORD
	s_and_b64 vcc, exec, s[0:1]
	s_cbranch_vccz .LBB33_835
; %bb.824:
	global_load_ubyte v3, v[0:1], off
	s_movk_i32 s0, 0x7f
                                        ; implicit-def: $sgpr15
	s_waitcnt vmcnt(0)
	v_cmp_lt_i16_e32 vcc, s0, v3
	s_mov_b64 s[0:1], 0
	s_and_saveexec_b64 s[38:39], vcc
	s_xor_b64 s[38:39], exec, s[38:39]
	s_cbranch_execz .LBB33_847
; %bb.825:
	s_movk_i32 s0, 0x80
	v_cmp_eq_u16_e32 vcc, s0, v3
	s_mov_b64 s[0:1], -1
                                        ; implicit-def: $sgpr15
	s_and_saveexec_b64 s[40:41], vcc
; %bb.826:
	s_mov_b32 s15, 0x7f800001
	s_xor_b64 s[0:1], exec, -1
; %bb.827:
	s_or_b64 exec, exec, s[40:41]
	s_and_b64 s[0:1], s[0:1], exec
	s_or_saveexec_b64 s[38:39], s[38:39]
	v_mov_b32_e32 v2, s15
	s_xor_b64 exec, exec, s[38:39]
	s_cbranch_execnz .LBB33_848
.LBB33_828:
	s_or_b64 exec, exec, s[38:39]
	s_and_saveexec_b64 s[38:39], s[0:1]
	s_cbranch_execz .LBB33_830
.LBB33_829:
	v_lshlrev_b32_e32 v2, 24, v3
	v_and_b32_e32 v3, 0xffff, v3
	v_and_b32_e32 v8, 3, v3
	v_ffbh_u32_e32 v10, v8
	v_min_u32_e32 v10, 32, v10
	v_subrev_u32_e32 v11, 29, v10
	v_bfe_u32 v9, v3, 2, 5
	v_lshlrev_b32_e32 v3, v11, v3
	v_sub_u32_e32 v10, 30, v10
	v_and_b32_e32 v3, 3, v3
	v_cmp_eq_u32_e32 vcc, 0, v9
	v_cndmask_b32_e32 v9, v9, v10, vcc
	v_cndmask_b32_e32 v3, v8, v3, vcc
	v_mov_b32_e32 v8, 0x37800000
	v_lshlrev_b32_e32 v3, 21, v3
	v_and_b32_e32 v2, 0x80000000, v2
	v_lshl_add_u32 v8, v9, 23, v8
	v_or3_b32 v2, v2, v8, v3
.LBB33_830:
	s_or_b64 exec, exec, s[38:39]
	s_mov_b64 s[0:1], 0
	s_branch .LBB33_836
.LBB33_831:
	s_mov_b64 s[38:39], -1
                                        ; implicit-def: $vgpr2
	s_branch .LBB33_842
.LBB33_832:
	s_or_saveexec_b64 s[38:39], s[38:39]
	v_mov_b32_e32 v2, s15
	s_xor_b64 exec, exec, s[38:39]
	s_cbranch_execz .LBB33_815
.LBB33_833:
	v_cmp_ne_u16_e32 vcc, 0, v3
	s_andn2_b64 s[0:1], s[0:1], exec
	s_and_b64 s[40:41], vcc, exec
	v_mov_b32_e32 v2, 0
	s_or_b64 s[0:1], s[0:1], s[40:41]
	s_or_b64 exec, exec, s[38:39]
	s_and_saveexec_b64 s[38:39], s[0:1]
	s_cbranch_execnz .LBB33_816
	s_branch .LBB33_817
.LBB33_834:
	s_mov_b64 s[0:1], -1
                                        ; implicit-def: $vgpr2
	s_branch .LBB33_839
.LBB33_835:
	s_mov_b64 s[0:1], -1
                                        ; implicit-def: $vgpr2
.LBB33_836:
	s_and_b64 vcc, exec, s[0:1]
	s_cbranch_vccz .LBB33_838
; %bb.837:
	global_load_ubyte v2, v[0:1], off
	s_mov_b32 s0, 0x7f800000
	s_waitcnt vmcnt(0)
	v_lshlrev_b32_e32 v2, 24, v2
	v_and_b32_e32 v3, 0x7f000000, v2
	v_ffbh_u32_e32 v8, v3
	v_min_u32_e32 v8, 32, v8
	v_sub_u32_e64 v8, v8, 4 clamp
	v_lshlrev_b32_e32 v10, v8, v3
	v_lshlrev_b32_e32 v8, 23, v8
	v_lshrrev_b32_e32 v10, 4, v10
	v_add_u32_e32 v9, 0x1000000, v3
	v_sub_u32_e32 v8, v10, v8
	v_ashrrev_i32_e32 v9, 8, v9
	v_add_u32_e32 v8, 0x3c000000, v8
	v_and_or_b32 v8, v9, s0, v8
	v_cmp_ne_u32_e32 vcc, 0, v3
	v_cndmask_b32_e32 v3, 0, v8, vcc
	s_brev_b32 s0, 1
	v_and_or_b32 v2, v2, s0, v3
.LBB33_838:
	s_mov_b64 s[0:1], 0
.LBB33_839:
	s_andn2_b64 vcc, exec, s[0:1]
	s_cbranch_vccnz .LBB33_841
; %bb.840:
	global_load_ubyte v2, v[0:1], off
	s_movk_i32 s0, 0x7f00
	s_brev_b32 s1, 16
	s_waitcnt vmcnt(0)
	v_lshlrev_b16_e32 v3, 8, v2
	v_lshlrev_b32_e32 v2, 25, v2
	v_lshrrev_b32_e32 v8, 4, v2
	v_and_or_b32 v9, v3, s0, 0.5
	v_or_b32_e32 v8, 0x70000000, v8
	v_add_f32_e32 v9, -0.5, v9
	v_mul_f32_e32 v8, 0x7800000, v8
	v_cmp_gt_u32_e32 vcc, s1, v2
	v_bfe_i32 v3, v3, 0, 16
	v_cndmask_b32_e32 v2, v8, v9, vcc
	s_brev_b32 s0, 1
	v_and_or_b32 v2, v3, s0, v2
.LBB33_841:
	s_mov_b64 s[38:39], 0
	s_mov_b64 s[0:1], -1
.LBB33_842:
	s_andn2_b64 vcc, exec, s[38:39]
	s_cbranch_vccnz .LBB33_855
; %bb.843:
	v_mov_b32_e32 v2, 14
	v_cmp_gt_i16_sdwa s[38:39], v7, v2 src0_sel:BYTE_0 src1_sel:DWORD
	s_and_b64 vcc, exec, s[38:39]
	s_cbranch_vccz .LBB33_846
; %bb.844:
	v_mov_b32_e32 v2, 15
	v_cmp_eq_u16_sdwa s[36:37], v7, v2 src0_sel:BYTE_0 src1_sel:DWORD
	s_and_b64 vcc, exec, s[36:37]
	s_cbranch_vccz .LBB33_849
; %bb.845:
	global_load_ushort v2, v[0:1], off
	s_mov_b64 s[0:1], -1
	s_mov_b64 s[36:37], 0
	s_waitcnt vmcnt(0)
	v_lshlrev_b32_e32 v2, 16, v2
	s_branch .LBB33_850
.LBB33_846:
	s_mov_b64 s[38:39], -1
                                        ; implicit-def: $vgpr2
	s_branch .LBB33_851
.LBB33_847:
	s_or_saveexec_b64 s[38:39], s[38:39]
	v_mov_b32_e32 v2, s15
	s_xor_b64 exec, exec, s[38:39]
	s_cbranch_execz .LBB33_828
.LBB33_848:
	v_cmp_ne_u16_e32 vcc, 0, v3
	s_andn2_b64 s[0:1], s[0:1], exec
	s_and_b64 s[40:41], vcc, exec
	v_mov_b32_e32 v2, 0
	s_or_b64 s[0:1], s[0:1], s[40:41]
	s_or_b64 exec, exec, s[38:39]
	s_and_saveexec_b64 s[38:39], s[0:1]
	s_cbranch_execnz .LBB33_829
	s_branch .LBB33_830
.LBB33_849:
	s_mov_b64 s[36:37], -1
                                        ; implicit-def: $vgpr2
.LBB33_850:
	s_mov_b64 s[38:39], 0
.LBB33_851:
	s_and_b64 vcc, exec, s[38:39]
	s_cbranch_vccz .LBB33_855
; %bb.852:
	v_mov_b32_e32 v2, 11
	v_cmp_eq_u16_sdwa s[36:37], v7, v2 src0_sel:BYTE_0 src1_sel:DWORD
	s_and_b64 vcc, exec, s[36:37]
	s_cbranch_vccz .LBB33_854
; %bb.853:
	global_load_ubyte v2, v[0:1], off
	s_mov_b64 s[0:1], -1
	s_mov_b64 s[36:37], 0
	s_waitcnt vmcnt(0)
	v_cmp_ne_u16_e32 vcc, 0, v2
	v_cndmask_b32_e64 v2, 0, 1.0, vcc
	s_branch .LBB33_855
.LBB33_854:
	s_mov_b64 s[36:37], -1
                                        ; implicit-def: $vgpr2
.LBB33_855:
	s_mov_b64 s[38:39], 0
.LBB33_856:
	s_and_b64 vcc, exec, s[38:39]
	s_cbranch_vccz .LBB33_905
; %bb.857:
	v_mov_b32_e32 v2, 5
	v_cmp_lt_i16_sdwa s[0:1], v7, v2 src0_sel:BYTE_0 src1_sel:DWORD
	s_and_b64 vcc, exec, s[0:1]
	s_cbranch_vccnz .LBB33_862
; %bb.858:
	v_mov_b32_e32 v2, 8
	v_cmp_lt_i16_sdwa s[0:1], v7, v2 src0_sel:BYTE_0 src1_sel:DWORD
	s_and_b64 vcc, exec, s[0:1]
	s_cbranch_vccnz .LBB33_863
	;; [unrolled: 5-line block ×3, first 2 shown]
; %bb.860:
	v_cmp_gt_i16_sdwa s[0:1], v7, v2 src0_sel:BYTE_0 src1_sel:DWORD
	s_and_b64 vcc, exec, s[0:1]
	s_cbranch_vccz .LBB33_865
; %bb.861:
	global_load_dwordx2 v[2:3], v[0:1], off
	s_mov_b64 s[0:1], 0
	s_waitcnt vmcnt(0)
	v_cvt_f32_f64_e32 v2, v[2:3]
	s_branch .LBB33_866
.LBB33_862:
	s_mov_b64 s[0:1], -1
                                        ; implicit-def: $vgpr2
	s_branch .LBB33_884
.LBB33_863:
	s_mov_b64 s[0:1], -1
                                        ; implicit-def: $vgpr2
	s_branch .LBB33_872
.LBB33_864:
	s_mov_b64 s[0:1], -1
                                        ; implicit-def: $vgpr2
	s_branch .LBB33_869
.LBB33_865:
	s_mov_b64 s[0:1], -1
                                        ; implicit-def: $vgpr2
.LBB33_866:
	s_andn2_b64 vcc, exec, s[0:1]
	s_cbranch_vccnz .LBB33_868
; %bb.867:
	global_load_dword v2, v[0:1], off
.LBB33_868:
	s_mov_b64 s[0:1], 0
.LBB33_869:
	s_andn2_b64 vcc, exec, s[0:1]
	s_cbranch_vccnz .LBB33_871
; %bb.870:
	global_load_dword v2, v[0:1], off
	s_waitcnt vmcnt(0)
	v_cvt_f32_f16_e32 v2, v2
.LBB33_871:
	s_mov_b64 s[0:1], 0
.LBB33_872:
	s_andn2_b64 vcc, exec, s[0:1]
	s_cbranch_vccnz .LBB33_883
; %bb.873:
	s_waitcnt vmcnt(0)
	v_mov_b32_e32 v2, 6
	v_cmp_lt_i16_sdwa s[0:1], v7, v2 src0_sel:BYTE_0 src1_sel:DWORD
	s_and_b64 vcc, exec, s[0:1]
	s_cbranch_vccnz .LBB33_876
; %bb.874:
	v_cmp_gt_i16_sdwa s[0:1], v7, v2 src0_sel:BYTE_0 src1_sel:DWORD
	s_and_b64 vcc, exec, s[0:1]
	s_cbranch_vccz .LBB33_877
; %bb.875:
	global_load_dwordx2 v[2:3], v[0:1], off
	s_mov_b64 s[0:1], 0
	s_waitcnt vmcnt(0)
	v_cvt_f32_f64_e32 v2, v[2:3]
	s_branch .LBB33_878
.LBB33_876:
	s_mov_b64 s[0:1], -1
                                        ; implicit-def: $vgpr2
	s_branch .LBB33_881
.LBB33_877:
	s_mov_b64 s[0:1], -1
                                        ; implicit-def: $vgpr2
.LBB33_878:
	s_andn2_b64 vcc, exec, s[0:1]
	s_cbranch_vccnz .LBB33_880
; %bb.879:
	global_load_dword v2, v[0:1], off
.LBB33_880:
	s_mov_b64 s[0:1], 0
.LBB33_881:
	s_andn2_b64 vcc, exec, s[0:1]
	s_cbranch_vccnz .LBB33_883
; %bb.882:
	global_load_ushort v2, v[0:1], off
	s_waitcnt vmcnt(0)
	v_cvt_f32_f16_e32 v2, v2
.LBB33_883:
	s_mov_b64 s[0:1], 0
.LBB33_884:
	s_andn2_b64 vcc, exec, s[0:1]
	s_cbranch_vccnz .LBB33_904
; %bb.885:
	s_waitcnt vmcnt(0)
	v_mov_b32_e32 v2, 2
	v_cmp_lt_i16_sdwa s[0:1], v7, v2 src0_sel:BYTE_0 src1_sel:DWORD
	s_and_b64 vcc, exec, s[0:1]
	s_cbranch_vccnz .LBB33_889
; %bb.886:
	v_mov_b32_e32 v2, 3
	v_cmp_lt_i16_sdwa s[0:1], v7, v2 src0_sel:BYTE_0 src1_sel:DWORD
	s_and_b64 vcc, exec, s[0:1]
	s_cbranch_vccnz .LBB33_890
; %bb.887:
	v_cmp_gt_i16_sdwa s[0:1], v7, v2 src0_sel:BYTE_0 src1_sel:DWORD
	s_and_b64 vcc, exec, s[0:1]
	s_cbranch_vccz .LBB33_891
; %bb.888:
	global_load_dwordx2 v[2:3], v[0:1], off
	s_mov_b64 s[0:1], 0
	s_waitcnt vmcnt(0)
	v_xor_b32_e32 v9, v2, v3
	v_ffbh_i32_e32 v8, v3
	v_ashrrev_i32_e32 v9, 31, v9
	v_add_u32_e32 v8, -1, v8
	v_add_u32_e32 v9, 32, v9
	v_min_u32_e32 v8, v8, v9
	v_lshlrev_b64 v[2:3], v8, v[2:3]
	v_min_u32_e32 v2, 1, v2
	v_or_b32_e32 v2, v3, v2
	v_cvt_f32_i32_e32 v2, v2
	v_sub_u32_e32 v3, 32, v8
	v_ldexp_f32 v2, v2, v3
	s_branch .LBB33_892
.LBB33_889:
	s_mov_b64 s[0:1], -1
                                        ; implicit-def: $vgpr2
	s_branch .LBB33_898
.LBB33_890:
	s_mov_b64 s[0:1], -1
                                        ; implicit-def: $vgpr2
	s_branch .LBB33_895
.LBB33_891:
	s_mov_b64 s[0:1], -1
                                        ; implicit-def: $vgpr2
.LBB33_892:
	s_andn2_b64 vcc, exec, s[0:1]
	s_cbranch_vccnz .LBB33_894
; %bb.893:
	global_load_dword v2, v[0:1], off
	s_waitcnt vmcnt(0)
	v_cvt_f32_i32_e32 v2, v2
.LBB33_894:
	s_mov_b64 s[0:1], 0
.LBB33_895:
	s_andn2_b64 vcc, exec, s[0:1]
	s_cbranch_vccnz .LBB33_897
; %bb.896:
	global_load_sshort v2, v[0:1], off
	s_waitcnt vmcnt(0)
	v_cvt_f32_i32_e32 v2, v2
.LBB33_897:
	s_mov_b64 s[0:1], 0
.LBB33_898:
	s_andn2_b64 vcc, exec, s[0:1]
	s_cbranch_vccnz .LBB33_904
; %bb.899:
	v_mov_b32_e32 v2, 0
	v_cmp_gt_i16_sdwa s[0:1], v7, v2 src0_sel:BYTE_0 src1_sel:DWORD
	s_and_b64 vcc, exec, s[0:1]
	s_cbranch_vccz .LBB33_901
; %bb.900:
	global_load_sbyte v2, v[0:1], off
	s_mov_b64 s[0:1], 0
	s_waitcnt vmcnt(0)
	v_cvt_f32_i32_e32 v2, v2
	s_branch .LBB33_902
.LBB33_901:
	s_mov_b64 s[0:1], -1
                                        ; implicit-def: $vgpr2
.LBB33_902:
	s_andn2_b64 vcc, exec, s[0:1]
	s_cbranch_vccnz .LBB33_904
; %bb.903:
	global_load_ubyte v0, v[0:1], off
	s_waitcnt vmcnt(0)
	v_cvt_f32_ubyte0_e32 v2, v0
.LBB33_904:
	s_mov_b64 s[0:1], -1
.LBB33_905:
	s_andn2_b64 vcc, exec, s[0:1]
	s_cbranch_vccnz .LBB33_913
; %bb.906:
	v_mul_lo_u32 v0, v5, s14
	v_ashrrev_i32_e32 v1, 31, v0
	v_mov_b32_e32 v3, s3
	v_add_co_u32_e32 v0, vcc, s2, v0
	v_addc_co_u32_e32 v1, vcc, v3, v1, vcc
	v_mov_b32_e32 v3, 11
	v_cmp_lt_i16_sdwa s[0:1], v6, v3 src0_sel:BYTE_0 src1_sel:DWORD
	s_and_b64 vcc, exec, s[0:1]
	s_cbranch_vccnz .LBB33_915
; %bb.907:
	v_mov_b32_e32 v3, 25
	v_cmp_gt_i16_sdwa s[0:1], v6, v3 src0_sel:BYTE_0 src1_sel:DWORD
	s_and_b64 vcc, exec, s[0:1]
	s_cbranch_vccz .LBB33_916
; %bb.908:
	v_mov_b32_e32 v3, 28
	v_cmp_gt_i16_sdwa s[0:1], v6, v3 src0_sel:BYTE_0 src1_sel:DWORD
	s_and_b64 vcc, exec, s[0:1]
	s_cbranch_vccz .LBB33_917
	;; [unrolled: 5-line block ×4, first 2 shown]
; %bb.911:
	v_mov_b32_e32 v3, 46
	v_cmp_eq_u16_sdwa s[0:1], v6, v3 src0_sel:BYTE_0 src1_sel:DWORD
	s_mov_b64 s[40:41], 0
	s_and_b64 vcc, exec, s[0:1]
	s_cbranch_vccz .LBB33_922
; %bb.912:
	global_load_dword v3, v[0:1], off
	s_mov_b64 s[0:1], -1
	s_mov_b64 s[38:39], 0
	s_waitcnt vmcnt(0)
	v_lshlrev_b32_e32 v3, 16, v3
	s_branch .LBB33_923
.LBB33_913:
	s_mov_b64 s[42:43], 0
	s_mov_b64 s[0:1], s[28:29]
	;; [unrolled: 1-line block ×3, first 2 shown]
.LBB33_914:
                                        ; implicit-def: $vgpr5
	s_branch .LBB33_1161
.LBB33_915:
	s_mov_b64 s[40:41], -1
	s_mov_b64 s[0:1], 0
                                        ; implicit-def: $vgpr3
	s_mov_b64 s[38:39], s[26:27]
	s_branch .LBB33_988
.LBB33_916:
	s_mov_b64 s[40:41], -1
	s_mov_b64 s[0:1], 0
	s_mov_b64 s[38:39], s[26:27]
                                        ; implicit-def: $vgpr3
	s_branch .LBB33_952
.LBB33_917:
	s_mov_b64 s[40:41], -1
	s_mov_b64 s[0:1], 0
	s_mov_b64 s[38:39], s[26:27]
                                        ; implicit-def: $vgpr3
	s_branch .LBB33_933
.LBB33_918:
	s_mov_b64 s[40:41], -1
	s_mov_b64 s[0:1], 0
	s_mov_b64 s[38:39], s[26:27]
                                        ; implicit-def: $vgpr3
	s_branch .LBB33_928
.LBB33_919:
	s_mov_b64 s[40:41], -1
	s_mov_b64 s[0:1], 0
	s_mov_b64 s[38:39], s[26:27]
                                        ; implicit-def: $vgpr3
	s_branch .LBB33_923
.LBB33_920:
	s_or_saveexec_b64 s[36:37], s[36:37]
                                        ; implicit-def: $sgpr15
	s_xor_b64 exec, exec, s[36:37]
	s_cbranch_execz .LBB33_696
.LBB33_921:
	s_mov_b32 s15, 0x42800000
	v_add_f32_e64 v3, |v2|, s15
	v_and_b32_e32 v3, 0xff, v3
	v_cmp_ne_u32_e32 vcc, 0, v3
	s_andn2_b64 s[34:35], s[34:35], exec
	s_and_b64 s[38:39], vcc, exec
	s_mov_b32 s15, 0
	s_or_b64 s[34:35], s[34:35], s[38:39]
	s_or_b64 exec, exec, s[36:37]
	v_mov_b32_e32 v8, s15
	s_and_saveexec_b64 s[36:37], s[34:35]
	s_cbranch_execnz .LBB33_697
	s_branch .LBB33_698
.LBB33_922:
	s_mov_b64 s[38:39], -1
                                        ; implicit-def: $vgpr3
	s_mov_b64 s[0:1], 0
.LBB33_923:
	s_and_b64 vcc, exec, s[40:41]
	s_cbranch_vccz .LBB33_927
; %bb.924:
	v_mov_b32_e32 v3, 44
	v_cmp_eq_u16_sdwa s[38:39], v6, v3 src0_sel:BYTE_0 src1_sel:DWORD
	s_and_b64 vcc, exec, s[38:39]
	s_cbranch_vccz .LBB33_926
; %bb.925:
	global_load_ubyte v3, v[0:1], off
	s_movk_i32 s15, 0xff
	v_mov_b32_e32 v8, 0x7f800001
	v_mov_b32_e32 v9, 0x400000
	s_mov_b64 s[0:1], -1
	s_mov_b64 s[38:39], 0
	s_waitcnt vmcnt(0)
	v_lshlrev_b32_e32 v10, 23, v3
	v_cmp_ne_u32_e32 vcc, s15, v3
	v_cndmask_b32_e32 v8, v8, v10, vcc
	v_cmp_ne_u32_e32 vcc, 0, v3
	v_cndmask_b32_e32 v3, v9, v8, vcc
	s_branch .LBB33_927
.LBB33_926:
	s_mov_b64 s[38:39], -1
                                        ; implicit-def: $vgpr3
.LBB33_927:
	s_mov_b64 s[40:41], 0
.LBB33_928:
	s_and_b64 vcc, exec, s[40:41]
	s_cbranch_vccz .LBB33_932
; %bb.929:
	v_mov_b32_e32 v3, 29
	v_cmp_eq_u16_sdwa s[38:39], v6, v3 src0_sel:BYTE_0 src1_sel:DWORD
	s_and_b64 vcc, exec, s[38:39]
	s_cbranch_vccz .LBB33_931
; %bb.930:
	global_load_dwordx2 v[8:9], v[0:1], off
	s_mov_b64 s[0:1], -1
	s_mov_b64 s[38:39], 0
	s_mov_b64 s[40:41], 0
	s_waitcnt vmcnt(0)
	v_ffbh_u32_e32 v3, v9
	v_min_u32_e32 v3, 32, v3
	v_lshlrev_b64 v[8:9], v3, v[8:9]
	v_min_u32_e32 v8, 1, v8
	v_or_b32_e32 v8, v9, v8
	v_cvt_f32_u32_e32 v8, v8
	v_sub_u32_e32 v3, 32, v3
	v_ldexp_f32 v3, v8, v3
	s_branch .LBB33_933
.LBB33_931:
	s_mov_b64 s[38:39], -1
                                        ; implicit-def: $vgpr3
.LBB33_932:
	s_mov_b64 s[40:41], 0
.LBB33_933:
	s_and_b64 vcc, exec, s[40:41]
	s_cbranch_vccz .LBB33_951
; %bb.934:
	v_mov_b32_e32 v3, 27
	v_cmp_lt_i16_sdwa s[0:1], v6, v3 src0_sel:BYTE_0 src1_sel:DWORD
	s_and_b64 vcc, exec, s[0:1]
	s_cbranch_vccnz .LBB33_937
; %bb.935:
	v_cmp_gt_i16_sdwa s[0:1], v6, v3 src0_sel:BYTE_0 src1_sel:DWORD
	s_and_b64 vcc, exec, s[0:1]
	s_cbranch_vccz .LBB33_938
; %bb.936:
	global_load_dword v3, v[0:1], off
	s_mov_b64 s[0:1], 0
	s_waitcnt vmcnt(0)
	v_cvt_f32_u32_e32 v3, v3
	s_branch .LBB33_939
.LBB33_937:
	s_mov_b64 s[0:1], -1
                                        ; implicit-def: $vgpr3
	s_branch .LBB33_942
.LBB33_938:
	s_mov_b64 s[0:1], -1
                                        ; implicit-def: $vgpr3
.LBB33_939:
	s_andn2_b64 vcc, exec, s[0:1]
	s_cbranch_vccnz .LBB33_941
; %bb.940:
	global_load_ushort v3, v[0:1], off
	s_waitcnt vmcnt(0)
	v_cvt_f32_u32_e32 v3, v3
.LBB33_941:
	s_mov_b64 s[0:1], 0
.LBB33_942:
	s_andn2_b64 vcc, exec, s[0:1]
	s_cbranch_vccnz .LBB33_950
; %bb.943:
	global_load_ubyte v8, v[0:1], off
	s_movk_i32 s0, 0x7f
                                        ; implicit-def: $sgpr15
	s_waitcnt vmcnt(0)
	v_cmp_lt_i16_e32 vcc, s0, v8
	s_mov_b64 s[0:1], 0
	s_and_saveexec_b64 s[40:41], vcc
	s_xor_b64 s[40:41], exec, s[40:41]
	s_cbranch_execz .LBB33_964
; %bb.944:
	s_movk_i32 s0, 0x80
	v_cmp_eq_u16_e32 vcc, s0, v8
	s_mov_b64 s[0:1], -1
                                        ; implicit-def: $sgpr15
	s_and_saveexec_b64 s[42:43], vcc
; %bb.945:
	s_mov_b32 s15, 0x7f800001
	s_xor_b64 s[0:1], exec, -1
; %bb.946:
	s_or_b64 exec, exec, s[42:43]
	s_and_b64 s[0:1], s[0:1], exec
	s_or_saveexec_b64 s[40:41], s[40:41]
	v_mov_b32_e32 v3, s15
	s_xor_b64 exec, exec, s[40:41]
	s_cbranch_execnz .LBB33_965
.LBB33_947:
	s_or_b64 exec, exec, s[40:41]
	s_and_saveexec_b64 s[40:41], s[0:1]
	s_cbranch_execz .LBB33_949
.LBB33_948:
	v_lshlrev_b32_e32 v3, 24, v8
	v_and_b32_e32 v8, 0xffff, v8
	v_and_b32_e32 v9, 7, v8
	v_ffbh_u32_e32 v11, v9
	v_min_u32_e32 v11, 32, v11
	v_subrev_u32_e32 v12, 28, v11
	v_bfe_u32 v10, v8, 3, 4
	v_lshlrev_b32_e32 v8, v12, v8
	v_sub_u32_e32 v11, 29, v11
	v_and_b32_e32 v8, 7, v8
	v_cmp_eq_u32_e32 vcc, 0, v10
	v_cndmask_b32_e32 v10, v10, v11, vcc
	v_cndmask_b32_e32 v8, v9, v8, vcc
	v_mov_b32_e32 v9, 0x3b800000
	v_lshlrev_b32_e32 v8, 20, v8
	v_and_b32_e32 v3, 0x80000000, v3
	v_lshl_add_u32 v9, v10, 23, v9
	v_or3_b32 v3, v3, v9, v8
.LBB33_949:
	s_or_b64 exec, exec, s[40:41]
.LBB33_950:
	s_mov_b64 s[0:1], -1
.LBB33_951:
	s_mov_b64 s[40:41], 0
.LBB33_952:
	s_and_b64 vcc, exec, s[40:41]
	s_cbranch_vccz .LBB33_987
; %bb.953:
	v_mov_b32_e32 v3, 22
	v_cmp_gt_i16_sdwa s[40:41], v6, v3 src0_sel:BYTE_0 src1_sel:DWORD
	s_and_b64 vcc, exec, s[40:41]
	s_cbranch_vccz .LBB33_963
; %bb.954:
	v_mov_b32_e32 v3, 24
	v_cmp_lt_i16_sdwa s[0:1], v6, v3 src0_sel:BYTE_0 src1_sel:DWORD
	s_and_b64 vcc, exec, s[0:1]
	s_cbranch_vccnz .LBB33_966
; %bb.955:
	v_cmp_gt_i16_sdwa s[0:1], v6, v3 src0_sel:BYTE_0 src1_sel:DWORD
	s_and_b64 vcc, exec, s[0:1]
	s_cbranch_vccz .LBB33_967
; %bb.956:
	global_load_ubyte v8, v[0:1], off
	s_movk_i32 s0, 0x7f
                                        ; implicit-def: $sgpr15
	s_waitcnt vmcnt(0)
	v_cmp_lt_i16_e32 vcc, s0, v8
	s_mov_b64 s[0:1], 0
	s_and_saveexec_b64 s[40:41], vcc
	s_xor_b64 s[40:41], exec, s[40:41]
	s_cbranch_execz .LBB33_979
; %bb.957:
	s_movk_i32 s0, 0x80
	v_cmp_eq_u16_e32 vcc, s0, v8
	s_mov_b64 s[0:1], -1
                                        ; implicit-def: $sgpr15
	s_and_saveexec_b64 s[42:43], vcc
; %bb.958:
	s_mov_b32 s15, 0x7f800001
	s_xor_b64 s[0:1], exec, -1
; %bb.959:
	s_or_b64 exec, exec, s[42:43]
	s_and_b64 s[0:1], s[0:1], exec
	s_or_saveexec_b64 s[40:41], s[40:41]
	v_mov_b32_e32 v3, s15
	s_xor_b64 exec, exec, s[40:41]
	s_cbranch_execnz .LBB33_980
.LBB33_960:
	s_or_b64 exec, exec, s[40:41]
	s_and_saveexec_b64 s[40:41], s[0:1]
	s_cbranch_execz .LBB33_962
.LBB33_961:
	v_lshlrev_b32_e32 v3, 24, v8
	v_and_b32_e32 v8, 0xffff, v8
	v_and_b32_e32 v9, 3, v8
	v_ffbh_u32_e32 v11, v9
	v_min_u32_e32 v11, 32, v11
	v_subrev_u32_e32 v12, 29, v11
	v_bfe_u32 v10, v8, 2, 5
	v_lshlrev_b32_e32 v8, v12, v8
	v_sub_u32_e32 v11, 30, v11
	v_and_b32_e32 v8, 3, v8
	v_cmp_eq_u32_e32 vcc, 0, v10
	v_cndmask_b32_e32 v10, v10, v11, vcc
	v_cndmask_b32_e32 v8, v9, v8, vcc
	v_mov_b32_e32 v9, 0x37800000
	v_lshlrev_b32_e32 v8, 21, v8
	v_and_b32_e32 v3, 0x80000000, v3
	v_lshl_add_u32 v9, v10, 23, v9
	v_or3_b32 v3, v3, v9, v8
.LBB33_962:
	s_or_b64 exec, exec, s[40:41]
	s_mov_b64 s[0:1], 0
	s_branch .LBB33_968
.LBB33_963:
	s_mov_b64 s[40:41], -1
                                        ; implicit-def: $vgpr3
	s_branch .LBB33_974
.LBB33_964:
	s_or_saveexec_b64 s[40:41], s[40:41]
	v_mov_b32_e32 v3, s15
	s_xor_b64 exec, exec, s[40:41]
	s_cbranch_execz .LBB33_947
.LBB33_965:
	v_cmp_ne_u16_e32 vcc, 0, v8
	s_andn2_b64 s[0:1], s[0:1], exec
	s_and_b64 s[42:43], vcc, exec
	v_mov_b32_e32 v3, 0
	s_or_b64 s[0:1], s[0:1], s[42:43]
	s_or_b64 exec, exec, s[40:41]
	s_and_saveexec_b64 s[40:41], s[0:1]
	s_cbranch_execnz .LBB33_948
	s_branch .LBB33_949
.LBB33_966:
	s_mov_b64 s[0:1], -1
                                        ; implicit-def: $vgpr3
	s_branch .LBB33_971
.LBB33_967:
	s_mov_b64 s[0:1], -1
                                        ; implicit-def: $vgpr3
.LBB33_968:
	s_and_b64 vcc, exec, s[0:1]
	s_cbranch_vccz .LBB33_970
; %bb.969:
	global_load_ubyte v3, v[0:1], off
	s_mov_b32 s0, 0x7f800000
	s_waitcnt vmcnt(0)
	v_lshlrev_b32_e32 v3, 24, v3
	v_and_b32_e32 v8, 0x7f000000, v3
	v_ffbh_u32_e32 v9, v8
	v_min_u32_e32 v9, 32, v9
	v_sub_u32_e64 v9, v9, 4 clamp
	v_lshlrev_b32_e32 v11, v9, v8
	v_lshlrev_b32_e32 v9, 23, v9
	v_lshrrev_b32_e32 v11, 4, v11
	v_add_u32_e32 v10, 0x1000000, v8
	v_sub_u32_e32 v9, v11, v9
	v_ashrrev_i32_e32 v10, 8, v10
	v_add_u32_e32 v9, 0x3c000000, v9
	v_and_or_b32 v9, v10, s0, v9
	v_cmp_ne_u32_e32 vcc, 0, v8
	v_cndmask_b32_e32 v8, 0, v9, vcc
	s_brev_b32 s0, 1
	v_and_or_b32 v3, v3, s0, v8
.LBB33_970:
	s_mov_b64 s[0:1], 0
.LBB33_971:
	s_andn2_b64 vcc, exec, s[0:1]
	s_cbranch_vccnz .LBB33_973
; %bb.972:
	global_load_ubyte v3, v[0:1], off
	s_movk_i32 s0, 0x7f00
	s_brev_b32 s1, 16
	s_waitcnt vmcnt(0)
	v_lshlrev_b16_e32 v8, 8, v3
	v_lshlrev_b32_e32 v3, 25, v3
	v_lshrrev_b32_e32 v9, 4, v3
	v_and_or_b32 v10, v8, s0, 0.5
	v_or_b32_e32 v9, 0x70000000, v9
	v_add_f32_e32 v10, -0.5, v10
	v_mul_f32_e32 v9, 0x7800000, v9
	v_cmp_gt_u32_e32 vcc, s1, v3
	v_bfe_i32 v8, v8, 0, 16
	v_cndmask_b32_e32 v3, v9, v10, vcc
	s_brev_b32 s0, 1
	v_and_or_b32 v3, v8, s0, v3
.LBB33_973:
	s_mov_b64 s[40:41], 0
	s_mov_b64 s[0:1], -1
.LBB33_974:
	s_andn2_b64 vcc, exec, s[40:41]
	s_cbranch_vccnz .LBB33_987
; %bb.975:
	v_mov_b32_e32 v3, 14
	v_cmp_gt_i16_sdwa s[40:41], v6, v3 src0_sel:BYTE_0 src1_sel:DWORD
	s_and_b64 vcc, exec, s[40:41]
	s_cbranch_vccz .LBB33_978
; %bb.976:
	v_mov_b32_e32 v3, 15
	v_cmp_eq_u16_sdwa s[38:39], v6, v3 src0_sel:BYTE_0 src1_sel:DWORD
	s_and_b64 vcc, exec, s[38:39]
	s_cbranch_vccz .LBB33_981
; %bb.977:
	global_load_ushort v3, v[0:1], off
	s_mov_b64 s[0:1], -1
	s_mov_b64 s[38:39], 0
	s_waitcnt vmcnt(0)
	v_lshlrev_b32_e32 v3, 16, v3
	s_branch .LBB33_982
.LBB33_978:
	s_mov_b64 s[40:41], -1
                                        ; implicit-def: $vgpr3
	s_branch .LBB33_983
.LBB33_979:
	s_or_saveexec_b64 s[40:41], s[40:41]
	v_mov_b32_e32 v3, s15
	s_xor_b64 exec, exec, s[40:41]
	s_cbranch_execz .LBB33_960
.LBB33_980:
	v_cmp_ne_u16_e32 vcc, 0, v8
	s_andn2_b64 s[0:1], s[0:1], exec
	s_and_b64 s[42:43], vcc, exec
	v_mov_b32_e32 v3, 0
	s_or_b64 s[0:1], s[0:1], s[42:43]
	s_or_b64 exec, exec, s[40:41]
	s_and_saveexec_b64 s[40:41], s[0:1]
	s_cbranch_execnz .LBB33_961
	s_branch .LBB33_962
.LBB33_981:
	s_mov_b64 s[38:39], -1
                                        ; implicit-def: $vgpr3
.LBB33_982:
	s_mov_b64 s[40:41], 0
.LBB33_983:
	s_and_b64 vcc, exec, s[40:41]
	s_cbranch_vccz .LBB33_987
; %bb.984:
	v_mov_b32_e32 v3, 11
	v_cmp_eq_u16_sdwa s[38:39], v6, v3 src0_sel:BYTE_0 src1_sel:DWORD
	s_and_b64 vcc, exec, s[38:39]
	s_cbranch_vccz .LBB33_986
; %bb.985:
	global_load_ubyte v3, v[0:1], off
	s_mov_b64 s[0:1], -1
	s_mov_b64 s[38:39], 0
	s_waitcnt vmcnt(0)
	v_cmp_ne_u16_e32 vcc, 0, v3
	v_cndmask_b32_e64 v3, 0, 1.0, vcc
	s_branch .LBB33_987
.LBB33_986:
	s_mov_b64 s[38:39], -1
                                        ; implicit-def: $vgpr3
.LBB33_987:
	s_mov_b64 s[40:41], 0
.LBB33_988:
	s_and_b64 vcc, exec, s[40:41]
	s_cbranch_vccz .LBB33_1037
; %bb.989:
	v_mov_b32_e32 v3, 5
	v_cmp_lt_i16_sdwa s[0:1], v6, v3 src0_sel:BYTE_0 src1_sel:DWORD
	s_and_b64 vcc, exec, s[0:1]
	s_cbranch_vccnz .LBB33_994
; %bb.990:
	v_mov_b32_e32 v3, 8
	v_cmp_lt_i16_sdwa s[0:1], v6, v3 src0_sel:BYTE_0 src1_sel:DWORD
	s_and_b64 vcc, exec, s[0:1]
	s_cbranch_vccnz .LBB33_995
	;; [unrolled: 5-line block ×3, first 2 shown]
; %bb.992:
	v_cmp_gt_i16_sdwa s[0:1], v6, v3 src0_sel:BYTE_0 src1_sel:DWORD
	s_and_b64 vcc, exec, s[0:1]
	s_cbranch_vccz .LBB33_997
; %bb.993:
	global_load_dwordx2 v[8:9], v[0:1], off
	s_mov_b64 s[0:1], 0
	s_waitcnt vmcnt(0)
	v_cvt_f32_f64_e32 v3, v[8:9]
	s_branch .LBB33_998
.LBB33_994:
	s_mov_b64 s[0:1], -1
                                        ; implicit-def: $vgpr3
	s_branch .LBB33_1016
.LBB33_995:
	s_mov_b64 s[0:1], -1
                                        ; implicit-def: $vgpr3
	s_branch .LBB33_1004
.LBB33_996:
	s_mov_b64 s[0:1], -1
                                        ; implicit-def: $vgpr3
	s_branch .LBB33_1001
.LBB33_997:
	s_mov_b64 s[0:1], -1
                                        ; implicit-def: $vgpr3
.LBB33_998:
	s_andn2_b64 vcc, exec, s[0:1]
	s_cbranch_vccnz .LBB33_1000
; %bb.999:
	global_load_dword v3, v[0:1], off
.LBB33_1000:
	s_mov_b64 s[0:1], 0
.LBB33_1001:
	s_andn2_b64 vcc, exec, s[0:1]
	s_cbranch_vccnz .LBB33_1003
; %bb.1002:
	global_load_dword v3, v[0:1], off
	s_waitcnt vmcnt(0)
	v_cvt_f32_f16_e32 v3, v3
.LBB33_1003:
	s_mov_b64 s[0:1], 0
.LBB33_1004:
	s_andn2_b64 vcc, exec, s[0:1]
	s_cbranch_vccnz .LBB33_1015
; %bb.1005:
	s_waitcnt vmcnt(0)
	v_mov_b32_e32 v3, 6
	v_cmp_lt_i16_sdwa s[0:1], v6, v3 src0_sel:BYTE_0 src1_sel:DWORD
	s_and_b64 vcc, exec, s[0:1]
	s_cbranch_vccnz .LBB33_1008
; %bb.1006:
	v_cmp_gt_i16_sdwa s[0:1], v6, v3 src0_sel:BYTE_0 src1_sel:DWORD
	s_and_b64 vcc, exec, s[0:1]
	s_cbranch_vccz .LBB33_1009
; %bb.1007:
	global_load_dwordx2 v[8:9], v[0:1], off
	s_mov_b64 s[0:1], 0
	s_waitcnt vmcnt(0)
	v_cvt_f32_f64_e32 v3, v[8:9]
	s_branch .LBB33_1010
.LBB33_1008:
	s_mov_b64 s[0:1], -1
                                        ; implicit-def: $vgpr3
	s_branch .LBB33_1013
.LBB33_1009:
	s_mov_b64 s[0:1], -1
                                        ; implicit-def: $vgpr3
.LBB33_1010:
	s_andn2_b64 vcc, exec, s[0:1]
	s_cbranch_vccnz .LBB33_1012
; %bb.1011:
	global_load_dword v3, v[0:1], off
.LBB33_1012:
	s_mov_b64 s[0:1], 0
.LBB33_1013:
	s_andn2_b64 vcc, exec, s[0:1]
	s_cbranch_vccnz .LBB33_1015
; %bb.1014:
	global_load_ushort v3, v[0:1], off
	s_waitcnt vmcnt(0)
	v_cvt_f32_f16_e32 v3, v3
.LBB33_1015:
	s_mov_b64 s[0:1], 0
.LBB33_1016:
	s_andn2_b64 vcc, exec, s[0:1]
	s_cbranch_vccnz .LBB33_1036
; %bb.1017:
	s_waitcnt vmcnt(0)
	v_mov_b32_e32 v3, 2
	v_cmp_lt_i16_sdwa s[0:1], v6, v3 src0_sel:BYTE_0 src1_sel:DWORD
	s_and_b64 vcc, exec, s[0:1]
	s_cbranch_vccnz .LBB33_1021
; %bb.1018:
	v_mov_b32_e32 v3, 3
	v_cmp_lt_i16_sdwa s[0:1], v6, v3 src0_sel:BYTE_0 src1_sel:DWORD
	s_and_b64 vcc, exec, s[0:1]
	s_cbranch_vccnz .LBB33_1022
; %bb.1019:
	v_cmp_gt_i16_sdwa s[0:1], v6, v3 src0_sel:BYTE_0 src1_sel:DWORD
	s_and_b64 vcc, exec, s[0:1]
	s_cbranch_vccz .LBB33_1023
; %bb.1020:
	global_load_dwordx2 v[8:9], v[0:1], off
	s_mov_b64 s[0:1], 0
	s_waitcnt vmcnt(0)
	v_xor_b32_e32 v10, v8, v9
	v_ffbh_i32_e32 v3, v9
	v_ashrrev_i32_e32 v10, 31, v10
	v_add_u32_e32 v3, -1, v3
	v_add_u32_e32 v10, 32, v10
	v_min_u32_e32 v3, v3, v10
	v_lshlrev_b64 v[8:9], v3, v[8:9]
	v_min_u32_e32 v8, 1, v8
	v_or_b32_e32 v8, v9, v8
	v_cvt_f32_i32_e32 v8, v8
	v_sub_u32_e32 v3, 32, v3
	v_ldexp_f32 v3, v8, v3
	s_branch .LBB33_1024
.LBB33_1021:
	s_mov_b64 s[0:1], -1
                                        ; implicit-def: $vgpr3
	s_branch .LBB33_1030
.LBB33_1022:
	s_mov_b64 s[0:1], -1
                                        ; implicit-def: $vgpr3
	s_branch .LBB33_1027
.LBB33_1023:
	s_mov_b64 s[0:1], -1
                                        ; implicit-def: $vgpr3
.LBB33_1024:
	s_andn2_b64 vcc, exec, s[0:1]
	s_cbranch_vccnz .LBB33_1026
; %bb.1025:
	global_load_dword v3, v[0:1], off
	s_waitcnt vmcnt(0)
	v_cvt_f32_i32_e32 v3, v3
.LBB33_1026:
	s_mov_b64 s[0:1], 0
.LBB33_1027:
	s_andn2_b64 vcc, exec, s[0:1]
	s_cbranch_vccnz .LBB33_1029
; %bb.1028:
	global_load_sshort v3, v[0:1], off
	s_waitcnt vmcnt(0)
	v_cvt_f32_i32_e32 v3, v3
.LBB33_1029:
	s_mov_b64 s[0:1], 0
.LBB33_1030:
	s_andn2_b64 vcc, exec, s[0:1]
	s_cbranch_vccnz .LBB33_1036
; %bb.1031:
	v_mov_b32_e32 v3, 0
	v_cmp_gt_i16_sdwa s[0:1], v6, v3 src0_sel:BYTE_0 src1_sel:DWORD
	s_and_b64 vcc, exec, s[0:1]
	s_cbranch_vccz .LBB33_1033
; %bb.1032:
	global_load_sbyte v3, v[0:1], off
	s_mov_b64 s[0:1], 0
	s_waitcnt vmcnt(0)
	v_cvt_f32_i32_e32 v3, v3
	s_branch .LBB33_1034
.LBB33_1033:
	s_mov_b64 s[0:1], -1
                                        ; implicit-def: $vgpr3
.LBB33_1034:
	s_andn2_b64 vcc, exec, s[0:1]
	s_cbranch_vccnz .LBB33_1036
; %bb.1035:
	global_load_ubyte v0, v[0:1], off
	s_waitcnt vmcnt(0)
	v_cvt_f32_ubyte0_e32 v3, v0
.LBB33_1036:
	s_mov_b64 s[0:1], -1
.LBB33_1037:
	s_andn2_b64 vcc, exec, s[0:1]
	s_cbranch_vccnz .LBB33_1045
; %bb.1038:
	s_waitcnt vmcnt(0)
	v_mul_f32_e32 v0, v2, v3
	v_cmp_lt_f32_e32 vcc, 0, v2
	v_cndmask_b32_e32 v2, v0, v2, vcc
	v_mul_lo_u32 v0, v5, s12
	v_ashrrev_i32_e32 v1, 31, v0
	v_mov_b32_e32 v3, s9
	v_add_co_u32_e32 v0, vcc, s8, v0
	v_addc_co_u32_e32 v1, vcc, v3, v1, vcc
	v_mov_b32_e32 v3, 11
	v_cmp_lt_i16_sdwa s[0:1], v4, v3 src0_sel:BYTE_0 src1_sel:DWORD
	s_and_b64 vcc, exec, s[0:1]
	s_cbranch_vccnz .LBB33_1046
; %bb.1039:
	v_mov_b32_e32 v3, 25
	v_cmp_gt_i16_sdwa s[0:1], v4, v3 src0_sel:BYTE_0 src1_sel:DWORD
	s_and_b64 vcc, exec, s[0:1]
	s_cbranch_vccz .LBB33_1047
; %bb.1040:
	v_mov_b32_e32 v3, 28
	v_cmp_gt_i16_sdwa s[0:1], v4, v3 src0_sel:BYTE_0 src1_sel:DWORD
	s_and_b64 vcc, exec, s[0:1]
	s_cbranch_vccz .LBB33_1048
	;; [unrolled: 5-line block ×4, first 2 shown]
; %bb.1043:
	v_mov_b32_e32 v3, 46
	v_cmp_eq_u16_sdwa s[40:41], v4, v3 src0_sel:BYTE_0 src1_sel:DWORD
	s_mov_b64 s[42:43], 0
	s_mov_b64 s[0:1], -1
	s_and_b64 vcc, exec, s[40:41]
	s_mov_b64 s[40:41], 0
	s_cbranch_vccz .LBB33_1051
; %bb.1044:
	v_bfe_u32 v3, v2, 16, 1
	s_movk_i32 s0, 0x7fff
	v_add3_u32 v3, v2, v3, s0
	v_lshrrev_b32_e32 v3, 16, v3
	v_mov_b32_e32 v8, 0x7fc0
	v_cmp_o_f32_e32 vcc, v2, v2
	v_cndmask_b32_e32 v3, v8, v3, vcc
	global_store_dword v[0:1], v3, off
	s_mov_b64 s[40:41], -1
	s_mov_b64 s[0:1], 0
	s_branch .LBB33_1051
.LBB33_1045:
	s_mov_b64 s[42:43], 0
                                        ; implicit-def: $vgpr5
	s_mov_b64 s[0:1], s[28:29]
	s_branch .LBB33_1161
.LBB33_1046:
	s_mov_b64 s[42:43], -1
	s_mov_b64 s[40:41], 0
	s_mov_b64 s[0:1], s[28:29]
	s_branch .LBB33_1120
.LBB33_1047:
	s_mov_b64 s[42:43], -1
	s_mov_b64 s[40:41], 0
	s_mov_b64 s[0:1], s[28:29]
	s_branch .LBB33_1078
.LBB33_1048:
	s_mov_b64 s[42:43], -1
	s_mov_b64 s[40:41], 0
	s_mov_b64 s[0:1], s[28:29]
	s_branch .LBB33_1061
.LBB33_1049:
	s_mov_b64 s[42:43], -1
	s_mov_b64 s[40:41], 0
	s_mov_b64 s[0:1], s[28:29]
	s_branch .LBB33_1057
.LBB33_1050:
	s_mov_b64 s[42:43], -1
	s_mov_b64 s[40:41], 0
	s_mov_b64 s[0:1], s[28:29]
.LBB33_1051:
	s_and_b64 vcc, exec, s[42:43]
	s_cbranch_vccz .LBB33_1056
; %bb.1052:
	v_mov_b32_e32 v3, 44
	v_cmp_eq_u16_sdwa s[42:43], v4, v3 src0_sel:BYTE_0 src1_sel:DWORD
	s_mov_b64 s[0:1], -1
	s_and_b64 vcc, exec, s[42:43]
	s_cbranch_vccz .LBB33_1056
; %bb.1053:
	v_bfe_u32 v3, v2, 23, 8
	s_movk_i32 s0, 0xff
	v_cmp_ne_u32_e32 vcc, s0, v3
	v_mov_b32_e32 v8, 0xff
	s_and_saveexec_b64 s[40:41], vcc
; %bb.1054:
	s_mov_b32 s0, 0x3fffff
	v_and_b32_e32 v9, 0x400000, v2
	v_and_or_b32 v3, v2, s0, v3
	v_cmp_ne_u32_e32 vcc, 0, v9
	v_cmp_ne_u32_e64 s[0:1], 0, v3
	s_and_b64 s[0:1], vcc, s[0:1]
	v_lshrrev_b32_e32 v8, 23, v2
	v_cndmask_b32_e64 v3, 0, 1, s[0:1]
	v_add_u32_e32 v8, v8, v3
; %bb.1055:
	s_or_b64 exec, exec, s[40:41]
	s_mov_b64 s[40:41], -1
	s_mov_b64 s[0:1], 0
	global_store_byte v[0:1], v8, off
.LBB33_1056:
	s_mov_b64 s[42:43], 0
.LBB33_1057:
	s_and_b64 vcc, exec, s[42:43]
	s_cbranch_vccz .LBB33_1060
; %bb.1058:
	v_mov_b32_e32 v3, 29
	v_cmp_eq_u16_sdwa s[42:43], v4, v3 src0_sel:BYTE_0 src1_sel:DWORD
	s_mov_b64 s[0:1], -1
	s_and_b64 vcc, exec, s[42:43]
	s_cbranch_vccz .LBB33_1060
; %bb.1059:
	v_trunc_f32_e32 v3, v2
	v_mul_f32_e32 v8, 0x2f800000, v3
	v_floor_f32_e32 v8, v8
	v_fmac_f32_e32 v3, 0xcf800000, v8
	v_cvt_u32_f32_e32 v9, v8
	v_cvt_u32_f32_e32 v8, v3
	s_mov_b64 s[40:41], -1
	s_mov_b64 s[0:1], 0
	s_mov_b64 s[42:43], 0
	global_store_dwordx2 v[0:1], v[8:9], off
	s_branch .LBB33_1061
.LBB33_1060:
	s_mov_b64 s[42:43], 0
.LBB33_1061:
	s_and_b64 vcc, exec, s[42:43]
	s_cbranch_vccz .LBB33_1077
; %bb.1062:
	v_mov_b32_e32 v3, 27
	v_cmp_lt_i16_sdwa s[42:43], v4, v3 src0_sel:BYTE_0 src1_sel:DWORD
	s_mov_b64 s[40:41], -1
	s_and_b64 vcc, exec, s[42:43]
	s_cbranch_vccnz .LBB33_1068
; %bb.1063:
	v_cmp_gt_i16_sdwa s[42:43], v4, v3 src0_sel:BYTE_0 src1_sel:DWORD
	v_cvt_u32_f32_e32 v3, v2
	s_and_b64 vcc, exec, s[42:43]
	s_cbranch_vccz .LBB33_1065
; %bb.1064:
	s_mov_b64 s[40:41], 0
	global_store_dword v[0:1], v3, off
.LBB33_1065:
	s_andn2_b64 vcc, exec, s[40:41]
	s_cbranch_vccnz .LBB33_1067
; %bb.1066:
	global_store_short v[0:1], v3, off
.LBB33_1067:
	s_mov_b64 s[40:41], 0
.LBB33_1068:
	s_andn2_b64 vcc, exec, s[40:41]
	s_cbranch_vccnz .LBB33_1076
; %bb.1069:
	v_and_b32_e32 v3, 0x7fffffff, v2
	s_mov_b32 s15, 0x43800000
	v_cmp_gt_u32_e32 vcc, s15, v3
	v_mov_b32_e32 v8, 0x80
	s_and_saveexec_b64 s[40:41], vcc
	s_cbranch_execz .LBB33_1075
; %bb.1070:
	s_mov_b32 s15, 0x3bffffff
	v_cmp_lt_u32_e32 vcc, s15, v3
	s_mov_b64 s[42:43], 0
                                        ; implicit-def: $vgpr3
	s_and_saveexec_b64 s[44:45], vcc
	s_xor_b64 s[44:45], exec, s[44:45]
	s_cbranch_execz .LBB33_1177
; %bb.1071:
	v_bfe_u32 v3, v2, 20, 1
	s_mov_b32 s15, 0x487ffff
	v_add3_u32 v3, v2, v3, s15
	s_mov_b64 s[42:43], exec
	v_lshrrev_b32_e32 v3, 20, v3
	s_or_saveexec_b64 s[44:45], s[44:45]
                                        ; implicit-def: $sgpr15
	s_xor_b64 exec, exec, s[44:45]
	s_cbranch_execnz .LBB33_1178
.LBB33_1072:
	s_or_b64 exec, exec, s[44:45]
	v_mov_b32_e32 v8, s15
	s_and_saveexec_b64 s[44:45], s[42:43]
.LBB33_1073:
	v_lshrrev_b32_e32 v8, 24, v2
	s_movk_i32 s15, 0x80
	v_and_or_b32 v8, v8, s15, v3
.LBB33_1074:
	s_or_b64 exec, exec, s[44:45]
.LBB33_1075:
	s_or_b64 exec, exec, s[40:41]
	global_store_byte v[0:1], v8, off
.LBB33_1076:
	s_mov_b64 s[40:41], -1
.LBB33_1077:
	s_mov_b64 s[42:43], 0
.LBB33_1078:
	s_and_b64 vcc, exec, s[42:43]
	s_cbranch_vccz .LBB33_1119
; %bb.1079:
	v_mov_b32_e32 v3, 22
	v_cmp_gt_i16_sdwa s[44:45], v4, v3 src0_sel:BYTE_0 src1_sel:DWORD
	s_mov_b64 s[42:43], -1
	s_and_b64 vcc, exec, s[44:45]
	s_cbranch_vccz .LBB33_1111
; %bb.1080:
	v_mov_b32_e32 v3, 24
	v_cmp_lt_i16_sdwa s[42:43], v4, v3 src0_sel:BYTE_0 src1_sel:DWORD
	s_mov_b64 s[40:41], -1
	s_and_b64 vcc, exec, s[42:43]
	s_cbranch_vccnz .LBB33_1100
; %bb.1081:
	v_cmp_gt_i16_sdwa s[42:43], v4, v3 src0_sel:BYTE_0 src1_sel:DWORD
	s_and_b64 vcc, exec, s[42:43]
	s_cbranch_vccz .LBB33_1089
; %bb.1082:
	v_and_b32_e32 v3, 0x7fffffff, v2
	s_mov_b32 s15, 0x47800000
	v_cmp_gt_u32_e32 vcc, s15, v3
	v_mov_b32_e32 v8, 0x80
	s_and_saveexec_b64 s[40:41], vcc
	s_cbranch_execz .LBB33_1088
; %bb.1083:
	s_mov_b32 s15, 0x37ffffff
	v_cmp_lt_u32_e32 vcc, s15, v3
	s_mov_b64 s[42:43], 0
                                        ; implicit-def: $vgpr3
	s_and_saveexec_b64 s[44:45], vcc
	s_xor_b64 s[44:45], exec, s[44:45]
	s_cbranch_execz .LBB33_2200
; %bb.1084:
	v_bfe_u32 v3, v2, 21, 1
	s_mov_b32 s15, 0x88fffff
	v_add3_u32 v3, v2, v3, s15
	s_mov_b64 s[42:43], exec
	v_lshrrev_b32_e32 v3, 21, v3
	s_or_saveexec_b64 s[44:45], s[44:45]
                                        ; implicit-def: $sgpr15
	s_xor_b64 exec, exec, s[44:45]
	s_cbranch_execnz .LBB33_2201
.LBB33_1085:
	s_or_b64 exec, exec, s[44:45]
	v_mov_b32_e32 v8, s15
	s_and_saveexec_b64 s[44:45], s[42:43]
.LBB33_1086:
	v_lshrrev_b32_e32 v8, 24, v2
	s_movk_i32 s15, 0x80
	v_and_or_b32 v8, v8, s15, v3
.LBB33_1087:
	s_or_b64 exec, exec, s[44:45]
.LBB33_1088:
	s_or_b64 exec, exec, s[40:41]
	s_mov_b64 s[40:41], 0
	global_store_byte v[0:1], v8, off
.LBB33_1089:
	s_and_b64 vcc, exec, s[40:41]
	s_cbranch_vccz .LBB33_1099
; %bb.1090:
	v_and_b32_e32 v8, 0x7fffffff, v2
	s_mov_b32 s15, 0x43f00000
	v_cmp_gt_u32_e32 vcc, s15, v8
                                        ; implicit-def: $vgpr3
	s_and_saveexec_b64 s[40:41], vcc
	s_xor_b64 s[40:41], exec, s[40:41]
	s_cbranch_execz .LBB33_1096
; %bb.1091:
	s_mov_b32 s15, 0x3c7fffff
	v_cmp_lt_u32_e32 vcc, s15, v8
                                        ; implicit-def: $vgpr3
	s_and_saveexec_b64 s[42:43], vcc
	s_xor_b64 s[42:43], exec, s[42:43]
; %bb.1092:
	v_bfe_u32 v3, v2, 20, 1
	s_mov_b32 s15, 0x407ffff
	v_add3_u32 v3, v2, v3, s15
	v_lshrrev_b32_e32 v8, 20, v3
	v_and_b32_e32 v3, 0xff00000, v3
	s_mov_b32 s15, 0x7f00000
	v_mov_b32_e32 v9, 0x7e
	v_cmp_ne_u32_e32 vcc, s15, v3
	v_cndmask_b32_e32 v3, v9, v8, vcc
; %bb.1093:
	s_andn2_saveexec_b64 s[42:43], s[42:43]
; %bb.1094:
	s_mov_b32 s15, 0x46800000
	v_add_f32_e64 v3, |v2|, s15
; %bb.1095:
	s_or_b64 exec, exec, s[42:43]
                                        ; implicit-def: $vgpr8
.LBB33_1096:
	s_andn2_saveexec_b64 s[40:41], s[40:41]
; %bb.1097:
	s_mov_b32 s15, 0x7f800000
	v_mov_b32_e32 v3, 0x7e
	v_mov_b32_e32 v9, 0x7f
	v_cmp_lt_u32_e32 vcc, s15, v8
	v_cndmask_b32_e32 v3, v3, v9, vcc
; %bb.1098:
	s_or_b64 exec, exec, s[40:41]
	v_lshrrev_b32_e32 v8, 24, v2
	s_movk_i32 s15, 0x80
	v_and_or_b32 v3, v8, s15, v3
	global_store_byte v[0:1], v3, off
.LBB33_1099:
	s_mov_b64 s[40:41], 0
.LBB33_1100:
	s_andn2_b64 vcc, exec, s[40:41]
	s_cbranch_vccnz .LBB33_1110
; %bb.1101:
	v_and_b32_e32 v8, 0x7fffffff, v2
	s_mov_b32 s15, 0x47800000
	v_cmp_gt_u32_e32 vcc, s15, v8
                                        ; implicit-def: $vgpr3
	s_and_saveexec_b64 s[40:41], vcc
	s_xor_b64 s[40:41], exec, s[40:41]
	s_cbranch_execz .LBB33_1107
; %bb.1102:
	s_mov_b32 s15, 0x387fffff
	v_cmp_lt_u32_e32 vcc, s15, v8
                                        ; implicit-def: $vgpr3
	s_and_saveexec_b64 s[42:43], vcc
	s_xor_b64 s[42:43], exec, s[42:43]
; %bb.1103:
	v_bfe_u32 v3, v2, 21, 1
	s_mov_b32 s15, 0x80fffff
	v_add3_u32 v3, v2, v3, s15
	v_lshrrev_b32_e32 v3, 21, v3
; %bb.1104:
	s_andn2_saveexec_b64 s[42:43], s[42:43]
; %bb.1105:
	s_mov_b32 s15, 0x43000000
	v_add_f32_e64 v3, |v2|, s15
; %bb.1106:
	s_or_b64 exec, exec, s[42:43]
                                        ; implicit-def: $vgpr8
.LBB33_1107:
	s_andn2_saveexec_b64 s[40:41], s[40:41]
; %bb.1108:
	s_mov_b32 s15, 0x7f800000
	v_mov_b32_e32 v3, 0x7c
	v_mov_b32_e32 v9, 0x7f
	v_cmp_lt_u32_e32 vcc, s15, v8
	v_cndmask_b32_e32 v3, v3, v9, vcc
; %bb.1109:
	s_or_b64 exec, exec, s[40:41]
	v_lshrrev_b32_e32 v8, 24, v2
	s_movk_i32 s15, 0x80
	v_and_or_b32 v3, v8, s15, v3
	global_store_byte v[0:1], v3, off
.LBB33_1110:
	s_mov_b64 s[42:43], 0
	s_mov_b64 s[40:41], -1
.LBB33_1111:
	s_andn2_b64 vcc, exec, s[42:43]
	s_cbranch_vccnz .LBB33_1119
; %bb.1112:
	v_mov_b32_e32 v3, 14
	v_cmp_gt_i16_sdwa s[44:45], v4, v3 src0_sel:BYTE_0 src1_sel:DWORD
	s_mov_b64 s[42:43], -1
	s_and_b64 vcc, exec, s[44:45]
	s_cbranch_vccz .LBB33_1116
; %bb.1113:
	v_mov_b32_e32 v3, 15
	v_cmp_eq_u16_sdwa s[42:43], v4, v3 src0_sel:BYTE_0 src1_sel:DWORD
	s_mov_b64 s[0:1], -1
	s_and_b64 vcc, exec, s[42:43]
	s_cbranch_vccz .LBB33_1115
; %bb.1114:
	v_bfe_u32 v3, v2, 16, 1
	s_movk_i32 s0, 0x7fff
	v_add3_u32 v3, v2, v3, s0
	v_lshrrev_b32_e32 v3, 16, v3
	v_mov_b32_e32 v8, 0x7fc0
	v_cmp_o_f32_e32 vcc, v2, v2
	v_cndmask_b32_e32 v3, v8, v3, vcc
	global_store_short v[0:1], v3, off
	s_mov_b64 s[40:41], -1
	s_mov_b64 s[0:1], 0
.LBB33_1115:
	s_mov_b64 s[42:43], 0
.LBB33_1116:
	s_and_b64 vcc, exec, s[42:43]
	s_cbranch_vccz .LBB33_1119
; %bb.1117:
	v_mov_b32_e32 v3, 11
	v_cmp_eq_u16_sdwa s[42:43], v4, v3 src0_sel:BYTE_0 src1_sel:DWORD
	s_mov_b64 s[0:1], -1
	s_and_b64 vcc, exec, s[42:43]
	s_cbranch_vccz .LBB33_1119
; %bb.1118:
	v_cmp_neq_f32_e32 vcc, 0, v2
	v_cndmask_b32_e64 v3, 0, 1, vcc
	s_mov_b64 s[40:41], -1
	s_mov_b64 s[0:1], 0
	global_store_byte v[0:1], v3, off
.LBB33_1119:
	s_mov_b64 s[42:43], 0
.LBB33_1120:
	s_and_b64 vcc, exec, s[42:43]
	s_cbranch_vccz .LBB33_1159
; %bb.1121:
	v_mov_b32_e32 v3, 5
	v_cmp_lt_i16_sdwa s[42:43], v4, v3 src0_sel:BYTE_0 src1_sel:DWORD
	s_mov_b64 s[40:41], -1
	s_and_b64 vcc, exec, s[42:43]
	s_cbranch_vccnz .LBB33_1142
; %bb.1122:
	v_mov_b32_e32 v3, 8
	v_cmp_lt_i16_sdwa s[42:43], v4, v3 src0_sel:BYTE_0 src1_sel:DWORD
	s_and_b64 vcc, exec, s[42:43]
	s_cbranch_vccnz .LBB33_1132
; %bb.1123:
	v_mov_b32_e32 v3, 9
	v_cmp_lt_i16_sdwa s[42:43], v4, v3 src0_sel:BYTE_0 src1_sel:DWORD
	s_and_b64 vcc, exec, s[42:43]
	s_cbranch_vccnz .LBB33_1129
; %bb.1124:
	v_cmp_gt_i16_sdwa s[42:43], v4, v3 src0_sel:BYTE_0 src1_sel:DWORD
	s_and_b64 vcc, exec, s[42:43]
	s_cbranch_vccz .LBB33_1126
; %bb.1125:
	v_mov_b32_e32 v10, 0
	v_cvt_f64_f32_e32 v[8:9], v2
	v_mov_b32_e32 v11, v10
	s_mov_b64 s[40:41], 0
	global_store_dwordx4 v[0:1], v[8:11], off
.LBB33_1126:
	s_andn2_b64 vcc, exec, s[40:41]
	s_cbranch_vccnz .LBB33_1128
; %bb.1127:
	v_mov_b32_e32 v3, 0
	global_store_dwordx2 v[0:1], v[2:3], off
.LBB33_1128:
	s_mov_b64 s[40:41], 0
.LBB33_1129:
	s_andn2_b64 vcc, exec, s[40:41]
	s_cbranch_vccnz .LBB33_1131
; %bb.1130:
	v_cvt_f16_f32_e32 v3, v2
	global_store_dword v[0:1], v3, off
.LBB33_1131:
	s_mov_b64 s[40:41], 0
.LBB33_1132:
	s_andn2_b64 vcc, exec, s[40:41]
	s_cbranch_vccnz .LBB33_1141
; %bb.1133:
	v_mov_b32_e32 v3, 6
	v_cmp_lt_i16_sdwa s[42:43], v4, v3 src0_sel:BYTE_0 src1_sel:DWORD
	s_mov_b64 s[40:41], -1
	s_and_b64 vcc, exec, s[42:43]
	s_cbranch_vccnz .LBB33_1139
; %bb.1134:
	v_cmp_gt_i16_sdwa s[42:43], v4, v3 src0_sel:BYTE_0 src1_sel:DWORD
	s_and_b64 vcc, exec, s[42:43]
	s_cbranch_vccz .LBB33_1136
; %bb.1135:
	v_cvt_f64_f32_e32 v[8:9], v2
	s_mov_b64 s[40:41], 0
	global_store_dwordx2 v[0:1], v[8:9], off
.LBB33_1136:
	s_andn2_b64 vcc, exec, s[40:41]
	s_cbranch_vccnz .LBB33_1138
; %bb.1137:
	global_store_dword v[0:1], v2, off
.LBB33_1138:
	s_mov_b64 s[40:41], 0
.LBB33_1139:
	s_andn2_b64 vcc, exec, s[40:41]
	s_cbranch_vccnz .LBB33_1141
; %bb.1140:
	v_cvt_f16_f32_e32 v3, v2
	global_store_short v[0:1], v3, off
.LBB33_1141:
	s_mov_b64 s[40:41], 0
.LBB33_1142:
	s_andn2_b64 vcc, exec, s[40:41]
	s_cbranch_vccnz .LBB33_1158
; %bb.1143:
	v_mov_b32_e32 v3, 2
	v_cmp_lt_i16_sdwa s[42:43], v4, v3 src0_sel:BYTE_0 src1_sel:DWORD
	s_mov_b64 s[40:41], -1
	s_and_b64 vcc, exec, s[42:43]
	s_cbranch_vccnz .LBB33_1153
; %bb.1144:
	v_mov_b32_e32 v3, 3
	v_cmp_lt_i16_sdwa s[42:43], v4, v3 src0_sel:BYTE_0 src1_sel:DWORD
	s_and_b64 vcc, exec, s[42:43]
	s_cbranch_vccnz .LBB33_1150
; %bb.1145:
	v_cmp_gt_i16_sdwa s[42:43], v4, v3 src0_sel:BYTE_0 src1_sel:DWORD
	s_and_b64 vcc, exec, s[42:43]
	s_cbranch_vccz .LBB33_1147
; %bb.1146:
	v_trunc_f32_e32 v3, v2
	s_mov_b32 s15, 0x2f800000
	v_mul_f32_e64 v8, |v3|, s15
	v_floor_f32_e32 v8, v8
	s_mov_b32 s15, 0xcf800000
	v_cvt_u32_f32_e32 v9, v8
	v_fma_f32 v8, v8, s15, |v3|
	v_cvt_u32_f32_e32 v8, v8
	v_ashrrev_i32_e32 v3, 31, v3
	v_xor_b32_e32 v9, v9, v3
	s_mov_b64 s[40:41], 0
	v_xor_b32_e32 v8, v8, v3
	v_sub_co_u32_e32 v8, vcc, v8, v3
	v_subb_co_u32_e32 v9, vcc, v9, v3, vcc
	global_store_dwordx2 v[0:1], v[8:9], off
.LBB33_1147:
	s_andn2_b64 vcc, exec, s[40:41]
	s_cbranch_vccnz .LBB33_1149
; %bb.1148:
	v_cvt_i32_f32_e32 v3, v2
	global_store_dword v[0:1], v3, off
.LBB33_1149:
	s_mov_b64 s[40:41], 0
.LBB33_1150:
	s_andn2_b64 vcc, exec, s[40:41]
	s_cbranch_vccnz .LBB33_1152
; %bb.1151:
	v_cvt_i32_f32_e32 v3, v2
	global_store_short v[0:1], v3, off
.LBB33_1152:
	s_mov_b64 s[40:41], 0
.LBB33_1153:
	s_andn2_b64 vcc, exec, s[40:41]
	s_cbranch_vccnz .LBB33_1158
; %bb.1154:
	v_mov_b32_e32 v3, 0
	v_cmp_gt_i16_sdwa s[42:43], v4, v3 src0_sel:BYTE_0 src1_sel:DWORD
	s_mov_b64 s[40:41], -1
	s_and_b64 vcc, exec, s[42:43]
	s_cbranch_vccz .LBB33_1156
; %bb.1155:
	v_cvt_i32_f32_e32 v3, v2
	s_mov_b64 s[40:41], 0
	global_store_byte v[0:1], v3, off
.LBB33_1156:
	s_andn2_b64 vcc, exec, s[40:41]
	s_cbranch_vccnz .LBB33_1158
; %bb.1157:
	v_trunc_f32_e32 v2, v2
	s_mov_b32 s15, 0x2f800000
	v_mul_f32_e64 v3, |v2|, s15
	v_floor_f32_e32 v3, v3
	s_mov_b32 s15, 0xcf800000
	v_fma_f32 v3, v3, s15, |v2|
	v_cvt_u32_f32_e32 v3, v3
	v_ashrrev_i32_e32 v2, 31, v2
	v_xor_b32_e32 v3, v3, v2
	v_sub_u32_e32 v2, v3, v2
	global_store_byte v[0:1], v2, off
.LBB33_1158:
	s_mov_b64 s[40:41], -1
.LBB33_1159:
	s_andn2_b64 vcc, exec, s[40:41]
	s_cbranch_vccnz .LBB33_1172
; %bb.1160:
	v_add_u32_e32 v5, 0x80, v5
	s_mov_b64 s[42:43], -1
.LBB33_1161:
	s_andn2_b64 s[40:41], s[28:29], exec
	s_and_b64 s[0:1], s[0:1], exec
	s_or_b64 s[40:41], s[40:41], s[0:1]
	s_andn2_b64 s[0:1], s[26:27], exec
	s_and_b64 s[38:39], s[38:39], exec
	s_or_b64 s[38:39], s[0:1], s[38:39]
	s_andn2_b64 s[0:1], s[24:25], exec
	s_and_b64 s[36:37], s[36:37], exec
	s_or_b64 s[0:1], s[0:1], s[36:37]
	s_orn2_b64 s[46:47], s[42:43], exec
.LBB33_1162:
	s_or_b64 exec, exec, s[34:35]
	s_mov_b64 s[42:43], 0
	s_mov_b64 s[36:37], 0
	;; [unrolled: 1-line block ×3, first 2 shown]
                                        ; implicit-def: $vgpr2
                                        ; implicit-def: $vgpr0_vgpr1
                                        ; implicit-def: $vgpr3
	s_and_saveexec_b64 s[34:35], s[46:47]
	s_cbranch_execz .LBB33_1246
; %bb.1163:
	v_cmp_gt_i32_e32 vcc, s33, v5
	s_mov_b64 s[46:47], 0
	s_mov_b64 s[48:49], s[0:1]
	;; [unrolled: 1-line block ×4, first 2 shown]
                                        ; implicit-def: $vgpr2
                                        ; implicit-def: $vgpr0_vgpr1
                                        ; implicit-def: $vgpr3
	s_and_saveexec_b64 s[36:37], vcc
	s_cbranch_execz .LBB33_1245
; %bb.1164:
	v_mul_lo_u32 v0, v5, s13
	v_ashrrev_i32_e32 v1, 31, v0
	s_waitcnt vmcnt(0)
	v_mov_b32_e32 v2, s11
	v_add_co_u32_e32 v0, vcc, s10, v0
	v_addc_co_u32_e32 v1, vcc, v2, v1, vcc
	v_and_b32_e32 v2, 0xff, v7
	v_cmp_gt_i16_e32 vcc, 11, v2
	s_cbranch_vccnz .LBB33_1171
; %bb.1165:
	v_cmp_lt_i16_e32 vcc, 25, v2
	s_cbranch_vccz .LBB33_1173
; %bb.1166:
	v_cmp_lt_i16_e32 vcc, 28, v2
	s_cbranch_vccz .LBB33_1174
	;; [unrolled: 3-line block ×4, first 2 shown]
; %bb.1169:
	v_cmp_eq_u16_e32 vcc, 46, v2
	s_mov_b64 s[48:49], 0
	s_cbranch_vccz .LBB33_1179
; %bb.1170:
	global_load_dword v3, v[0:1], off
	s_mov_b64 s[46:47], -1
	s_waitcnt vmcnt(0)
	v_lshlrev_b32_e32 v3, 16, v3
	s_branch .LBB33_1181
.LBB33_1171:
	s_mov_b64 s[48:49], -1
                                        ; implicit-def: $vgpr3
	s_mov_b64 s[42:43], s[0:1]
	s_branch .LBB33_1244
.LBB33_1172:
	s_mov_b64 s[42:43], 0
	s_branch .LBB33_914
.LBB33_1173:
	s_mov_b64 s[48:49], -1
	s_mov_b64 s[42:43], s[0:1]
                                        ; implicit-def: $vgpr3
	s_branch .LBB33_1210
.LBB33_1174:
	s_mov_b64 s[48:49], -1
	s_mov_b64 s[42:43], s[0:1]
                                        ; implicit-def: $vgpr3
	s_branch .LBB33_1191
.LBB33_1175:
	s_mov_b64 s[48:49], -1
	s_mov_b64 s[42:43], s[0:1]
                                        ; implicit-def: $vgpr3
	s_branch .LBB33_1186
.LBB33_1176:
	s_mov_b64 s[48:49], -1
	s_mov_b64 s[42:43], s[0:1]
	s_branch .LBB33_1180
.LBB33_1177:
	s_or_saveexec_b64 s[44:45], s[44:45]
                                        ; implicit-def: $sgpr15
	s_xor_b64 exec, exec, s[44:45]
	s_cbranch_execz .LBB33_1072
.LBB33_1178:
	s_mov_b32 s15, 0x46000000
	v_add_f32_e64 v3, |v2|, s15
	v_and_b32_e32 v3, 0xff, v3
	v_cmp_ne_u32_e32 vcc, 0, v3
	s_andn2_b64 s[42:43], s[42:43], exec
	s_and_b64 s[46:47], vcc, exec
	s_mov_b32 s15, 0
	s_or_b64 s[42:43], s[42:43], s[46:47]
	s_or_b64 exec, exec, s[44:45]
	v_mov_b32_e32 v8, s15
	s_and_saveexec_b64 s[44:45], s[42:43]
	s_cbranch_execnz .LBB33_1073
	s_branch .LBB33_1074
.LBB33_1179:
	s_mov_b64 s[42:43], -1
.LBB33_1180:
                                        ; implicit-def: $vgpr3
.LBB33_1181:
	s_and_b64 vcc, exec, s[48:49]
	s_cbranch_vccz .LBB33_1185
; %bb.1182:
	v_cmp_eq_u16_e32 vcc, 44, v2
	s_cbranch_vccz .LBB33_1184
; %bb.1183:
	global_load_ubyte v3, v[0:1], off
	s_movk_i32 s15, 0xff
	v_mov_b32_e32 v7, 0x7f800001
	v_mov_b32_e32 v8, 0x400000
	s_mov_b64 s[42:43], 0
	s_mov_b64 s[46:47], -1
	s_waitcnt vmcnt(0)
	v_lshlrev_b32_e32 v9, 23, v3
	v_cmp_ne_u32_e32 vcc, s15, v3
	v_cndmask_b32_e32 v7, v7, v9, vcc
	v_cmp_ne_u32_e32 vcc, 0, v3
	v_cndmask_b32_e32 v3, v8, v7, vcc
	s_branch .LBB33_1185
.LBB33_1184:
	s_mov_b64 s[42:43], -1
                                        ; implicit-def: $vgpr3
.LBB33_1185:
	s_mov_b64 s[48:49], 0
.LBB33_1186:
	s_and_b64 vcc, exec, s[48:49]
	s_cbranch_vccz .LBB33_1190
; %bb.1187:
	v_cmp_eq_u16_e32 vcc, 29, v2
	s_cbranch_vccz .LBB33_1189
; %bb.1188:
	global_load_dwordx2 v[8:9], v[0:1], off
	s_mov_b64 s[42:43], 0
	s_mov_b64 s[46:47], -1
	s_mov_b64 s[48:49], 0
	s_waitcnt vmcnt(0)
	v_ffbh_u32_e32 v3, v9
	v_min_u32_e32 v3, 32, v3
	v_lshlrev_b64 v[8:9], v3, v[8:9]
	v_min_u32_e32 v7, 1, v8
	v_or_b32_e32 v7, v9, v7
	v_cvt_f32_u32_e32 v7, v7
	v_sub_u32_e32 v3, 32, v3
	v_ldexp_f32 v3, v7, v3
	s_branch .LBB33_1191
.LBB33_1189:
	s_mov_b64 s[42:43], -1
                                        ; implicit-def: $vgpr3
.LBB33_1190:
	s_mov_b64 s[48:49], 0
.LBB33_1191:
	s_and_b64 vcc, exec, s[48:49]
	s_cbranch_vccz .LBB33_1209
; %bb.1192:
	v_cmp_gt_i16_e32 vcc, 27, v2
	s_cbranch_vccnz .LBB33_1195
; %bb.1193:
	v_cmp_lt_i16_e32 vcc, 27, v2
	s_cbranch_vccz .LBB33_1196
; %bb.1194:
	global_load_dword v3, v[0:1], off
	s_mov_b64 s[46:47], 0
	s_waitcnt vmcnt(0)
	v_cvt_f32_u32_e32 v3, v3
	s_branch .LBB33_1197
.LBB33_1195:
	s_mov_b64 s[46:47], -1
                                        ; implicit-def: $vgpr3
	s_branch .LBB33_1200
.LBB33_1196:
	s_mov_b64 s[46:47], -1
                                        ; implicit-def: $vgpr3
.LBB33_1197:
	s_andn2_b64 vcc, exec, s[46:47]
	s_cbranch_vccnz .LBB33_1199
; %bb.1198:
	global_load_ushort v3, v[0:1], off
	s_waitcnt vmcnt(0)
	v_cvt_f32_u32_e32 v3, v3
.LBB33_1199:
	s_mov_b64 s[46:47], 0
.LBB33_1200:
	s_andn2_b64 vcc, exec, s[46:47]
	s_cbranch_vccnz .LBB33_1208
; %bb.1201:
	global_load_ubyte v7, v[0:1], off
	s_movk_i32 s15, 0x7f
	s_mov_b64 s[46:47], 0
	s_waitcnt vmcnt(0)
	v_cmp_lt_i16_e32 vcc, s15, v7
                                        ; implicit-def: $sgpr15
	s_and_saveexec_b64 s[48:49], vcc
	s_xor_b64 s[48:49], exec, s[48:49]
	s_cbranch_execz .LBB33_1222
; %bb.1202:
	s_movk_i32 s15, 0x80
	v_cmp_eq_u16_e32 vcc, s15, v7
	s_mov_b64 s[46:47], -1
                                        ; implicit-def: $sgpr15
	s_and_saveexec_b64 s[50:51], vcc
; %bb.1203:
	s_mov_b32 s15, 0x7f800001
	s_xor_b64 s[46:47], exec, -1
; %bb.1204:
	s_or_b64 exec, exec, s[50:51]
	s_and_b64 s[46:47], s[46:47], exec
	s_or_saveexec_b64 s[48:49], s[48:49]
	v_mov_b32_e32 v3, s15
	s_xor_b64 exec, exec, s[48:49]
	s_cbranch_execnz .LBB33_1223
.LBB33_1205:
	s_or_b64 exec, exec, s[48:49]
	s_and_saveexec_b64 s[48:49], s[46:47]
	s_cbranch_execz .LBB33_1207
.LBB33_1206:
	v_lshlrev_b32_e32 v3, 24, v7
	v_and_b32_e32 v7, 0xffff, v7
	v_and_b32_e32 v8, 7, v7
	v_ffbh_u32_e32 v10, v8
	v_min_u32_e32 v10, 32, v10
	v_subrev_u32_e32 v11, 28, v10
	v_bfe_u32 v9, v7, 3, 4
	v_lshlrev_b32_e32 v7, v11, v7
	v_sub_u32_e32 v10, 29, v10
	v_and_b32_e32 v7, 7, v7
	v_cmp_eq_u32_e32 vcc, 0, v9
	v_cndmask_b32_e32 v9, v9, v10, vcc
	v_cndmask_b32_e32 v7, v8, v7, vcc
	v_mov_b32_e32 v8, 0x3b800000
	v_lshlrev_b32_e32 v7, 20, v7
	v_and_b32_e32 v3, 0x80000000, v3
	v_lshl_add_u32 v8, v9, 23, v8
	v_or3_b32 v3, v3, v8, v7
.LBB33_1207:
	s_or_b64 exec, exec, s[48:49]
.LBB33_1208:
	s_mov_b64 s[46:47], -1
.LBB33_1209:
	s_mov_b64 s[48:49], 0
.LBB33_1210:
	s_and_b64 vcc, exec, s[48:49]
	s_cbranch_vccz .LBB33_1243
; %bb.1211:
	v_cmp_lt_i16_e32 vcc, 22, v2
	s_cbranch_vccz .LBB33_1221
; %bb.1212:
	v_cmp_gt_i16_e32 vcc, 24, v2
	s_cbranch_vccnz .LBB33_1224
; %bb.1213:
	v_cmp_lt_i16_e32 vcc, 24, v2
	s_cbranch_vccz .LBB33_1225
; %bb.1214:
	global_load_ubyte v7, v[0:1], off
	s_movk_i32 s15, 0x7f
	s_waitcnt vmcnt(0)
	v_cmp_lt_i16_e32 vcc, s15, v7
                                        ; implicit-def: $sgpr15
	s_and_saveexec_b64 s[46:47], vcc
	s_xor_b64 s[46:47], exec, s[46:47]
	s_cbranch_execz .LBB33_1237
; %bb.1215:
	s_movk_i32 s15, 0x80
	v_cmp_eq_u16_e32 vcc, s15, v7
	s_mov_b64 s[44:45], -1
                                        ; implicit-def: $sgpr15
	s_and_saveexec_b64 s[48:49], vcc
; %bb.1216:
	s_mov_b32 s15, 0x7f800001
	s_xor_b64 s[44:45], exec, -1
; %bb.1217:
	s_or_b64 exec, exec, s[48:49]
	s_and_b64 s[44:45], s[44:45], exec
	s_or_saveexec_b64 s[46:47], s[46:47]
	v_mov_b32_e32 v3, s15
	s_xor_b64 exec, exec, s[46:47]
	s_cbranch_execnz .LBB33_1238
.LBB33_1218:
	s_or_b64 exec, exec, s[46:47]
	s_and_saveexec_b64 s[46:47], s[44:45]
	s_cbranch_execz .LBB33_1220
.LBB33_1219:
	v_lshlrev_b32_e32 v3, 24, v7
	v_and_b32_e32 v7, 0xffff, v7
	v_and_b32_e32 v8, 3, v7
	v_ffbh_u32_e32 v10, v8
	v_min_u32_e32 v10, 32, v10
	v_subrev_u32_e32 v11, 29, v10
	v_bfe_u32 v9, v7, 2, 5
	v_lshlrev_b32_e32 v7, v11, v7
	v_sub_u32_e32 v10, 30, v10
	v_and_b32_e32 v7, 3, v7
	v_cmp_eq_u32_e32 vcc, 0, v9
	v_cndmask_b32_e32 v9, v9, v10, vcc
	v_cndmask_b32_e32 v7, v8, v7, vcc
	v_mov_b32_e32 v8, 0x37800000
	v_lshlrev_b32_e32 v7, 21, v7
	v_and_b32_e32 v3, 0x80000000, v3
	v_lshl_add_u32 v8, v9, 23, v8
	v_or3_b32 v3, v3, v8, v7
.LBB33_1220:
	s_or_b64 exec, exec, s[46:47]
	s_mov_b64 s[44:45], 0
	s_branch .LBB33_1226
.LBB33_1221:
	s_mov_b64 s[44:45], -1
                                        ; implicit-def: $vgpr3
	s_branch .LBB33_1232
.LBB33_1222:
	s_or_saveexec_b64 s[48:49], s[48:49]
	v_mov_b32_e32 v3, s15
	s_xor_b64 exec, exec, s[48:49]
	s_cbranch_execz .LBB33_1205
.LBB33_1223:
	v_cmp_ne_u16_e32 vcc, 0, v7
	s_andn2_b64 s[46:47], s[46:47], exec
	s_and_b64 s[50:51], vcc, exec
	v_mov_b32_e32 v3, 0
	s_or_b64 s[46:47], s[46:47], s[50:51]
	s_or_b64 exec, exec, s[48:49]
	s_and_saveexec_b64 s[48:49], s[46:47]
	s_cbranch_execnz .LBB33_1206
	s_branch .LBB33_1207
.LBB33_1224:
	s_mov_b64 s[44:45], -1
                                        ; implicit-def: $vgpr3
	s_branch .LBB33_1229
.LBB33_1225:
	s_mov_b64 s[44:45], -1
                                        ; implicit-def: $vgpr3
.LBB33_1226:
	s_and_b64 vcc, exec, s[44:45]
	s_cbranch_vccz .LBB33_1228
; %bb.1227:
	global_load_ubyte v3, v[0:1], off
	s_mov_b32 s15, 0x7f800000
	s_waitcnt vmcnt(0)
	v_lshlrev_b32_e32 v3, 24, v3
	v_and_b32_e32 v7, 0x7f000000, v3
	v_ffbh_u32_e32 v8, v7
	v_min_u32_e32 v8, 32, v8
	v_sub_u32_e64 v8, v8, 4 clamp
	v_lshlrev_b32_e32 v10, v8, v7
	v_lshlrev_b32_e32 v8, 23, v8
	v_lshrrev_b32_e32 v10, 4, v10
	v_add_u32_e32 v9, 0x1000000, v7
	v_sub_u32_e32 v8, v10, v8
	v_ashrrev_i32_e32 v9, 8, v9
	v_add_u32_e32 v8, 0x3c000000, v8
	v_and_or_b32 v8, v9, s15, v8
	v_cmp_ne_u32_e32 vcc, 0, v7
	v_cndmask_b32_e32 v7, 0, v8, vcc
	s_brev_b32 s15, 1
	v_and_or_b32 v3, v3, s15, v7
.LBB33_1228:
	s_mov_b64 s[44:45], 0
.LBB33_1229:
	s_andn2_b64 vcc, exec, s[44:45]
	s_cbranch_vccnz .LBB33_1231
; %bb.1230:
	global_load_ubyte v3, v[0:1], off
	s_movk_i32 s15, 0x7f00
	s_brev_b32 s33, 16
	s_waitcnt vmcnt(0)
	v_lshlrev_b16_e32 v7, 8, v3
	v_lshlrev_b32_e32 v3, 25, v3
	v_lshrrev_b32_e32 v8, 4, v3
	v_and_or_b32 v9, v7, s15, 0.5
	v_or_b32_e32 v8, 0x70000000, v8
	v_add_f32_e32 v9, -0.5, v9
	v_mul_f32_e32 v8, 0x7800000, v8
	v_cmp_gt_u32_e32 vcc, s33, v3
	v_bfe_i32 v7, v7, 0, 16
	v_cndmask_b32_e32 v3, v8, v9, vcc
	s_brev_b32 s15, 1
	v_and_or_b32 v3, v7, s15, v3
.LBB33_1231:
	s_mov_b64 s[44:45], 0
	s_mov_b64 s[46:47], -1
.LBB33_1232:
	s_andn2_b64 vcc, exec, s[44:45]
	s_mov_b64 s[44:45], 0
	s_cbranch_vccnz .LBB33_1243
; %bb.1233:
	v_cmp_lt_i16_e32 vcc, 14, v2
	s_cbranch_vccz .LBB33_1236
; %bb.1234:
	v_cmp_eq_u16_e32 vcc, 15, v2
	s_cbranch_vccz .LBB33_1239
; %bb.1235:
	global_load_ushort v3, v[0:1], off
	s_mov_b64 s[42:43], 0
	s_mov_b64 s[46:47], -1
	s_waitcnt vmcnt(0)
	v_lshlrev_b32_e32 v3, 16, v3
	s_branch .LBB33_1240
.LBB33_1236:
	s_mov_b64 s[48:49], -1
                                        ; implicit-def: $vgpr3
	s_branch .LBB33_1241
.LBB33_1237:
	s_or_saveexec_b64 s[46:47], s[46:47]
	v_mov_b32_e32 v3, s15
	s_xor_b64 exec, exec, s[46:47]
	s_cbranch_execz .LBB33_1218
.LBB33_1238:
	v_cmp_ne_u16_e32 vcc, 0, v7
	s_andn2_b64 s[44:45], s[44:45], exec
	s_and_b64 s[48:49], vcc, exec
	v_mov_b32_e32 v3, 0
	s_or_b64 s[44:45], s[44:45], s[48:49]
	s_or_b64 exec, exec, s[46:47]
	s_and_saveexec_b64 s[46:47], s[44:45]
	s_cbranch_execnz .LBB33_1219
	s_branch .LBB33_1220
.LBB33_1239:
	s_mov_b64 s[42:43], -1
                                        ; implicit-def: $vgpr3
.LBB33_1240:
	s_mov_b64 s[48:49], 0
.LBB33_1241:
	s_and_b64 vcc, exec, s[48:49]
	s_cbranch_vccz .LBB33_1243
; %bb.1242:
	v_cmp_ne_u16_e32 vcc, 11, v2
	s_andn2_b64 s[42:43], s[42:43], exec
	s_and_b64 s[48:49], vcc, exec
	s_mov_b64 s[44:45], -1
	s_or_b64 s[42:43], s[42:43], s[48:49]
                                        ; implicit-def: $vgpr3
.LBB33_1243:
	s_mov_b64 s[48:49], 0
.LBB33_1244:
	s_and_b64 s[52:53], s[46:47], exec
	s_and_b64 s[46:47], s[44:45], exec
	s_andn2_b64 s[44:45], s[0:1], exec
	s_and_b64 s[42:43], s[42:43], exec
	s_and_b64 s[50:51], s[48:49], exec
	s_or_b64 s[48:49], s[44:45], s[42:43]
.LBB33_1245:
	s_or_b64 exec, exec, s[36:37]
	s_and_b64 s[42:43], s[46:47], exec
	s_andn2_b64 s[0:1], s[0:1], exec
	s_and_b64 s[46:47], s[48:49], exec
	s_and_b64 s[44:45], s[52:53], exec
	s_and_b64 s[36:37], s[50:51], exec
	s_or_b64 s[0:1], s[0:1], s[46:47]
.LBB33_1246:
	s_or_b64 exec, exec, s[34:35]
	s_andn2_b64 s[28:29], s[28:29], exec
	s_and_b64 s[34:35], s[40:41], exec
	s_or_b64 s[28:29], s[28:29], s[34:35]
	s_andn2_b64 s[26:27], s[26:27], exec
	s_and_b64 s[34:35], s[38:39], exec
	s_andn2_b64 s[24:25], s[24:25], exec
	s_and_b64 s[0:1], s[0:1], exec
	s_or_b64 s[26:27], s[26:27], s[34:35]
	s_and_b64 s[38:39], s[44:45], exec
	s_and_b64 s[36:37], s[36:37], exec
	;; [unrolled: 1-line block ×3, first 2 shown]
	s_or_b64 s[24:25], s[24:25], s[0:1]
.LBB33_1247:
	s_or_b64 exec, exec, s[30:31]
	s_andn2_b64 s[0:1], s[6:7], exec
	s_and_b64 s[6:7], s[28:29], exec
	s_or_b64 s[6:7], s[0:1], s[6:7]
	s_andn2_b64 s[0:1], s[18:19], exec
	s_and_b64 s[18:19], s[26:27], exec
	s_or_b64 s[18:19], s[0:1], s[18:19]
	s_andn2_b64 s[0:1], s[20:21], exec
	s_and_b64 s[20:21], s[24:25], exec
	s_and_b64 s[28:29], s[38:39], exec
	;; [unrolled: 1-line block ×4, first 2 shown]
	s_or_b64 s[20:21], s[0:1], s[20:21]
	s_or_b64 exec, exec, s[22:23]
	s_mov_b64 s[22:23], 0
	s_and_saveexec_b64 s[0:1], s[20:21]
	s_cbranch_execz .LBB33_393
.LBB33_1248:
	s_mov_b64 s[22:23], exec
	s_andn2_b64 s[26:27], s[26:27], exec
	s_trap 2
                                        ; implicit-def: $vgpr3
	s_or_b64 exec, exec, s[0:1]
	s_and_saveexec_b64 s[0:1], s[26:27]
	s_xor_b64 s[0:1], exec, s[0:1]
	s_cbranch_execnz .LBB33_394
.LBB33_1249:
	s_or_b64 exec, exec, s[0:1]
	s_and_saveexec_b64 s[0:1], s[30:31]
	s_cbranch_execz .LBB33_1295
.LBB33_1250:
	s_waitcnt vmcnt(0)
	v_cmp_gt_i16_e32 vcc, 5, v2
	s_cbranch_vccnz .LBB33_1255
; %bb.1251:
	v_cmp_gt_i16_e32 vcc, 8, v2
	s_cbranch_vccnz .LBB33_1256
; %bb.1252:
	;; [unrolled: 3-line block ×3, first 2 shown]
	v_cmp_lt_i16_e32 vcc, 9, v2
	s_cbranch_vccz .LBB33_1258
; %bb.1254:
	global_load_dwordx2 v[8:9], v[0:1], off
	s_mov_b64 s[20:21], 0
	s_waitcnt vmcnt(0)
	v_cvt_f32_f64_e32 v3, v[8:9]
	s_branch .LBB33_1259
.LBB33_1255:
                                        ; implicit-def: $vgpr3
	s_branch .LBB33_1276
.LBB33_1256:
                                        ; implicit-def: $vgpr3
	s_branch .LBB33_1265
.LBB33_1257:
	s_mov_b64 s[20:21], -1
                                        ; implicit-def: $vgpr3
	s_branch .LBB33_1262
.LBB33_1258:
	s_mov_b64 s[20:21], -1
                                        ; implicit-def: $vgpr3
.LBB33_1259:
	s_andn2_b64 vcc, exec, s[20:21]
	s_cbranch_vccnz .LBB33_1261
; %bb.1260:
	global_load_dword v3, v[0:1], off
.LBB33_1261:
	s_mov_b64 s[20:21], 0
.LBB33_1262:
	s_andn2_b64 vcc, exec, s[20:21]
	s_cbranch_vccnz .LBB33_1264
; %bb.1263:
	global_load_dword v3, v[0:1], off
	s_waitcnt vmcnt(0)
	v_cvt_f32_f16_e32 v3, v3
.LBB33_1264:
	s_cbranch_execnz .LBB33_1275
.LBB33_1265:
	v_cmp_gt_i16_e32 vcc, 6, v2
	s_cbranch_vccnz .LBB33_1268
; %bb.1266:
	v_cmp_lt_i16_e32 vcc, 6, v2
	s_cbranch_vccz .LBB33_1269
; %bb.1267:
	global_load_dwordx2 v[8:9], v[0:1], off
	s_mov_b64 s[20:21], 0
	s_waitcnt vmcnt(0)
	v_cvt_f32_f64_e32 v3, v[8:9]
	s_branch .LBB33_1270
.LBB33_1268:
	s_mov_b64 s[20:21], -1
                                        ; implicit-def: $vgpr3
	s_branch .LBB33_1273
.LBB33_1269:
	s_mov_b64 s[20:21], -1
                                        ; implicit-def: $vgpr3
.LBB33_1270:
	s_andn2_b64 vcc, exec, s[20:21]
	s_cbranch_vccnz .LBB33_1272
; %bb.1271:
	global_load_dword v3, v[0:1], off
.LBB33_1272:
	s_mov_b64 s[20:21], 0
.LBB33_1273:
	s_andn2_b64 vcc, exec, s[20:21]
	s_cbranch_vccnz .LBB33_1275
; %bb.1274:
	global_load_ushort v3, v[0:1], off
	s_waitcnt vmcnt(0)
	v_cvt_f32_f16_e32 v3, v3
.LBB33_1275:
	s_cbranch_execnz .LBB33_1294
.LBB33_1276:
	v_cmp_gt_i16_e32 vcc, 2, v2
	s_cbranch_vccnz .LBB33_1280
; %bb.1277:
	v_cmp_gt_i16_e32 vcc, 3, v2
	s_cbranch_vccnz .LBB33_1281
; %bb.1278:
	v_cmp_lt_i16_e32 vcc, 3, v2
	s_cbranch_vccz .LBB33_1282
; %bb.1279:
	global_load_dwordx2 v[8:9], v[0:1], off
	s_mov_b64 s[20:21], 0
	s_waitcnt vmcnt(0)
	v_xor_b32_e32 v7, v8, v9
	v_ffbh_i32_e32 v3, v9
	v_ashrrev_i32_e32 v7, 31, v7
	v_add_u32_e32 v3, -1, v3
	v_add_u32_e32 v7, 32, v7
	v_min_u32_e32 v3, v3, v7
	v_lshlrev_b64 v[8:9], v3, v[8:9]
	v_min_u32_e32 v7, 1, v8
	v_or_b32_e32 v7, v9, v7
	v_cvt_f32_i32_e32 v7, v7
	v_sub_u32_e32 v3, 32, v3
	v_ldexp_f32 v3, v7, v3
	s_branch .LBB33_1283
.LBB33_1280:
                                        ; implicit-def: $vgpr3
	s_branch .LBB33_1289
.LBB33_1281:
	s_mov_b64 s[20:21], -1
                                        ; implicit-def: $vgpr3
	s_branch .LBB33_1286
.LBB33_1282:
	s_mov_b64 s[20:21], -1
                                        ; implicit-def: $vgpr3
.LBB33_1283:
	s_andn2_b64 vcc, exec, s[20:21]
	s_cbranch_vccnz .LBB33_1285
; %bb.1284:
	global_load_dword v3, v[0:1], off
	s_waitcnt vmcnt(0)
	v_cvt_f32_i32_e32 v3, v3
.LBB33_1285:
	s_mov_b64 s[20:21], 0
.LBB33_1286:
	s_andn2_b64 vcc, exec, s[20:21]
	s_cbranch_vccnz .LBB33_1288
; %bb.1287:
	global_load_sshort v3, v[0:1], off
	s_waitcnt vmcnt(0)
	v_cvt_f32_i32_e32 v3, v3
.LBB33_1288:
	s_cbranch_execnz .LBB33_1294
.LBB33_1289:
	v_cmp_lt_i16_e32 vcc, 0, v2
	s_cbranch_vccz .LBB33_1291
; %bb.1290:
	global_load_sbyte v2, v[0:1], off
	s_mov_b64 s[20:21], 0
	s_waitcnt vmcnt(0)
	v_cvt_f32_i32_e32 v3, v2
	s_branch .LBB33_1292
.LBB33_1291:
	s_mov_b64 s[20:21], -1
                                        ; implicit-def: $vgpr3
.LBB33_1292:
	s_andn2_b64 vcc, exec, s[20:21]
	s_cbranch_vccnz .LBB33_1294
; %bb.1293:
	global_load_ubyte v0, v[0:1], off
	s_waitcnt vmcnt(0)
	v_cvt_f32_ubyte0_e32 v3, v0
.LBB33_1294:
	s_or_b64 s[28:29], s[28:29], exec
.LBB33_1295:
	s_or_b64 exec, exec, s[0:1]
	s_mov_b64 s[24:25], 0
	s_mov_b64 s[30:31], 0
	;; [unrolled: 1-line block ×3, first 2 shown]
                                        ; implicit-def: $vgpr2
                                        ; implicit-def: $vgpr0_vgpr1
                                        ; implicit-def: $vgpr7
	s_and_saveexec_b64 s[0:1], s[28:29]
	s_cbranch_execz .LBB33_1303
; %bb.1296:
	v_mul_lo_u32 v0, v5, s14
	v_ashrrev_i32_e32 v1, 31, v0
	s_waitcnt vmcnt(0)
	v_mov_b32_e32 v2, s3
	v_add_co_u32_e32 v0, vcc, s2, v0
	v_addc_co_u32_e32 v1, vcc, v2, v1, vcc
	v_and_b32_e32 v2, 0xff, v6
	v_cmp_gt_i16_e32 vcc, 11, v2
	s_cbranch_vccnz .LBB33_1306
; %bb.1297:
	v_cmp_lt_i16_e32 vcc, 25, v2
	s_cbranch_vccz .LBB33_1307
; %bb.1298:
	v_cmp_lt_i16_e32 vcc, 28, v2
	s_cbranch_vccz .LBB33_1308
	;; [unrolled: 3-line block ×4, first 2 shown]
; %bb.1301:
	v_cmp_eq_u16_e32 vcc, 46, v2
	s_mov_b64 s[28:29], 0
	s_cbranch_vccz .LBB33_1311
; %bb.1302:
	global_load_dword v6, v[0:1], off
	s_mov_b64 s[20:21], 0
	s_mov_b64 s[26:27], -1
	s_waitcnt vmcnt(0)
	v_lshlrev_b32_e32 v7, 16, v6
	s_branch .LBB33_1313
.LBB33_1303:
	s_or_b64 exec, exec, s[0:1]
	s_and_saveexec_b64 s[0:1], s[18:19]
	s_cbranch_execnz .LBB33_1376
.LBB33_1304:
	s_or_b64 exec, exec, s[0:1]
	s_and_saveexec_b64 s[0:1], s[24:25]
	s_xor_b64 s[0:1], exec, s[0:1]
	s_cbranch_execz .LBB33_1377
.LBB33_1305:
	global_load_ubyte v6, v[0:1], off
	s_or_b64 s[26:27], s[26:27], exec
	s_waitcnt vmcnt(0)
	v_cmp_ne_u16_e32 vcc, 0, v6
	v_cndmask_b32_e64 v7, 0, 1.0, vcc
	s_or_b64 exec, exec, s[0:1]
	s_and_saveexec_b64 s[0:1], s[30:31]
	s_cbranch_execz .LBB33_1423
	s_branch .LBB33_1378
.LBB33_1306:
	s_mov_b64 s[28:29], -1
                                        ; implicit-def: $vgpr7
	s_mov_b64 s[20:21], s[18:19]
	s_branch .LBB33_1375
.LBB33_1307:
	s_mov_b64 s[20:21], s[18:19]
                                        ; implicit-def: $vgpr7
	s_cbranch_execnz .LBB33_1342
	s_branch .LBB33_1374
.LBB33_1308:
	s_mov_b64 s[28:29], -1
	s_mov_b64 s[20:21], s[18:19]
                                        ; implicit-def: $vgpr7
	s_branch .LBB33_1323
.LBB33_1309:
	s_mov_b64 s[28:29], -1
	s_mov_b64 s[20:21], s[18:19]
                                        ; implicit-def: $vgpr7
	s_branch .LBB33_1318
.LBB33_1310:
	s_mov_b64 s[28:29], -1
	s_mov_b64 s[20:21], s[18:19]
	s_branch .LBB33_1312
.LBB33_1311:
	s_mov_b64 s[20:21], -1
.LBB33_1312:
                                        ; implicit-def: $vgpr7
.LBB33_1313:
	s_and_b64 vcc, exec, s[28:29]
	s_cbranch_vccz .LBB33_1317
; %bb.1314:
	v_cmp_eq_u16_e32 vcc, 44, v2
	s_cbranch_vccz .LBB33_1316
; %bb.1315:
	global_load_ubyte v6, v[0:1], off
	s_movk_i32 s15, 0xff
	v_mov_b32_e32 v7, 0x7f800001
	v_mov_b32_e32 v8, 0x400000
	s_mov_b64 s[20:21], 0
	s_mov_b64 s[26:27], -1
	s_waitcnt vmcnt(0)
	v_lshlrev_b32_e32 v9, 23, v6
	v_cmp_ne_u32_e32 vcc, s15, v6
	v_cndmask_b32_e32 v7, v7, v9, vcc
	v_cmp_ne_u32_e32 vcc, 0, v6
	v_cndmask_b32_e32 v7, v8, v7, vcc
	s_branch .LBB33_1317
.LBB33_1316:
	s_mov_b64 s[20:21], -1
                                        ; implicit-def: $vgpr7
.LBB33_1317:
	s_mov_b64 s[28:29], 0
.LBB33_1318:
	s_and_b64 vcc, exec, s[28:29]
	s_cbranch_vccz .LBB33_1322
; %bb.1319:
	v_cmp_eq_u16_e32 vcc, 29, v2
	s_cbranch_vccz .LBB33_1321
; %bb.1320:
	global_load_dwordx2 v[6:7], v[0:1], off
	s_mov_b64 s[20:21], 0
	s_mov_b64 s[26:27], -1
	s_mov_b64 s[28:29], 0
	s_waitcnt vmcnt(0)
	v_ffbh_u32_e32 v8, v7
	v_min_u32_e32 v8, 32, v8
	v_lshlrev_b64 v[6:7], v8, v[6:7]
	v_min_u32_e32 v6, 1, v6
	v_or_b32_e32 v6, v7, v6
	v_cvt_f32_u32_e32 v6, v6
	v_sub_u32_e32 v7, 32, v8
	v_ldexp_f32 v7, v6, v7
	s_branch .LBB33_1323
.LBB33_1321:
	s_mov_b64 s[20:21], -1
                                        ; implicit-def: $vgpr7
.LBB33_1322:
	s_mov_b64 s[28:29], 0
.LBB33_1323:
	s_and_b64 vcc, exec, s[28:29]
	s_cbranch_vccz .LBB33_1341
; %bb.1324:
	v_cmp_gt_i16_e32 vcc, 27, v2
	s_cbranch_vccnz .LBB33_1327
; %bb.1325:
	v_cmp_lt_i16_e32 vcc, 27, v2
	s_cbranch_vccz .LBB33_1328
; %bb.1326:
	global_load_dword v6, v[0:1], off
	s_mov_b64 s[26:27], 0
	s_waitcnt vmcnt(0)
	v_cvt_f32_u32_e32 v7, v6
	s_branch .LBB33_1329
.LBB33_1327:
	s_mov_b64 s[26:27], -1
                                        ; implicit-def: $vgpr7
	s_branch .LBB33_1332
.LBB33_1328:
	s_mov_b64 s[26:27], -1
                                        ; implicit-def: $vgpr7
.LBB33_1329:
	s_andn2_b64 vcc, exec, s[26:27]
	s_cbranch_vccnz .LBB33_1331
; %bb.1330:
	global_load_ushort v6, v[0:1], off
	s_waitcnt vmcnt(0)
	v_cvt_f32_u32_e32 v7, v6
.LBB33_1331:
	s_mov_b64 s[26:27], 0
.LBB33_1332:
	s_andn2_b64 vcc, exec, s[26:27]
	s_cbranch_vccnz .LBB33_1340
; %bb.1333:
	global_load_ubyte v6, v[0:1], off
	s_movk_i32 s15, 0x7f
	s_mov_b64 s[26:27], 0
	s_waitcnt vmcnt(0)
	v_cmp_lt_i16_e32 vcc, s15, v6
                                        ; implicit-def: $sgpr15
	s_and_saveexec_b64 s[28:29], vcc
	s_xor_b64 s[28:29], exec, s[28:29]
	s_cbranch_execz .LBB33_1353
; %bb.1334:
	s_movk_i32 s15, 0x80
	v_cmp_eq_u16_e32 vcc, s15, v6
	s_mov_b64 s[26:27], -1
                                        ; implicit-def: $sgpr15
	s_and_saveexec_b64 s[30:31], vcc
; %bb.1335:
	s_mov_b32 s15, 0x7f800001
	s_xor_b64 s[26:27], exec, -1
; %bb.1336:
	s_or_b64 exec, exec, s[30:31]
	s_and_b64 s[26:27], s[26:27], exec
	s_or_saveexec_b64 s[28:29], s[28:29]
	v_mov_b32_e32 v7, s15
	s_xor_b64 exec, exec, s[28:29]
	s_cbranch_execnz .LBB33_1354
.LBB33_1337:
	s_or_b64 exec, exec, s[28:29]
	s_and_saveexec_b64 s[28:29], s[26:27]
	s_cbranch_execz .LBB33_1339
.LBB33_1338:
	v_lshlrev_b32_e32 v7, 24, v6
	v_and_b32_e32 v6, 0xffff, v6
	v_and_b32_e32 v8, 7, v6
	v_ffbh_u32_e32 v10, v8
	v_min_u32_e32 v10, 32, v10
	v_subrev_u32_e32 v11, 28, v10
	v_bfe_u32 v9, v6, 3, 4
	v_lshlrev_b32_e32 v6, v11, v6
	v_sub_u32_e32 v10, 29, v10
	v_and_b32_e32 v6, 7, v6
	v_cmp_eq_u32_e32 vcc, 0, v9
	v_cndmask_b32_e32 v9, v9, v10, vcc
	v_cndmask_b32_e32 v6, v8, v6, vcc
	v_mov_b32_e32 v8, 0x3b800000
	v_lshlrev_b32_e32 v6, 20, v6
	v_and_b32_e32 v7, 0x80000000, v7
	v_lshl_add_u32 v8, v9, 23, v8
	v_or3_b32 v7, v7, v8, v6
.LBB33_1339:
	s_or_b64 exec, exec, s[28:29]
.LBB33_1340:
	s_mov_b64 s[26:27], -1
.LBB33_1341:
	s_branch .LBB33_1374
.LBB33_1342:
	v_cmp_lt_i16_e32 vcc, 22, v2
	s_cbranch_vccz .LBB33_1352
; %bb.1343:
	v_cmp_gt_i16_e32 vcc, 24, v2
	s_cbranch_vccnz .LBB33_1355
; %bb.1344:
	v_cmp_lt_i16_e32 vcc, 24, v2
	s_cbranch_vccz .LBB33_1356
; %bb.1345:
	global_load_ubyte v6, v[0:1], off
	s_movk_i32 s15, 0x7f
	s_waitcnt vmcnt(0)
	v_cmp_lt_i16_e32 vcc, s15, v6
                                        ; implicit-def: $sgpr15
	s_and_saveexec_b64 s[26:27], vcc
	s_xor_b64 s[26:27], exec, s[26:27]
	s_cbranch_execz .LBB33_1368
; %bb.1346:
	s_movk_i32 s15, 0x80
	v_cmp_eq_u16_e32 vcc, s15, v6
	s_mov_b64 s[24:25], -1
                                        ; implicit-def: $sgpr15
	s_and_saveexec_b64 s[28:29], vcc
; %bb.1347:
	s_mov_b32 s15, 0x7f800001
	s_xor_b64 s[24:25], exec, -1
; %bb.1348:
	s_or_b64 exec, exec, s[28:29]
	s_and_b64 s[24:25], s[24:25], exec
	s_or_saveexec_b64 s[26:27], s[26:27]
	v_mov_b32_e32 v7, s15
	s_xor_b64 exec, exec, s[26:27]
	s_cbranch_execnz .LBB33_1369
.LBB33_1349:
	s_or_b64 exec, exec, s[26:27]
	s_and_saveexec_b64 s[26:27], s[24:25]
	s_cbranch_execz .LBB33_1351
.LBB33_1350:
	v_lshlrev_b32_e32 v7, 24, v6
	v_and_b32_e32 v6, 0xffff, v6
	v_and_b32_e32 v8, 3, v6
	v_ffbh_u32_e32 v10, v8
	v_min_u32_e32 v10, 32, v10
	v_subrev_u32_e32 v11, 29, v10
	v_bfe_u32 v9, v6, 2, 5
	v_lshlrev_b32_e32 v6, v11, v6
	v_sub_u32_e32 v10, 30, v10
	v_and_b32_e32 v6, 3, v6
	v_cmp_eq_u32_e32 vcc, 0, v9
	v_cndmask_b32_e32 v9, v9, v10, vcc
	v_cndmask_b32_e32 v6, v8, v6, vcc
	v_mov_b32_e32 v8, 0x37800000
	v_lshlrev_b32_e32 v6, 21, v6
	v_and_b32_e32 v7, 0x80000000, v7
	v_lshl_add_u32 v8, v9, 23, v8
	v_or3_b32 v7, v7, v8, v6
.LBB33_1351:
	s_or_b64 exec, exec, s[26:27]
	s_mov_b64 s[24:25], 0
	s_branch .LBB33_1357
.LBB33_1352:
	s_mov_b64 s[24:25], -1
                                        ; implicit-def: $vgpr7
	s_branch .LBB33_1363
.LBB33_1353:
	s_or_saveexec_b64 s[28:29], s[28:29]
	v_mov_b32_e32 v7, s15
	s_xor_b64 exec, exec, s[28:29]
	s_cbranch_execz .LBB33_1337
.LBB33_1354:
	v_cmp_ne_u16_e32 vcc, 0, v6
	s_andn2_b64 s[26:27], s[26:27], exec
	s_and_b64 s[30:31], vcc, exec
	v_mov_b32_e32 v7, 0
	s_or_b64 s[26:27], s[26:27], s[30:31]
	s_or_b64 exec, exec, s[28:29]
	s_and_saveexec_b64 s[28:29], s[26:27]
	s_cbranch_execnz .LBB33_1338
	s_branch .LBB33_1339
.LBB33_1355:
	s_mov_b64 s[24:25], -1
                                        ; implicit-def: $vgpr7
	s_branch .LBB33_1360
.LBB33_1356:
	s_mov_b64 s[24:25], -1
                                        ; implicit-def: $vgpr7
.LBB33_1357:
	s_and_b64 vcc, exec, s[24:25]
	s_cbranch_vccz .LBB33_1359
; %bb.1358:
	global_load_ubyte v6, v[0:1], off
	s_mov_b32 s15, 0x7f800000
	s_waitcnt vmcnt(0)
	v_lshlrev_b32_e32 v6, 24, v6
	v_and_b32_e32 v7, 0x7f000000, v6
	v_ffbh_u32_e32 v8, v7
	v_min_u32_e32 v8, 32, v8
	v_sub_u32_e64 v8, v8, 4 clamp
	v_lshlrev_b32_e32 v10, v8, v7
	v_lshlrev_b32_e32 v8, 23, v8
	v_lshrrev_b32_e32 v10, 4, v10
	v_add_u32_e32 v9, 0x1000000, v7
	v_sub_u32_e32 v8, v10, v8
	v_ashrrev_i32_e32 v9, 8, v9
	v_add_u32_e32 v8, 0x3c000000, v8
	v_and_or_b32 v8, v9, s15, v8
	v_cmp_ne_u32_e32 vcc, 0, v7
	v_cndmask_b32_e32 v7, 0, v8, vcc
	s_brev_b32 s15, 1
	v_and_or_b32 v7, v6, s15, v7
.LBB33_1359:
	s_mov_b64 s[24:25], 0
.LBB33_1360:
	s_andn2_b64 vcc, exec, s[24:25]
	s_cbranch_vccnz .LBB33_1362
; %bb.1361:
	global_load_ubyte v6, v[0:1], off
	s_movk_i32 s15, 0x7f00
	s_brev_b32 s24, 16
	s_waitcnt vmcnt(0)
	v_lshlrev_b16_e32 v7, 8, v6
	v_lshlrev_b32_e32 v6, 25, v6
	v_lshrrev_b32_e32 v8, 4, v6
	v_and_or_b32 v9, v7, s15, 0.5
	v_or_b32_e32 v8, 0x70000000, v8
	v_add_f32_e32 v9, -0.5, v9
	v_mul_f32_e32 v8, 0x7800000, v8
	v_cmp_gt_u32_e32 vcc, s24, v6
	v_bfe_i32 v7, v7, 0, 16
	v_cndmask_b32_e32 v6, v8, v9, vcc
	s_brev_b32 s15, 1
	v_and_or_b32 v7, v7, s15, v6
.LBB33_1362:
	s_mov_b64 s[24:25], 0
	s_mov_b64 s[26:27], -1
.LBB33_1363:
	s_andn2_b64 vcc, exec, s[24:25]
	s_mov_b64 s[24:25], 0
	s_cbranch_vccnz .LBB33_1374
; %bb.1364:
	v_cmp_lt_i16_e32 vcc, 14, v2
	s_cbranch_vccz .LBB33_1367
; %bb.1365:
	v_cmp_eq_u16_e32 vcc, 15, v2
	s_cbranch_vccz .LBB33_1370
; %bb.1366:
	global_load_ushort v6, v[0:1], off
	s_mov_b64 s[20:21], 0
	s_mov_b64 s[26:27], -1
	s_waitcnt vmcnt(0)
	v_lshlrev_b32_e32 v7, 16, v6
	s_branch .LBB33_1371
.LBB33_1367:
	s_mov_b64 s[28:29], -1
                                        ; implicit-def: $vgpr7
	s_branch .LBB33_1372
.LBB33_1368:
	s_or_saveexec_b64 s[26:27], s[26:27]
	v_mov_b32_e32 v7, s15
	s_xor_b64 exec, exec, s[26:27]
	s_cbranch_execz .LBB33_1349
.LBB33_1369:
	v_cmp_ne_u16_e32 vcc, 0, v6
	s_andn2_b64 s[24:25], s[24:25], exec
	s_and_b64 s[28:29], vcc, exec
	v_mov_b32_e32 v7, 0
	s_or_b64 s[24:25], s[24:25], s[28:29]
	s_or_b64 exec, exec, s[26:27]
	s_and_saveexec_b64 s[26:27], s[24:25]
	s_cbranch_execnz .LBB33_1350
	s_branch .LBB33_1351
.LBB33_1370:
	s_mov_b64 s[20:21], -1
                                        ; implicit-def: $vgpr7
.LBB33_1371:
	s_mov_b64 s[28:29], 0
.LBB33_1372:
	s_and_b64 vcc, exec, s[28:29]
	s_cbranch_vccz .LBB33_1374
; %bb.1373:
	v_cmp_ne_u16_e32 vcc, 11, v2
	s_andn2_b64 s[20:21], s[20:21], exec
	s_and_b64 s[28:29], vcc, exec
	s_mov_b64 s[24:25], -1
	s_or_b64 s[20:21], s[20:21], s[28:29]
                                        ; implicit-def: $vgpr7
.LBB33_1374:
	s_mov_b64 s[28:29], 0
.LBB33_1375:
	s_andn2_b64 s[18:19], s[18:19], exec
	s_and_b64 s[20:21], s[20:21], exec
	s_and_b64 s[26:27], s[26:27], exec
	;; [unrolled: 1-line block ×4, first 2 shown]
	s_or_b64 s[18:19], s[18:19], s[20:21]
	s_or_b64 exec, exec, s[0:1]
	s_and_saveexec_b64 s[0:1], s[18:19]
	s_cbranch_execz .LBB33_1304
.LBB33_1376:
	s_or_b64 s[22:23], s[22:23], exec
	s_andn2_b64 s[24:25], s[24:25], exec
	s_trap 2
                                        ; implicit-def: $vgpr7
	s_or_b64 exec, exec, s[0:1]
	s_and_saveexec_b64 s[0:1], s[24:25]
	s_xor_b64 s[0:1], exec, s[0:1]
	s_cbranch_execnz .LBB33_1305
.LBB33_1377:
	s_or_b64 exec, exec, s[0:1]
	s_and_saveexec_b64 s[0:1], s[30:31]
	s_cbranch_execz .LBB33_1423
.LBB33_1378:
	s_waitcnt vmcnt(0)
	v_cmp_gt_i16_e32 vcc, 5, v2
	s_cbranch_vccnz .LBB33_1383
; %bb.1379:
	v_cmp_gt_i16_e32 vcc, 8, v2
	s_cbranch_vccnz .LBB33_1384
; %bb.1380:
	;; [unrolled: 3-line block ×3, first 2 shown]
	v_cmp_lt_i16_e32 vcc, 9, v2
	s_cbranch_vccz .LBB33_1386
; %bb.1382:
	global_load_dwordx2 v[6:7], v[0:1], off
	s_mov_b64 s[18:19], 0
	s_waitcnt vmcnt(0)
	v_cvt_f32_f64_e32 v7, v[6:7]
	s_branch .LBB33_1387
.LBB33_1383:
                                        ; implicit-def: $vgpr7
	s_branch .LBB33_1404
.LBB33_1384:
                                        ; implicit-def: $vgpr7
	s_branch .LBB33_1393
.LBB33_1385:
	s_mov_b64 s[18:19], -1
                                        ; implicit-def: $vgpr7
	s_branch .LBB33_1390
.LBB33_1386:
	s_mov_b64 s[18:19], -1
                                        ; implicit-def: $vgpr7
.LBB33_1387:
	s_andn2_b64 vcc, exec, s[18:19]
	s_cbranch_vccnz .LBB33_1389
; %bb.1388:
	global_load_dword v7, v[0:1], off
.LBB33_1389:
	s_mov_b64 s[18:19], 0
.LBB33_1390:
	s_andn2_b64 vcc, exec, s[18:19]
	s_cbranch_vccnz .LBB33_1392
; %bb.1391:
	global_load_dword v6, v[0:1], off
	s_waitcnt vmcnt(0)
	v_cvt_f32_f16_e32 v7, v6
.LBB33_1392:
	s_cbranch_execnz .LBB33_1403
.LBB33_1393:
	v_cmp_gt_i16_e32 vcc, 6, v2
	s_cbranch_vccnz .LBB33_1396
; %bb.1394:
	v_cmp_lt_i16_e32 vcc, 6, v2
	s_cbranch_vccz .LBB33_1397
; %bb.1395:
	global_load_dwordx2 v[6:7], v[0:1], off
	s_mov_b64 s[18:19], 0
	s_waitcnt vmcnt(0)
	v_cvt_f32_f64_e32 v7, v[6:7]
	s_branch .LBB33_1398
.LBB33_1396:
	s_mov_b64 s[18:19], -1
                                        ; implicit-def: $vgpr7
	s_branch .LBB33_1401
.LBB33_1397:
	s_mov_b64 s[18:19], -1
                                        ; implicit-def: $vgpr7
.LBB33_1398:
	s_andn2_b64 vcc, exec, s[18:19]
	s_cbranch_vccnz .LBB33_1400
; %bb.1399:
	global_load_dword v7, v[0:1], off
.LBB33_1400:
	s_mov_b64 s[18:19], 0
.LBB33_1401:
	s_andn2_b64 vcc, exec, s[18:19]
	s_cbranch_vccnz .LBB33_1403
; %bb.1402:
	global_load_ushort v6, v[0:1], off
	s_waitcnt vmcnt(0)
	v_cvt_f32_f16_e32 v7, v6
.LBB33_1403:
	s_cbranch_execnz .LBB33_1422
.LBB33_1404:
	v_cmp_gt_i16_e32 vcc, 2, v2
	s_cbranch_vccnz .LBB33_1408
; %bb.1405:
	v_cmp_gt_i16_e32 vcc, 3, v2
	s_cbranch_vccnz .LBB33_1409
; %bb.1406:
	v_cmp_lt_i16_e32 vcc, 3, v2
	s_cbranch_vccz .LBB33_1410
; %bb.1407:
	global_load_dwordx2 v[6:7], v[0:1], off
	s_mov_b64 s[18:19], 0
	s_waitcnt vmcnt(0)
	v_xor_b32_e32 v9, v6, v7
	v_ffbh_i32_e32 v8, v7
	v_ashrrev_i32_e32 v9, 31, v9
	v_add_u32_e32 v8, -1, v8
	v_add_u32_e32 v9, 32, v9
	v_min_u32_e32 v8, v8, v9
	v_lshlrev_b64 v[6:7], v8, v[6:7]
	v_min_u32_e32 v6, 1, v6
	v_or_b32_e32 v6, v7, v6
	v_cvt_f32_i32_e32 v6, v6
	v_sub_u32_e32 v7, 32, v8
	v_ldexp_f32 v7, v6, v7
	s_branch .LBB33_1411
.LBB33_1408:
                                        ; implicit-def: $vgpr7
	s_branch .LBB33_1417
.LBB33_1409:
	s_mov_b64 s[18:19], -1
                                        ; implicit-def: $vgpr7
	s_branch .LBB33_1414
.LBB33_1410:
	s_mov_b64 s[18:19], -1
                                        ; implicit-def: $vgpr7
.LBB33_1411:
	s_andn2_b64 vcc, exec, s[18:19]
	s_cbranch_vccnz .LBB33_1413
; %bb.1412:
	global_load_dword v6, v[0:1], off
	s_waitcnt vmcnt(0)
	v_cvt_f32_i32_e32 v7, v6
.LBB33_1413:
	s_mov_b64 s[18:19], 0
.LBB33_1414:
	s_andn2_b64 vcc, exec, s[18:19]
	s_cbranch_vccnz .LBB33_1416
; %bb.1415:
	global_load_sshort v6, v[0:1], off
	s_waitcnt vmcnt(0)
	v_cvt_f32_i32_e32 v7, v6
.LBB33_1416:
	s_cbranch_execnz .LBB33_1422
.LBB33_1417:
	v_cmp_lt_i16_e32 vcc, 0, v2
	s_cbranch_vccz .LBB33_1419
; %bb.1418:
	global_load_sbyte v2, v[0:1], off
	s_mov_b64 s[18:19], 0
	s_waitcnt vmcnt(0)
	v_cvt_f32_i32_e32 v7, v2
	s_branch .LBB33_1420
.LBB33_1419:
	s_mov_b64 s[18:19], -1
                                        ; implicit-def: $vgpr7
.LBB33_1420:
	s_andn2_b64 vcc, exec, s[18:19]
	s_cbranch_vccnz .LBB33_1422
; %bb.1421:
	global_load_ubyte v0, v[0:1], off
	s_waitcnt vmcnt(0)
	v_cvt_f32_ubyte0_e32 v7, v0
.LBB33_1422:
	s_or_b64 s[26:27], s[26:27], exec
.LBB33_1423:
	s_or_b64 exec, exec, s[0:1]
	s_mov_b64 s[24:25], 0
	s_mov_b64 s[20:21], 0
                                        ; implicit-def: $vgpr6
                                        ; implicit-def: $vgpr0_vgpr1
                                        ; implicit-def: $vgpr2
	s_and_saveexec_b64 s[18:19], s[26:27]
	s_cbranch_execz .LBB33_1441
; %bb.1424:
	s_waitcnt vmcnt(0)
	v_mul_f32_e32 v0, v3, v7
	v_cmp_lt_f32_e32 vcc, 0, v3
	v_cndmask_b32_e32 v2, v0, v3, vcc
	v_mul_lo_u32 v0, v5, s12
	v_ashrrev_i32_e32 v1, 31, v0
	v_mov_b32_e32 v3, s9
	v_add_co_u32_e32 v0, vcc, s8, v0
	v_addc_co_u32_e32 v1, vcc, v3, v1, vcc
	v_and_b32_e32 v6, 0xff, v4
	v_cmp_gt_i16_e32 vcc, 11, v6
	s_cbranch_vccnz .LBB33_1444
; %bb.1425:
	v_cmp_lt_i16_e32 vcc, 25, v6
	s_mov_b64 s[24:25], -1
	s_mov_b64 s[0:1], s[6:7]
	s_cbranch_vccz .LBB33_1462
; %bb.1426:
	v_cmp_lt_i16_e32 vcc, 28, v6
	s_mov_b64 s[20:21], -1
	s_mov_b64 s[0:1], s[6:7]
	s_cbranch_vccz .LBB33_1446
; %bb.1427:
	v_cmp_lt_i16_e32 vcc, 43, v6
	s_mov_b64 s[0:1], s[6:7]
	s_cbranch_vccz .LBB33_1438
; %bb.1428:
	v_cmp_lt_i16_e32 vcc, 45, v6
	s_mov_b64 s[0:1], s[6:7]
	s_cbranch_vccz .LBB33_1432
; %bb.1429:
	v_cmp_eq_u16_e32 vcc, 46, v6
	s_mov_b64 s[0:1], -1
	s_cbranch_vccz .LBB33_1431
; %bb.1430:
	v_bfe_u32 v3, v2, 16, 1
	s_movk_i32 s0, 0x7fff
	v_add3_u32 v3, v2, v3, s0
	v_lshrrev_b32_e32 v3, 16, v3
	v_mov_b32_e32 v4, 0x7fc0
	v_cmp_o_f32_e32 vcc, v2, v2
	v_cndmask_b32_e32 v3, v4, v3, vcc
	global_store_dword v[0:1], v3, off
	s_mov_b64 s[0:1], 0
.LBB33_1431:
	s_mov_b64 s[20:21], 0
.LBB33_1432:
	s_and_b64 vcc, exec, s[20:21]
	s_cbranch_vccz .LBB33_1437
; %bb.1433:
	v_cmp_eq_u16_e32 vcc, 44, v6
	s_mov_b64 s[0:1], -1
	s_cbranch_vccz .LBB33_1437
; %bb.1434:
	v_bfe_u32 v3, v2, 23, 8
	s_movk_i32 s0, 0xff
	v_cmp_ne_u32_e32 vcc, s0, v3
	v_mov_b32_e32 v4, 0xff
	s_and_saveexec_b64 s[20:21], vcc
; %bb.1435:
	s_mov_b32 s0, 0x3fffff
	v_and_b32_e32 v5, 0x400000, v2
	v_and_or_b32 v3, v2, s0, v3
	v_cmp_ne_u32_e32 vcc, 0, v5
	v_cmp_ne_u32_e64 s[0:1], 0, v3
	s_and_b64 s[0:1], vcc, s[0:1]
	v_lshrrev_b32_e32 v4, 23, v2
	v_cndmask_b32_e64 v3, 0, 1, s[0:1]
	v_add_u32_e32 v4, v4, v3
; %bb.1436:
	s_or_b64 exec, exec, s[20:21]
	s_mov_b64 s[0:1], 0
	global_store_byte v[0:1], v4, off
.LBB33_1437:
	s_mov_b64 s[20:21], 0
.LBB33_1438:
	s_and_b64 vcc, exec, s[20:21]
	s_cbranch_vccz .LBB33_1445
; %bb.1439:
	v_cmp_eq_u16_e32 vcc, 29, v6
	s_mov_b64 s[0:1], -1
	s_cbranch_vccz .LBB33_1445
; %bb.1440:
	v_trunc_f32_e32 v3, v2
	v_mul_f32_e32 v4, 0x2f800000, v3
	v_floor_f32_e32 v4, v4
	v_fmac_f32_e32 v3, 0xcf800000, v4
	v_cvt_u32_f32_e32 v5, v4
	v_cvt_u32_f32_e32 v4, v3
	s_mov_b64 s[0:1], 0
	s_mov_b64 s[20:21], 0
	global_store_dwordx2 v[0:1], v[4:5], off
	s_branch .LBB33_1446
.LBB33_1441:
	s_or_b64 exec, exec, s[18:19]
	s_and_saveexec_b64 s[0:1], s[6:7]
	s_cbranch_execnz .LBB33_1504
.LBB33_1442:
	s_or_b64 exec, exec, s[0:1]
	s_and_saveexec_b64 s[0:1], s[24:25]
	s_xor_b64 s[0:1], exec, s[0:1]
	s_cbranch_execz .LBB33_1505
.LBB33_1443:
	s_waitcnt vmcnt(0)
	v_cmp_neq_f32_e32 vcc, 0, v2
	v_cndmask_b32_e64 v3, 0, 1, vcc
	global_store_byte v[0:1], v3, off
	s_or_b64 exec, exec, s[0:1]
	s_and_saveexec_b64 s[0:1], s[20:21]
	s_xor_b64 s[0:1], exec, s[0:1]
	s_cbranch_execz .LBB33_1543
	s_branch .LBB33_1506
.LBB33_1444:
	s_mov_b64 s[20:21], -1
	s_mov_b64 s[0:1], s[6:7]
	s_branch .LBB33_1503
.LBB33_1445:
	s_mov_b64 s[20:21], 0
.LBB33_1446:
	s_and_b64 vcc, exec, s[20:21]
	s_cbranch_vccz .LBB33_1461
; %bb.1447:
	v_cmp_gt_i16_e32 vcc, 27, v6
	s_mov_b64 s[20:21], -1
	s_cbranch_vccnz .LBB33_1453
; %bb.1448:
	v_cvt_u32_f32_e32 v3, v2
	v_cmp_lt_i16_e32 vcc, 27, v6
	s_cbranch_vccz .LBB33_1450
; %bb.1449:
	s_mov_b64 s[20:21], 0
	global_store_dword v[0:1], v3, off
.LBB33_1450:
	s_andn2_b64 vcc, exec, s[20:21]
	s_cbranch_vccnz .LBB33_1452
; %bb.1451:
	global_store_short v[0:1], v3, off
.LBB33_1452:
	s_mov_b64 s[20:21], 0
.LBB33_1453:
	s_andn2_b64 vcc, exec, s[20:21]
	s_cbranch_vccnz .LBB33_1461
; %bb.1454:
	v_and_b32_e32 v3, 0x7fffffff, v2
	s_mov_b32 s15, 0x43800000
	v_cmp_gt_u32_e32 vcc, s15, v3
	v_mov_b32_e32 v4, 0x80
	s_and_saveexec_b64 s[20:21], vcc
	s_cbranch_execz .LBB33_1460
; %bb.1455:
	s_mov_b32 s15, 0x3bffffff
	v_cmp_lt_u32_e32 vcc, s15, v3
	s_mov_b64 s[24:25], 0
                                        ; implicit-def: $vgpr3
	s_and_saveexec_b64 s[26:27], vcc
	s_xor_b64 s[26:27], exec, s[26:27]
	s_cbranch_execz .LBB33_1558
; %bb.1456:
	v_bfe_u32 v3, v2, 20, 1
	s_mov_b32 s15, 0x487ffff
	v_add3_u32 v3, v2, v3, s15
	s_mov_b64 s[24:25], exec
	v_lshrrev_b32_e32 v3, 20, v3
	s_or_saveexec_b64 s[26:27], s[26:27]
                                        ; implicit-def: $sgpr15
	s_xor_b64 exec, exec, s[26:27]
	s_cbranch_execnz .LBB33_1559
.LBB33_1457:
	s_or_b64 exec, exec, s[26:27]
	v_mov_b32_e32 v4, s15
	s_and_saveexec_b64 s[26:27], s[24:25]
.LBB33_1458:
	v_lshrrev_b32_e32 v4, 24, v2
	s_movk_i32 s15, 0x80
	v_and_or_b32 v4, v4, s15, v3
.LBB33_1459:
	s_or_b64 exec, exec, s[26:27]
.LBB33_1460:
	s_or_b64 exec, exec, s[20:21]
	global_store_byte v[0:1], v4, off
.LBB33_1461:
	s_mov_b64 s[24:25], 0
.LBB33_1462:
	s_mov_b64 s[20:21], 0
	s_and_b64 vcc, exec, s[24:25]
	s_cbranch_vccz .LBB33_1502
; %bb.1463:
	v_cmp_lt_i16_e32 vcc, 22, v6
	s_mov_b64 s[24:25], -1
	s_cbranch_vccz .LBB33_1495
; %bb.1464:
	v_cmp_gt_i16_e32 vcc, 24, v6
	s_cbranch_vccnz .LBB33_1484
; %bb.1465:
	v_cmp_lt_i16_e32 vcc, 24, v6
	s_cbranch_vccz .LBB33_1473
; %bb.1466:
	v_and_b32_e32 v3, 0x7fffffff, v2
	s_mov_b32 s15, 0x47800000
	v_cmp_gt_u32_e32 vcc, s15, v3
	v_mov_b32_e32 v4, 0x80
	s_and_saveexec_b64 s[24:25], vcc
	s_cbranch_execz .LBB33_1472
; %bb.1467:
	s_mov_b32 s15, 0x37ffffff
	v_cmp_lt_u32_e32 vcc, s15, v3
	s_mov_b64 s[26:27], 0
                                        ; implicit-def: $vgpr3
	s_and_saveexec_b64 s[28:29], vcc
	s_xor_b64 s[28:29], exec, s[28:29]
	s_cbranch_execz .LBB33_1683
; %bb.1468:
	v_bfe_u32 v3, v2, 21, 1
	s_mov_b32 s15, 0x88fffff
	v_add3_u32 v3, v2, v3, s15
	s_mov_b64 s[26:27], exec
	v_lshrrev_b32_e32 v3, 21, v3
	s_or_saveexec_b64 s[28:29], s[28:29]
                                        ; implicit-def: $sgpr15
	s_xor_b64 exec, exec, s[28:29]
	s_cbranch_execnz .LBB33_1684
.LBB33_1469:
	s_or_b64 exec, exec, s[28:29]
	v_mov_b32_e32 v4, s15
	s_and_saveexec_b64 s[28:29], s[26:27]
.LBB33_1470:
	v_lshrrev_b32_e32 v4, 24, v2
	s_movk_i32 s15, 0x80
	v_and_or_b32 v4, v4, s15, v3
.LBB33_1471:
	s_or_b64 exec, exec, s[28:29]
.LBB33_1472:
	s_or_b64 exec, exec, s[24:25]
	s_mov_b64 s[24:25], 0
	global_store_byte v[0:1], v4, off
.LBB33_1473:
	s_and_b64 vcc, exec, s[24:25]
	s_cbranch_vccz .LBB33_1483
; %bb.1474:
	v_and_b32_e32 v4, 0x7fffffff, v2
	s_mov_b32 s15, 0x43f00000
	v_cmp_gt_u32_e32 vcc, s15, v4
                                        ; implicit-def: $vgpr3
	s_and_saveexec_b64 s[24:25], vcc
	s_xor_b64 s[24:25], exec, s[24:25]
	s_cbranch_execz .LBB33_1480
; %bb.1475:
	s_mov_b32 s15, 0x3c7fffff
	v_cmp_lt_u32_e32 vcc, s15, v4
                                        ; implicit-def: $vgpr3
	s_and_saveexec_b64 s[26:27], vcc
	s_xor_b64 s[26:27], exec, s[26:27]
; %bb.1476:
	v_bfe_u32 v3, v2, 20, 1
	s_mov_b32 s15, 0x407ffff
	v_add3_u32 v3, v2, v3, s15
	v_lshrrev_b32_e32 v4, 20, v3
	v_and_b32_e32 v3, 0xff00000, v3
	s_mov_b32 s15, 0x7f00000
	v_mov_b32_e32 v5, 0x7e
	v_cmp_ne_u32_e32 vcc, s15, v3
	v_cndmask_b32_e32 v3, v5, v4, vcc
; %bb.1477:
	s_andn2_saveexec_b64 s[26:27], s[26:27]
; %bb.1478:
	s_mov_b32 s15, 0x46800000
	v_add_f32_e64 v3, |v2|, s15
; %bb.1479:
	s_or_b64 exec, exec, s[26:27]
                                        ; implicit-def: $vgpr4
.LBB33_1480:
	s_andn2_saveexec_b64 s[24:25], s[24:25]
; %bb.1481:
	s_mov_b32 s15, 0x7f800000
	v_mov_b32_e32 v3, 0x7e
	v_mov_b32_e32 v5, 0x7f
	v_cmp_lt_u32_e32 vcc, s15, v4
	v_cndmask_b32_e32 v3, v3, v5, vcc
; %bb.1482:
	s_or_b64 exec, exec, s[24:25]
	v_lshrrev_b32_e32 v4, 24, v2
	s_movk_i32 s15, 0x80
	v_and_or_b32 v3, v4, s15, v3
	global_store_byte v[0:1], v3, off
.LBB33_1483:
	s_mov_b64 s[24:25], 0
.LBB33_1484:
	s_andn2_b64 vcc, exec, s[24:25]
	s_cbranch_vccnz .LBB33_1494
; %bb.1485:
	v_and_b32_e32 v4, 0x7fffffff, v2
	s_mov_b32 s15, 0x47800000
	v_cmp_gt_u32_e32 vcc, s15, v4
                                        ; implicit-def: $vgpr3
	s_and_saveexec_b64 s[24:25], vcc
	s_xor_b64 s[24:25], exec, s[24:25]
	s_cbranch_execz .LBB33_1491
; %bb.1486:
	s_mov_b32 s15, 0x387fffff
	v_cmp_lt_u32_e32 vcc, s15, v4
                                        ; implicit-def: $vgpr3
	s_and_saveexec_b64 s[26:27], vcc
	s_xor_b64 s[26:27], exec, s[26:27]
; %bb.1487:
	v_bfe_u32 v3, v2, 21, 1
	s_mov_b32 s15, 0x80fffff
	v_add3_u32 v3, v2, v3, s15
	v_lshrrev_b32_e32 v3, 21, v3
; %bb.1488:
	s_andn2_saveexec_b64 s[26:27], s[26:27]
; %bb.1489:
	s_mov_b32 s15, 0x43000000
	v_add_f32_e64 v3, |v2|, s15
; %bb.1490:
	s_or_b64 exec, exec, s[26:27]
                                        ; implicit-def: $vgpr4
.LBB33_1491:
	s_andn2_saveexec_b64 s[24:25], s[24:25]
; %bb.1492:
	s_mov_b32 s15, 0x7f800000
	v_mov_b32_e32 v3, 0x7c
	v_mov_b32_e32 v5, 0x7f
	v_cmp_lt_u32_e32 vcc, s15, v4
	v_cndmask_b32_e32 v3, v3, v5, vcc
; %bb.1493:
	s_or_b64 exec, exec, s[24:25]
	v_lshrrev_b32_e32 v4, 24, v2
	s_movk_i32 s15, 0x80
	v_and_or_b32 v3, v4, s15, v3
	global_store_byte v[0:1], v3, off
.LBB33_1494:
	s_mov_b64 s[24:25], 0
.LBB33_1495:
	s_andn2_b64 vcc, exec, s[24:25]
	s_mov_b64 s[24:25], 0
	s_cbranch_vccnz .LBB33_1503
; %bb.1496:
	v_cmp_lt_i16_e32 vcc, 14, v6
	s_mov_b64 s[26:27], -1
	s_cbranch_vccz .LBB33_1500
; %bb.1497:
	v_cmp_eq_u16_e32 vcc, 15, v6
	s_mov_b64 s[0:1], -1
	s_cbranch_vccz .LBB33_1499
; %bb.1498:
	v_bfe_u32 v3, v2, 16, 1
	s_movk_i32 s0, 0x7fff
	v_add3_u32 v3, v2, v3, s0
	v_lshrrev_b32_e32 v3, 16, v3
	v_mov_b32_e32 v4, 0x7fc0
	v_cmp_o_f32_e32 vcc, v2, v2
	v_cndmask_b32_e32 v3, v4, v3, vcc
	global_store_short v[0:1], v3, off
	s_mov_b64 s[0:1], 0
.LBB33_1499:
	s_mov_b64 s[26:27], 0
.LBB33_1500:
	s_and_b64 vcc, exec, s[26:27]
	s_cbranch_vccz .LBB33_1503
; %bb.1501:
	v_cmp_ne_u16_e32 vcc, 11, v6
	s_andn2_b64 s[0:1], s[0:1], exec
	s_and_b64 s[26:27], vcc, exec
	s_mov_b64 s[24:25], -1
	s_or_b64 s[0:1], s[0:1], s[26:27]
	s_branch .LBB33_1503
.LBB33_1502:
	s_mov_b64 s[24:25], 0
.LBB33_1503:
	s_andn2_b64 s[6:7], s[6:7], exec
	s_and_b64 s[0:1], s[0:1], exec
	s_and_b64 s[20:21], s[20:21], exec
	s_and_b64 s[24:25], s[24:25], exec
	s_or_b64 s[6:7], s[6:7], s[0:1]
	s_or_b64 exec, exec, s[18:19]
	s_and_saveexec_b64 s[0:1], s[6:7]
	s_cbranch_execz .LBB33_1442
.LBB33_1504:
	s_or_b64 s[22:23], s[22:23], exec
	s_andn2_b64 s[24:25], s[24:25], exec
	s_trap 2
	s_or_b64 exec, exec, s[0:1]
	s_and_saveexec_b64 s[0:1], s[24:25]
	s_xor_b64 s[0:1], exec, s[0:1]
	s_cbranch_execnz .LBB33_1443
.LBB33_1505:
	s_or_b64 exec, exec, s[0:1]
	s_and_saveexec_b64 s[0:1], s[20:21]
	s_xor_b64 s[0:1], exec, s[0:1]
	s_cbranch_execz .LBB33_1543
.LBB33_1506:
	s_waitcnt vmcnt(0)
	v_cmp_gt_i16_e32 vcc, 5, v6
	s_mov_b64 s[6:7], -1
	s_cbranch_vccnz .LBB33_1527
; %bb.1507:
	v_cmp_gt_i16_e32 vcc, 8, v6
	s_cbranch_vccnz .LBB33_1517
; %bb.1508:
	v_cmp_gt_i16_e32 vcc, 9, v6
	s_cbranch_vccnz .LBB33_1514
; %bb.1509:
	v_cmp_lt_i16_e32 vcc, 9, v6
	s_cbranch_vccz .LBB33_1511
; %bb.1510:
	v_mov_b32_e32 v10, 0
	v_cvt_f64_f32_e32 v[8:9], v2
	v_mov_b32_e32 v11, v10
	s_mov_b64 s[6:7], 0
	global_store_dwordx4 v[0:1], v[8:11], off
.LBB33_1511:
	s_andn2_b64 vcc, exec, s[6:7]
	s_cbranch_vccnz .LBB33_1513
; %bb.1512:
	v_mov_b32_e32 v3, 0
	global_store_dwordx2 v[0:1], v[2:3], off
.LBB33_1513:
	s_mov_b64 s[6:7], 0
.LBB33_1514:
	s_andn2_b64 vcc, exec, s[6:7]
	s_cbranch_vccnz .LBB33_1516
; %bb.1515:
	v_cvt_f16_f32_e32 v3, v2
	global_store_dword v[0:1], v3, off
.LBB33_1516:
	s_mov_b64 s[6:7], 0
.LBB33_1517:
	s_andn2_b64 vcc, exec, s[6:7]
	s_cbranch_vccnz .LBB33_1526
; %bb.1518:
	v_cmp_gt_i16_e32 vcc, 6, v6
	s_mov_b64 s[6:7], -1
	s_cbranch_vccnz .LBB33_1524
; %bb.1519:
	v_cmp_lt_i16_e32 vcc, 6, v6
	s_cbranch_vccz .LBB33_1521
; %bb.1520:
	v_cvt_f64_f32_e32 v[4:5], v2
	s_mov_b64 s[6:7], 0
	global_store_dwordx2 v[0:1], v[4:5], off
.LBB33_1521:
	s_andn2_b64 vcc, exec, s[6:7]
	s_cbranch_vccnz .LBB33_1523
; %bb.1522:
	global_store_dword v[0:1], v2, off
.LBB33_1523:
	s_mov_b64 s[6:7], 0
.LBB33_1524:
	s_andn2_b64 vcc, exec, s[6:7]
	s_cbranch_vccnz .LBB33_1526
; %bb.1525:
	v_cvt_f16_f32_e32 v3, v2
	global_store_short v[0:1], v3, off
.LBB33_1526:
	s_mov_b64 s[6:7], 0
.LBB33_1527:
	s_andn2_b64 vcc, exec, s[6:7]
	s_cbranch_vccnz .LBB33_1543
; %bb.1528:
	v_cmp_gt_i16_e32 vcc, 2, v6
	s_mov_b64 s[6:7], -1
	s_cbranch_vccnz .LBB33_1538
; %bb.1529:
	v_cmp_gt_i16_e32 vcc, 3, v6
	s_cbranch_vccnz .LBB33_1535
; %bb.1530:
	v_cmp_lt_i16_e32 vcc, 3, v6
	s_cbranch_vccz .LBB33_1532
; %bb.1531:
	v_trunc_f32_e32 v3, v2
	s_mov_b32 s6, 0x2f800000
	v_mul_f32_e64 v4, |v3|, s6
	v_floor_f32_e32 v4, v4
	s_mov_b32 s6, 0xcf800000
	v_cvt_u32_f32_e32 v5, v4
	v_fma_f32 v4, v4, s6, |v3|
	v_cvt_u32_f32_e32 v4, v4
	v_ashrrev_i32_e32 v3, 31, v3
	v_xor_b32_e32 v5, v5, v3
	s_mov_b64 s[6:7], 0
	v_xor_b32_e32 v4, v4, v3
	v_sub_co_u32_e32 v4, vcc, v4, v3
	v_subb_co_u32_e32 v5, vcc, v5, v3, vcc
	global_store_dwordx2 v[0:1], v[4:5], off
.LBB33_1532:
	s_andn2_b64 vcc, exec, s[6:7]
	s_cbranch_vccnz .LBB33_1534
; %bb.1533:
	v_cvt_i32_f32_e32 v3, v2
	global_store_dword v[0:1], v3, off
.LBB33_1534:
	s_mov_b64 s[6:7], 0
.LBB33_1535:
	s_andn2_b64 vcc, exec, s[6:7]
	s_cbranch_vccnz .LBB33_1537
; %bb.1536:
	v_cvt_i32_f32_e32 v3, v2
	global_store_short v[0:1], v3, off
.LBB33_1537:
	s_mov_b64 s[6:7], 0
.LBB33_1538:
	s_andn2_b64 vcc, exec, s[6:7]
	s_cbranch_vccnz .LBB33_1543
; %bb.1539:
	v_cmp_lt_i16_e32 vcc, 0, v6
	s_mov_b64 s[6:7], -1
	s_cbranch_vccz .LBB33_1541
; %bb.1540:
	v_cvt_i32_f32_e32 v3, v2
	s_mov_b64 s[6:7], 0
	global_store_byte v[0:1], v3, off
.LBB33_1541:
	s_andn2_b64 vcc, exec, s[6:7]
	s_cbranch_vccnz .LBB33_1543
; %bb.1542:
	v_trunc_f32_e32 v2, v2
	s_mov_b32 s6, 0x2f800000
	v_mul_f32_e64 v3, |v2|, s6
	v_floor_f32_e32 v3, v3
	s_mov_b32 s6, 0xcf800000
	v_fma_f32 v3, v3, s6, |v2|
	v_cvt_u32_f32_e32 v3, v3
	v_ashrrev_i32_e32 v2, 31, v2
	v_xor_b32_e32 v3, v3, v2
	v_sub_u32_e32 v2, v3, v2
	global_store_byte v[0:1], v2, off
.LBB33_1543:
	s_or_b64 exec, exec, s[0:1]
	s_and_b64 s[6:7], s[22:23], exec
                                        ; implicit-def: $vgpr5
                                        ; implicit-def: $vgpr7
                                        ; implicit-def: $vgpr6
                                        ; implicit-def: $vgpr4
.LBB33_1544:
	s_or_saveexec_b64 s[4:5], s[4:5]
	s_mov_b64 s[0:1], 0
                                        ; implicit-def: $vgpr8
                                        ; implicit-def: $vgpr0_vgpr1
                                        ; implicit-def: $vgpr2
	s_xor_b64 exec, exec, s[4:5]
	s_cbranch_execz .LBB33_3034
; %bb.1545:
	v_mul_lo_u32 v8, s13, v5
	v_ashrrev_i32_e32 v1, 31, v8
	s_waitcnt vmcnt(0)
	v_mov_b32_e32 v2, s11
	v_add_co_u32_e32 v0, vcc, s10, v8
	v_addc_co_u32_e32 v1, vcc, v2, v1, vcc
	v_mov_b32_e32 v2, 11
	v_cmp_lt_i16_sdwa s[0:1], v7, v2 src0_sel:BYTE_0 src1_sel:DWORD
	s_and_b64 vcc, exec, s[0:1]
	s_cbranch_vccnz .LBB33_1552
; %bb.1546:
	v_mov_b32_e32 v2, 25
	v_cmp_gt_i16_sdwa s[0:1], v7, v2 src0_sel:BYTE_0 src1_sel:DWORD
	s_and_b64 vcc, exec, s[0:1]
	s_cbranch_vccz .LBB33_1554
; %bb.1547:
	v_mov_b32_e32 v2, 28
	v_cmp_gt_i16_sdwa s[0:1], v7, v2 src0_sel:BYTE_0 src1_sel:DWORD
	s_and_b64 vcc, exec, s[0:1]
	s_cbranch_vccz .LBB33_1555
	;; [unrolled: 5-line block ×4, first 2 shown]
; %bb.1550:
	v_mov_b32_e32 v2, 46
	v_cmp_eq_u16_sdwa s[0:1], v7, v2 src0_sel:BYTE_0 src1_sel:DWORD
	s_mov_b64 s[18:19], 0
	s_and_b64 vcc, exec, s[0:1]
	s_cbranch_vccz .LBB33_1560
; %bb.1551:
	global_load_dword v2, v[0:1], off
	s_mov_b64 s[0:1], 0
	s_mov_b64 s[20:21], -1
	s_waitcnt vmcnt(0)
	v_lshlrev_b32_e32 v2, 16, v2
	s_branch .LBB33_1561
.LBB33_1552:
	s_mov_b64 s[20:21], 0
                                        ; implicit-def: $vgpr2
	s_mov_b64 s[18:19], s[6:7]
	s_cbranch_execnz .LBB33_1624
.LBB33_1553:
	s_andn2_b64 vcc, exec, s[20:21]
	s_cbranch_vccz .LBB33_1669
	s_branch .LBB33_3032
.LBB33_1554:
	s_mov_b64 s[20:21], 0
	s_mov_b64 s[0:1], 0
                                        ; implicit-def: $vgpr2
	s_cbranch_execnz .LBB33_1589
	s_branch .LBB33_1620
.LBB33_1555:
	s_mov_b64 s[18:19], -1
	s_mov_b64 s[20:21], 0
	s_mov_b64 s[0:1], 0
                                        ; implicit-def: $vgpr2
	s_branch .LBB33_1570
.LBB33_1556:
	s_mov_b64 s[20:21], 0
	s_mov_b64 s[0:1], 0
                                        ; implicit-def: $vgpr2
	s_cbranch_execnz .LBB33_1566
	s_branch .LBB33_1569
.LBB33_1557:
	s_mov_b64 s[18:19], -1
	s_mov_b64 s[20:21], 0
	s_mov_b64 s[0:1], 0
                                        ; implicit-def: $vgpr2
	s_branch .LBB33_1561
.LBB33_1558:
	s_or_saveexec_b64 s[26:27], s[26:27]
                                        ; implicit-def: $sgpr15
	s_xor_b64 exec, exec, s[26:27]
	s_cbranch_execz .LBB33_1457
.LBB33_1559:
	s_mov_b32 s15, 0x46000000
	v_add_f32_e64 v3, |v2|, s15
	v_and_b32_e32 v3, 0xff, v3
	v_cmp_ne_u32_e32 vcc, 0, v3
	s_andn2_b64 s[24:25], s[24:25], exec
	s_and_b64 s[28:29], vcc, exec
	s_mov_b32 s15, 0
	s_or_b64 s[24:25], s[24:25], s[28:29]
	s_or_b64 exec, exec, s[26:27]
	v_mov_b32_e32 v4, s15
	s_and_saveexec_b64 s[26:27], s[24:25]
	s_cbranch_execnz .LBB33_1458
	s_branch .LBB33_1459
.LBB33_1560:
	s_mov_b64 s[0:1], -1
                                        ; implicit-def: $vgpr2
	s_mov_b64 s[20:21], 0
.LBB33_1561:
	s_and_b64 vcc, exec, s[18:19]
	s_cbranch_vccz .LBB33_1564
; %bb.1562:
	v_mov_b32_e32 v2, 44
	v_cmp_eq_u16_sdwa s[0:1], v7, v2 src0_sel:BYTE_0 src1_sel:DWORD
	s_and_b64 vcc, exec, s[0:1]
	s_cbranch_vccz .LBB33_1565
; %bb.1563:
	global_load_ubyte v2, v[0:1], off
	s_movk_i32 s15, 0xff
	v_mov_b32_e32 v3, 0x7f800001
	v_mov_b32_e32 v9, 0x400000
	s_mov_b64 s[0:1], 0
	s_mov_b64 s[20:21], -1
	s_waitcnt vmcnt(0)
	v_lshlrev_b32_e32 v10, 23, v2
	v_cmp_ne_u32_e32 vcc, s15, v2
	v_cndmask_b32_e32 v3, v3, v10, vcc
	v_cmp_ne_u32_e32 vcc, 0, v2
	v_cndmask_b32_e32 v2, v9, v3, vcc
.LBB33_1564:
	s_branch .LBB33_1569
.LBB33_1565:
	s_mov_b64 s[0:1], -1
                                        ; implicit-def: $vgpr2
	s_branch .LBB33_1569
.LBB33_1566:
	v_mov_b32_e32 v2, 29
	v_cmp_eq_u16_sdwa s[0:1], v7, v2 src0_sel:BYTE_0 src1_sel:DWORD
	s_and_b64 vcc, exec, s[0:1]
	s_cbranch_vccz .LBB33_1568
; %bb.1567:
	global_load_dwordx2 v[2:3], v[0:1], off
	s_mov_b64 s[0:1], 0
	s_mov_b64 s[20:21], -1
	s_mov_b64 s[18:19], 0
	s_waitcnt vmcnt(0)
	v_ffbh_u32_e32 v9, v3
	v_min_u32_e32 v9, 32, v9
	v_lshlrev_b64 v[2:3], v9, v[2:3]
	v_min_u32_e32 v2, 1, v2
	v_or_b32_e32 v2, v3, v2
	v_cvt_f32_u32_e32 v2, v2
	v_sub_u32_e32 v3, 32, v9
	v_ldexp_f32 v2, v2, v3
	s_branch .LBB33_1570
.LBB33_1568:
	s_mov_b64 s[0:1], -1
                                        ; implicit-def: $vgpr2
.LBB33_1569:
	s_mov_b64 s[18:19], 0
.LBB33_1570:
	s_and_b64 vcc, exec, s[18:19]
	s_cbranch_vccz .LBB33_1588
; %bb.1571:
	v_mov_b32_e32 v2, 27
	v_cmp_lt_i16_sdwa s[18:19], v7, v2 src0_sel:BYTE_0 src1_sel:DWORD
	s_and_b64 vcc, exec, s[18:19]
	s_cbranch_vccnz .LBB33_1574
; %bb.1572:
	v_cmp_gt_i16_sdwa s[18:19], v7, v2 src0_sel:BYTE_0 src1_sel:DWORD
	s_and_b64 vcc, exec, s[18:19]
	s_cbranch_vccz .LBB33_1575
; %bb.1573:
	global_load_dword v2, v[0:1], off
	s_mov_b64 s[18:19], 0
	s_waitcnt vmcnt(0)
	v_cvt_f32_u32_e32 v2, v2
	s_branch .LBB33_1576
.LBB33_1574:
	s_mov_b64 s[18:19], -1
                                        ; implicit-def: $vgpr2
	s_branch .LBB33_1579
.LBB33_1575:
	s_mov_b64 s[18:19], -1
                                        ; implicit-def: $vgpr2
.LBB33_1576:
	s_andn2_b64 vcc, exec, s[18:19]
	s_cbranch_vccnz .LBB33_1578
; %bb.1577:
	global_load_ushort v2, v[0:1], off
	s_waitcnt vmcnt(0)
	v_cvt_f32_u32_e32 v2, v2
.LBB33_1578:
	s_mov_b64 s[18:19], 0
.LBB33_1579:
	s_andn2_b64 vcc, exec, s[18:19]
	s_cbranch_vccnz .LBB33_1587
; %bb.1580:
	global_load_ubyte v3, v[0:1], off
	s_movk_i32 s15, 0x7f
	s_mov_b64 s[18:19], 0
	s_waitcnt vmcnt(0)
	v_cmp_lt_i16_e32 vcc, s15, v3
                                        ; implicit-def: $sgpr15
	s_and_saveexec_b64 s[20:21], vcc
	s_xor_b64 s[20:21], exec, s[20:21]
	s_cbranch_execz .LBB33_1600
; %bb.1581:
	s_movk_i32 s15, 0x80
	v_cmp_eq_u16_e32 vcc, s15, v3
	s_mov_b64 s[18:19], -1
                                        ; implicit-def: $sgpr15
	s_and_saveexec_b64 s[22:23], vcc
; %bb.1582:
	s_mov_b32 s15, 0x7f800001
	s_xor_b64 s[18:19], exec, -1
; %bb.1583:
	s_or_b64 exec, exec, s[22:23]
	s_and_b64 s[18:19], s[18:19], exec
	s_or_saveexec_b64 s[20:21], s[20:21]
	v_mov_b32_e32 v2, s15
	s_xor_b64 exec, exec, s[20:21]
	s_cbranch_execnz .LBB33_1601
.LBB33_1584:
	s_or_b64 exec, exec, s[20:21]
	s_and_saveexec_b64 s[20:21], s[18:19]
	s_cbranch_execz .LBB33_1586
.LBB33_1585:
	v_lshlrev_b32_e32 v2, 24, v3
	v_and_b32_e32 v3, 0xffff, v3
	v_and_b32_e32 v9, 7, v3
	v_ffbh_u32_e32 v11, v9
	v_min_u32_e32 v11, 32, v11
	v_subrev_u32_e32 v12, 28, v11
	v_bfe_u32 v10, v3, 3, 4
	v_lshlrev_b32_e32 v3, v12, v3
	v_sub_u32_e32 v11, 29, v11
	v_and_b32_e32 v3, 7, v3
	v_cmp_eq_u32_e32 vcc, 0, v10
	v_cndmask_b32_e32 v10, v10, v11, vcc
	v_cndmask_b32_e32 v3, v9, v3, vcc
	v_mov_b32_e32 v9, 0x3b800000
	v_lshlrev_b32_e32 v3, 20, v3
	v_and_b32_e32 v2, 0x80000000, v2
	v_lshl_add_u32 v9, v10, 23, v9
	v_or3_b32 v2, v2, v9, v3
.LBB33_1586:
	s_or_b64 exec, exec, s[20:21]
.LBB33_1587:
	s_mov_b64 s[20:21], -1
.LBB33_1588:
	s_branch .LBB33_1620
.LBB33_1589:
	v_mov_b32_e32 v2, 22
	v_cmp_gt_i16_sdwa s[16:17], v7, v2 src0_sel:BYTE_0 src1_sel:DWORD
	s_and_b64 vcc, exec, s[16:17]
	s_cbranch_vccz .LBB33_1599
; %bb.1590:
	v_mov_b32_e32 v2, 24
	v_cmp_lt_i16_sdwa s[16:17], v7, v2 src0_sel:BYTE_0 src1_sel:DWORD
	s_and_b64 vcc, exec, s[16:17]
	s_cbranch_vccnz .LBB33_1602
; %bb.1591:
	v_cmp_gt_i16_sdwa s[16:17], v7, v2 src0_sel:BYTE_0 src1_sel:DWORD
	s_and_b64 vcc, exec, s[16:17]
	s_cbranch_vccz .LBB33_1603
; %bb.1592:
	global_load_ubyte v3, v[0:1], off
	s_movk_i32 s15, 0x7f
	s_mov_b64 s[16:17], 0
	s_waitcnt vmcnt(0)
	v_cmp_lt_i16_e32 vcc, s15, v3
                                        ; implicit-def: $sgpr15
	s_and_saveexec_b64 s[18:19], vcc
	s_xor_b64 s[18:19], exec, s[18:19]
	s_cbranch_execz .LBB33_1614
; %bb.1593:
	s_movk_i32 s15, 0x80
	v_cmp_eq_u16_e32 vcc, s15, v3
	s_mov_b64 s[16:17], -1
                                        ; implicit-def: $sgpr15
	s_and_saveexec_b64 s[20:21], vcc
; %bb.1594:
	s_mov_b32 s15, 0x7f800001
	s_xor_b64 s[16:17], exec, -1
; %bb.1595:
	s_or_b64 exec, exec, s[20:21]
	s_and_b64 s[16:17], s[16:17], exec
	s_or_saveexec_b64 s[18:19], s[18:19]
	v_mov_b32_e32 v2, s15
	s_xor_b64 exec, exec, s[18:19]
	s_cbranch_execnz .LBB33_1615
.LBB33_1596:
	s_or_b64 exec, exec, s[18:19]
	s_and_saveexec_b64 s[18:19], s[16:17]
	s_cbranch_execz .LBB33_1598
.LBB33_1597:
	v_lshlrev_b32_e32 v2, 24, v3
	v_and_b32_e32 v3, 0xffff, v3
	v_and_b32_e32 v9, 3, v3
	v_ffbh_u32_e32 v11, v9
	v_min_u32_e32 v11, 32, v11
	v_subrev_u32_e32 v12, 29, v11
	v_bfe_u32 v10, v3, 2, 5
	v_lshlrev_b32_e32 v3, v12, v3
	v_sub_u32_e32 v11, 30, v11
	v_and_b32_e32 v3, 3, v3
	v_cmp_eq_u32_e32 vcc, 0, v10
	v_cndmask_b32_e32 v10, v10, v11, vcc
	v_cndmask_b32_e32 v3, v9, v3, vcc
	v_mov_b32_e32 v9, 0x37800000
	v_lshlrev_b32_e32 v3, 21, v3
	v_and_b32_e32 v2, 0x80000000, v2
	v_lshl_add_u32 v9, v10, 23, v9
	v_or3_b32 v2, v2, v9, v3
.LBB33_1598:
	s_or_b64 exec, exec, s[18:19]
	s_mov_b64 s[16:17], 0
	s_branch .LBB33_1604
.LBB33_1599:
                                        ; implicit-def: $vgpr2
	s_mov_b64 s[16:17], 0
	s_branch .LBB33_1610
.LBB33_1600:
	s_or_saveexec_b64 s[20:21], s[20:21]
	v_mov_b32_e32 v2, s15
	s_xor_b64 exec, exec, s[20:21]
	s_cbranch_execz .LBB33_1584
.LBB33_1601:
	v_cmp_ne_u16_e32 vcc, 0, v3
	s_andn2_b64 s[18:19], s[18:19], exec
	s_and_b64 s[22:23], vcc, exec
	v_mov_b32_e32 v2, 0
	s_or_b64 s[18:19], s[18:19], s[22:23]
	s_or_b64 exec, exec, s[20:21]
	s_and_saveexec_b64 s[20:21], s[18:19]
	s_cbranch_execnz .LBB33_1585
	s_branch .LBB33_1586
.LBB33_1602:
	s_mov_b64 s[16:17], -1
                                        ; implicit-def: $vgpr2
	s_branch .LBB33_1607
.LBB33_1603:
	s_mov_b64 s[16:17], -1
                                        ; implicit-def: $vgpr2
.LBB33_1604:
	s_and_b64 vcc, exec, s[16:17]
	s_cbranch_vccz .LBB33_1606
; %bb.1605:
	global_load_ubyte v2, v[0:1], off
	s_mov_b32 s15, 0x7f800000
	s_waitcnt vmcnt(0)
	v_lshlrev_b32_e32 v2, 24, v2
	v_and_b32_e32 v3, 0x7f000000, v2
	v_ffbh_u32_e32 v9, v3
	v_min_u32_e32 v9, 32, v9
	v_sub_u32_e64 v9, v9, 4 clamp
	v_lshlrev_b32_e32 v11, v9, v3
	v_lshlrev_b32_e32 v9, 23, v9
	v_lshrrev_b32_e32 v11, 4, v11
	v_add_u32_e32 v10, 0x1000000, v3
	v_sub_u32_e32 v9, v11, v9
	v_ashrrev_i32_e32 v10, 8, v10
	v_add_u32_e32 v9, 0x3c000000, v9
	v_and_or_b32 v9, v10, s15, v9
	v_cmp_ne_u32_e32 vcc, 0, v3
	v_cndmask_b32_e32 v3, 0, v9, vcc
	s_brev_b32 s15, 1
	v_and_or_b32 v2, v2, s15, v3
.LBB33_1606:
	s_mov_b64 s[16:17], 0
.LBB33_1607:
	s_andn2_b64 vcc, exec, s[16:17]
	s_cbranch_vccnz .LBB33_1609
; %bb.1608:
	global_load_ubyte v2, v[0:1], off
	s_movk_i32 s15, 0x7f00
	s_brev_b32 s16, 16
	s_waitcnt vmcnt(0)
	v_lshlrev_b16_e32 v3, 8, v2
	v_lshlrev_b32_e32 v2, 25, v2
	v_lshrrev_b32_e32 v9, 4, v2
	v_and_or_b32 v10, v3, s15, 0.5
	v_or_b32_e32 v9, 0x70000000, v9
	v_add_f32_e32 v10, -0.5, v10
	v_mul_f32_e32 v9, 0x7800000, v9
	v_cmp_gt_u32_e32 vcc, s16, v2
	v_bfe_i32 v3, v3, 0, 16
	v_cndmask_b32_e32 v2, v9, v10, vcc
	s_brev_b32 s15, 1
	v_and_or_b32 v2, v3, s15, v2
.LBB33_1609:
	s_mov_b64 s[20:21], -1
	s_mov_b64 s[16:17], 0
	s_cbranch_execnz .LBB33_1620
.LBB33_1610:
	v_mov_b32_e32 v2, 14
	v_cmp_gt_i16_sdwa s[16:17], v7, v2 src0_sel:BYTE_0 src1_sel:DWORD
	s_and_b64 vcc, exec, s[16:17]
	s_cbranch_vccz .LBB33_1613
; %bb.1611:
	v_mov_b32_e32 v2, 15
	v_cmp_eq_u16_sdwa s[0:1], v7, v2 src0_sel:BYTE_0 src1_sel:DWORD
	s_and_b64 vcc, exec, s[0:1]
	s_cbranch_vccz .LBB33_1616
; %bb.1612:
	global_load_ushort v2, v[0:1], off
	s_mov_b64 s[0:1], 0
	s_mov_b64 s[20:21], -1
	s_waitcnt vmcnt(0)
	v_lshlrev_b32_e32 v2, 16, v2
	s_branch .LBB33_1617
.LBB33_1613:
	s_mov_b64 s[18:19], -1
                                        ; implicit-def: $vgpr2
	s_branch .LBB33_1618
.LBB33_1614:
	s_or_saveexec_b64 s[18:19], s[18:19]
	v_mov_b32_e32 v2, s15
	s_xor_b64 exec, exec, s[18:19]
	s_cbranch_execz .LBB33_1596
.LBB33_1615:
	v_cmp_ne_u16_e32 vcc, 0, v3
	s_andn2_b64 s[16:17], s[16:17], exec
	s_and_b64 s[20:21], vcc, exec
	v_mov_b32_e32 v2, 0
	s_or_b64 s[16:17], s[16:17], s[20:21]
	s_or_b64 exec, exec, s[18:19]
	s_and_saveexec_b64 s[18:19], s[16:17]
	s_cbranch_execnz .LBB33_1597
	s_branch .LBB33_1598
.LBB33_1616:
	s_mov_b64 s[0:1], -1
                                        ; implicit-def: $vgpr2
.LBB33_1617:
	s_mov_b64 s[18:19], 0
.LBB33_1618:
	s_mov_b64 s[16:17], 0
	s_and_b64 vcc, exec, s[18:19]
	s_cbranch_vccz .LBB33_1620
; %bb.1619:
	v_mov_b32_e32 v2, 11
	v_cmp_ne_u16_sdwa s[0:1], v7, v2 src0_sel:BYTE_0 src1_sel:DWORD
	s_mov_b64 s[16:17], -1
                                        ; implicit-def: $vgpr2
.LBB33_1620:
	s_and_b64 vcc, exec, s[0:1]
	s_mov_b64 s[18:19], s[6:7]
	s_cbranch_vccnz .LBB33_1681
; %bb.1621:
	s_andn2_b64 vcc, exec, s[16:17]
	s_cbranch_vccnz .LBB33_1623
.LBB33_1622:
	global_load_ubyte v2, v[0:1], off
	s_mov_b64 s[20:21], -1
	s_waitcnt vmcnt(0)
	v_cmp_ne_u16_e32 vcc, 0, v2
	v_cndmask_b32_e64 v2, 0, 1.0, vcc
.LBB33_1623:
	s_branch .LBB33_1553
.LBB33_1624:
	v_mov_b32_e32 v2, 5
	v_cmp_lt_i16_sdwa s[0:1], v7, v2 src0_sel:BYTE_0 src1_sel:DWORD
	s_and_b64 vcc, exec, s[0:1]
	s_cbranch_vccnz .LBB33_1629
; %bb.1625:
	v_mov_b32_e32 v2, 8
	v_cmp_lt_i16_sdwa s[0:1], v7, v2 src0_sel:BYTE_0 src1_sel:DWORD
	s_and_b64 vcc, exec, s[0:1]
	s_cbranch_vccnz .LBB33_1630
; %bb.1626:
	;; [unrolled: 5-line block ×3, first 2 shown]
	v_cmp_gt_i16_sdwa s[0:1], v7, v2 src0_sel:BYTE_0 src1_sel:DWORD
	s_and_b64 vcc, exec, s[0:1]
	s_cbranch_vccz .LBB33_1632
; %bb.1628:
	global_load_dwordx2 v[2:3], v[0:1], off
	s_mov_b64 s[0:1], 0
	s_waitcnt vmcnt(0)
	v_cvt_f32_f64_e32 v2, v[2:3]
	s_branch .LBB33_1633
.LBB33_1629:
                                        ; implicit-def: $vgpr2
	s_branch .LBB33_1650
.LBB33_1630:
                                        ; implicit-def: $vgpr2
	s_branch .LBB33_1639
.LBB33_1631:
	s_mov_b64 s[0:1], -1
                                        ; implicit-def: $vgpr2
	s_branch .LBB33_1636
.LBB33_1632:
	s_mov_b64 s[0:1], -1
                                        ; implicit-def: $vgpr2
.LBB33_1633:
	s_andn2_b64 vcc, exec, s[0:1]
	s_cbranch_vccnz .LBB33_1635
; %bb.1634:
	global_load_dword v2, v[0:1], off
.LBB33_1635:
	s_mov_b64 s[0:1], 0
.LBB33_1636:
	s_andn2_b64 vcc, exec, s[0:1]
	s_cbranch_vccnz .LBB33_1638
; %bb.1637:
	global_load_dword v2, v[0:1], off
	s_waitcnt vmcnt(0)
	v_cvt_f32_f16_e32 v2, v2
.LBB33_1638:
	s_cbranch_execnz .LBB33_1649
.LBB33_1639:
	s_waitcnt vmcnt(0)
	v_mov_b32_e32 v2, 6
	v_cmp_lt_i16_sdwa s[0:1], v7, v2 src0_sel:BYTE_0 src1_sel:DWORD
	s_and_b64 vcc, exec, s[0:1]
	s_cbranch_vccnz .LBB33_1642
; %bb.1640:
	v_cmp_gt_i16_sdwa s[0:1], v7, v2 src0_sel:BYTE_0 src1_sel:DWORD
	s_and_b64 vcc, exec, s[0:1]
	s_cbranch_vccz .LBB33_1643
; %bb.1641:
	global_load_dwordx2 v[2:3], v[0:1], off
	s_mov_b64 s[0:1], 0
	s_waitcnt vmcnt(0)
	v_cvt_f32_f64_e32 v2, v[2:3]
	s_branch .LBB33_1644
.LBB33_1642:
	s_mov_b64 s[0:1], -1
                                        ; implicit-def: $vgpr2
	s_branch .LBB33_1647
.LBB33_1643:
	s_mov_b64 s[0:1], -1
                                        ; implicit-def: $vgpr2
.LBB33_1644:
	s_andn2_b64 vcc, exec, s[0:1]
	s_cbranch_vccnz .LBB33_1646
; %bb.1645:
	global_load_dword v2, v[0:1], off
.LBB33_1646:
	s_mov_b64 s[0:1], 0
.LBB33_1647:
	s_andn2_b64 vcc, exec, s[0:1]
	s_cbranch_vccnz .LBB33_1649
; %bb.1648:
	global_load_ushort v2, v[0:1], off
	s_waitcnt vmcnt(0)
	v_cvt_f32_f16_e32 v2, v2
.LBB33_1649:
	s_cbranch_execnz .LBB33_1668
.LBB33_1650:
	s_waitcnt vmcnt(0)
	v_mov_b32_e32 v2, 2
	v_cmp_lt_i16_sdwa s[0:1], v7, v2 src0_sel:BYTE_0 src1_sel:DWORD
	s_and_b64 vcc, exec, s[0:1]
	s_cbranch_vccnz .LBB33_1654
; %bb.1651:
	v_mov_b32_e32 v2, 3
	v_cmp_lt_i16_sdwa s[0:1], v7, v2 src0_sel:BYTE_0 src1_sel:DWORD
	s_and_b64 vcc, exec, s[0:1]
	s_cbranch_vccnz .LBB33_1655
; %bb.1652:
	v_cmp_gt_i16_sdwa s[0:1], v7, v2 src0_sel:BYTE_0 src1_sel:DWORD
	s_and_b64 vcc, exec, s[0:1]
	s_cbranch_vccz .LBB33_1656
; %bb.1653:
	global_load_dwordx2 v[2:3], v[0:1], off
	s_mov_b64 s[0:1], 0
	s_waitcnt vmcnt(0)
	v_xor_b32_e32 v10, v2, v3
	v_ffbh_i32_e32 v9, v3
	v_ashrrev_i32_e32 v10, 31, v10
	v_add_u32_e32 v9, -1, v9
	v_add_u32_e32 v10, 32, v10
	v_min_u32_e32 v9, v9, v10
	v_lshlrev_b64 v[2:3], v9, v[2:3]
	v_min_u32_e32 v2, 1, v2
	v_or_b32_e32 v2, v3, v2
	v_cvt_f32_i32_e32 v2, v2
	v_sub_u32_e32 v3, 32, v9
	v_ldexp_f32 v2, v2, v3
	s_branch .LBB33_1657
.LBB33_1654:
                                        ; implicit-def: $vgpr2
	s_branch .LBB33_1663
.LBB33_1655:
	s_mov_b64 s[0:1], -1
                                        ; implicit-def: $vgpr2
	s_branch .LBB33_1660
.LBB33_1656:
	s_mov_b64 s[0:1], -1
                                        ; implicit-def: $vgpr2
.LBB33_1657:
	s_andn2_b64 vcc, exec, s[0:1]
	s_cbranch_vccnz .LBB33_1659
; %bb.1658:
	global_load_dword v2, v[0:1], off
	s_waitcnt vmcnt(0)
	v_cvt_f32_i32_e32 v2, v2
.LBB33_1659:
	s_mov_b64 s[0:1], 0
.LBB33_1660:
	s_andn2_b64 vcc, exec, s[0:1]
	s_cbranch_vccnz .LBB33_1662
; %bb.1661:
	global_load_sshort v2, v[0:1], off
	s_waitcnt vmcnt(0)
	v_cvt_f32_i32_e32 v2, v2
.LBB33_1662:
	s_cbranch_execnz .LBB33_1668
.LBB33_1663:
	v_mov_b32_e32 v2, 0
	v_cmp_gt_i16_sdwa s[0:1], v7, v2 src0_sel:BYTE_0 src1_sel:DWORD
	s_and_b64 vcc, exec, s[0:1]
	s_cbranch_vccz .LBB33_1665
; %bb.1664:
	global_load_sbyte v2, v[0:1], off
	s_mov_b64 s[0:1], 0
	s_waitcnt vmcnt(0)
	v_cvt_f32_i32_e32 v2, v2
	s_branch .LBB33_1666
.LBB33_1665:
	s_mov_b64 s[0:1], -1
                                        ; implicit-def: $vgpr2
.LBB33_1666:
	s_andn2_b64 vcc, exec, s[0:1]
	s_cbranch_vccnz .LBB33_1668
; %bb.1667:
	global_load_ubyte v0, v[0:1], off
	s_waitcnt vmcnt(0)
	v_cvt_f32_ubyte0_e32 v2, v0
.LBB33_1668:
.LBB33_1669:
	v_mul_lo_u32 v9, s14, v5
	v_ashrrev_i32_e32 v1, 31, v9
	v_mov_b32_e32 v3, s3
	v_add_co_u32_e32 v0, vcc, s2, v9
	v_addc_co_u32_e32 v1, vcc, v3, v1, vcc
	v_mov_b32_e32 v3, 11
	v_cmp_lt_i16_sdwa s[0:1], v6, v3 src0_sel:BYTE_0 src1_sel:DWORD
	s_and_b64 vcc, exec, s[0:1]
	s_cbranch_vccnz .LBB33_1676
; %bb.1670:
	v_mov_b32_e32 v3, 25
	v_cmp_gt_i16_sdwa s[0:1], v6, v3 src0_sel:BYTE_0 src1_sel:DWORD
	s_mov_b64 s[16:17], 0
	s_and_b64 vcc, exec, s[0:1]
	s_cbranch_vccz .LBB33_1678
; %bb.1671:
	v_mov_b32_e32 v3, 28
	v_cmp_gt_i16_sdwa s[0:1], v6, v3 src0_sel:BYTE_0 src1_sel:DWORD
	s_and_b64 vcc, exec, s[0:1]
	s_cbranch_vccz .LBB33_1679
; %bb.1672:
	v_mov_b32_e32 v3, 43
	v_cmp_gt_i16_sdwa s[0:1], v6, v3 src0_sel:BYTE_0 src1_sel:DWORD
	;; [unrolled: 5-line block ×3, first 2 shown]
	s_and_b64 vcc, exec, s[0:1]
	s_cbranch_vccz .LBB33_1682
; %bb.1674:
	v_mov_b32_e32 v3, 46
	v_cmp_eq_u16_sdwa s[0:1], v6, v3 src0_sel:BYTE_0 src1_sel:DWORD
	s_mov_b64 s[22:23], 0
	s_and_b64 vcc, exec, s[0:1]
	s_cbranch_vccz .LBB33_1685
; %bb.1675:
	global_load_dword v3, v[0:1], off
	s_mov_b64 s[0:1], 0
	s_mov_b64 s[20:21], -1
	s_waitcnt vmcnt(0)
	v_lshlrev_b32_e32 v3, 16, v3
	s_branch .LBB33_1686
.LBB33_1676:
	s_mov_b64 s[20:21], 0
                                        ; implicit-def: $vgpr3
	s_cbranch_execnz .LBB33_1751
.LBB33_1677:
	s_andn2_b64 vcc, exec, s[20:21]
	s_cbranch_vccnz .LBB33_3032
	s_branch .LBB33_1798
.LBB33_1678:
	s_mov_b64 s[20:21], 0
	s_mov_b64 s[0:1], 0
                                        ; implicit-def: $vgpr3
	s_cbranch_execnz .LBB33_1715
	s_branch .LBB33_1747
.LBB33_1679:
	s_mov_b64 s[22:23], -1
	s_mov_b64 s[20:21], 0
	s_mov_b64 s[0:1], 0
                                        ; implicit-def: $vgpr3
	s_branch .LBB33_1696
.LBB33_1680:
	s_mov_b64 s[22:23], -1
	s_mov_b64 s[20:21], 0
	s_mov_b64 s[0:1], 0
                                        ; implicit-def: $vgpr3
	s_branch .LBB33_1691
.LBB33_1681:
	s_or_b64 s[18:19], s[6:7], exec
	s_trap 2
                                        ; implicit-def: $vgpr2
	s_cbranch_execz .LBB33_1622
	s_branch .LBB33_1623
.LBB33_1682:
	s_mov_b64 s[22:23], -1
	s_mov_b64 s[20:21], 0
	s_mov_b64 s[0:1], 0
                                        ; implicit-def: $vgpr3
	s_branch .LBB33_1686
.LBB33_1683:
	s_or_saveexec_b64 s[28:29], s[28:29]
                                        ; implicit-def: $sgpr15
	s_xor_b64 exec, exec, s[28:29]
	s_cbranch_execz .LBB33_1469
.LBB33_1684:
	s_mov_b32 s15, 0x42800000
	v_add_f32_e64 v3, |v2|, s15
	v_and_b32_e32 v3, 0xff, v3
	v_cmp_ne_u32_e32 vcc, 0, v3
	s_andn2_b64 s[26:27], s[26:27], exec
	s_and_b64 s[30:31], vcc, exec
	s_mov_b32 s15, 0
	s_or_b64 s[26:27], s[26:27], s[30:31]
	s_or_b64 exec, exec, s[28:29]
	v_mov_b32_e32 v4, s15
	s_and_saveexec_b64 s[28:29], s[26:27]
	s_cbranch_execnz .LBB33_1470
	s_branch .LBB33_1471
.LBB33_1685:
	s_mov_b64 s[0:1], -1
                                        ; implicit-def: $vgpr3
	s_mov_b64 s[20:21], 0
.LBB33_1686:
	s_and_b64 vcc, exec, s[22:23]
	s_cbranch_vccz .LBB33_1690
; %bb.1687:
	v_mov_b32_e32 v3, 44
	v_cmp_eq_u16_sdwa s[0:1], v6, v3 src0_sel:BYTE_0 src1_sel:DWORD
	s_and_b64 vcc, exec, s[0:1]
	s_cbranch_vccz .LBB33_1689
; %bb.1688:
	global_load_ubyte v3, v[0:1], off
	s_movk_i32 s15, 0xff
	v_mov_b32_e32 v10, 0x7f800001
	v_mov_b32_e32 v11, 0x400000
	s_mov_b64 s[0:1], 0
	s_mov_b64 s[20:21], -1
	s_waitcnt vmcnt(0)
	v_lshlrev_b32_e32 v12, 23, v3
	v_cmp_ne_u32_e32 vcc, s15, v3
	v_cndmask_b32_e32 v10, v10, v12, vcc
	v_cmp_ne_u32_e32 vcc, 0, v3
	v_cndmask_b32_e32 v3, v11, v10, vcc
	s_branch .LBB33_1690
.LBB33_1689:
	s_mov_b64 s[0:1], -1
                                        ; implicit-def: $vgpr3
.LBB33_1690:
	s_mov_b64 s[22:23], 0
.LBB33_1691:
	s_and_b64 vcc, exec, s[22:23]
	s_cbranch_vccz .LBB33_1695
; %bb.1692:
	v_mov_b32_e32 v3, 29
	v_cmp_eq_u16_sdwa s[0:1], v6, v3 src0_sel:BYTE_0 src1_sel:DWORD
	s_and_b64 vcc, exec, s[0:1]
	s_cbranch_vccz .LBB33_1694
; %bb.1693:
	global_load_dwordx2 v[10:11], v[0:1], off
	s_mov_b64 s[0:1], 0
	s_mov_b64 s[20:21], -1
	s_mov_b64 s[22:23], 0
	s_waitcnt vmcnt(0)
	v_ffbh_u32_e32 v3, v11
	v_min_u32_e32 v3, 32, v3
	v_lshlrev_b64 v[10:11], v3, v[10:11]
	v_min_u32_e32 v10, 1, v10
	v_or_b32_e32 v10, v11, v10
	v_cvt_f32_u32_e32 v10, v10
	v_sub_u32_e32 v3, 32, v3
	v_ldexp_f32 v3, v10, v3
	s_branch .LBB33_1696
.LBB33_1694:
	s_mov_b64 s[0:1], -1
                                        ; implicit-def: $vgpr3
.LBB33_1695:
	s_mov_b64 s[22:23], 0
.LBB33_1696:
	s_and_b64 vcc, exec, s[22:23]
	s_cbranch_vccz .LBB33_1714
; %bb.1697:
	v_mov_b32_e32 v3, 27
	v_cmp_lt_i16_sdwa s[20:21], v6, v3 src0_sel:BYTE_0 src1_sel:DWORD
	s_and_b64 vcc, exec, s[20:21]
	s_cbranch_vccnz .LBB33_1700
; %bb.1698:
	v_cmp_gt_i16_sdwa s[20:21], v6, v3 src0_sel:BYTE_0 src1_sel:DWORD
	s_and_b64 vcc, exec, s[20:21]
	s_cbranch_vccz .LBB33_1701
; %bb.1699:
	global_load_dword v3, v[0:1], off
	s_mov_b64 s[20:21], 0
	s_waitcnt vmcnt(0)
	v_cvt_f32_u32_e32 v3, v3
	s_branch .LBB33_1702
.LBB33_1700:
	s_mov_b64 s[20:21], -1
                                        ; implicit-def: $vgpr3
	s_branch .LBB33_1705
.LBB33_1701:
	s_mov_b64 s[20:21], -1
                                        ; implicit-def: $vgpr3
.LBB33_1702:
	s_andn2_b64 vcc, exec, s[20:21]
	s_cbranch_vccnz .LBB33_1704
; %bb.1703:
	global_load_ushort v3, v[0:1], off
	s_waitcnt vmcnt(0)
	v_cvt_f32_u32_e32 v3, v3
.LBB33_1704:
	s_mov_b64 s[20:21], 0
.LBB33_1705:
	s_andn2_b64 vcc, exec, s[20:21]
	s_cbranch_vccnz .LBB33_1713
; %bb.1706:
	global_load_ubyte v10, v[0:1], off
	s_movk_i32 s15, 0x7f
	s_mov_b64 s[20:21], 0
	s_waitcnt vmcnt(0)
	v_cmp_lt_i16_e32 vcc, s15, v10
                                        ; implicit-def: $sgpr15
	s_and_saveexec_b64 s[22:23], vcc
	s_xor_b64 s[22:23], exec, s[22:23]
	s_cbranch_execz .LBB33_1726
; %bb.1707:
	s_movk_i32 s15, 0x80
	v_cmp_eq_u16_e32 vcc, s15, v10
	s_mov_b64 s[20:21], -1
                                        ; implicit-def: $sgpr15
	s_and_saveexec_b64 s[24:25], vcc
; %bb.1708:
	s_mov_b32 s15, 0x7f800001
	s_xor_b64 s[20:21], exec, -1
; %bb.1709:
	s_or_b64 exec, exec, s[24:25]
	s_and_b64 s[20:21], s[20:21], exec
	s_or_saveexec_b64 s[22:23], s[22:23]
	v_mov_b32_e32 v3, s15
	s_xor_b64 exec, exec, s[22:23]
	s_cbranch_execnz .LBB33_1727
.LBB33_1710:
	s_or_b64 exec, exec, s[22:23]
	s_and_saveexec_b64 s[22:23], s[20:21]
	s_cbranch_execz .LBB33_1712
.LBB33_1711:
	v_lshlrev_b32_e32 v3, 24, v10
	v_and_b32_e32 v10, 0xffff, v10
	v_and_b32_e32 v11, 7, v10
	v_ffbh_u32_e32 v13, v11
	v_min_u32_e32 v13, 32, v13
	v_subrev_u32_e32 v14, 28, v13
	v_bfe_u32 v12, v10, 3, 4
	v_lshlrev_b32_e32 v10, v14, v10
	v_sub_u32_e32 v13, 29, v13
	v_and_b32_e32 v10, 7, v10
	v_cmp_eq_u32_e32 vcc, 0, v12
	v_cndmask_b32_e32 v12, v12, v13, vcc
	v_cndmask_b32_e32 v10, v11, v10, vcc
	v_mov_b32_e32 v11, 0x3b800000
	v_lshlrev_b32_e32 v10, 20, v10
	v_and_b32_e32 v3, 0x80000000, v3
	v_lshl_add_u32 v11, v12, 23, v11
	v_or3_b32 v3, v3, v11, v10
.LBB33_1712:
	s_or_b64 exec, exec, s[22:23]
.LBB33_1713:
	s_mov_b64 s[20:21], -1
.LBB33_1714:
	s_branch .LBB33_1747
.LBB33_1715:
	v_mov_b32_e32 v3, 22
	v_cmp_gt_i16_sdwa s[16:17], v6, v3 src0_sel:BYTE_0 src1_sel:DWORD
	s_and_b64 vcc, exec, s[16:17]
	s_cbranch_vccz .LBB33_1725
; %bb.1716:
	v_mov_b32_e32 v3, 24
	v_cmp_lt_i16_sdwa s[16:17], v6, v3 src0_sel:BYTE_0 src1_sel:DWORD
	s_and_b64 vcc, exec, s[16:17]
	s_cbranch_vccnz .LBB33_1728
; %bb.1717:
	v_cmp_gt_i16_sdwa s[16:17], v6, v3 src0_sel:BYTE_0 src1_sel:DWORD
	s_and_b64 vcc, exec, s[16:17]
	s_cbranch_vccz .LBB33_1729
; %bb.1718:
	global_load_ubyte v10, v[0:1], off
	s_movk_i32 s15, 0x7f
	s_mov_b64 s[16:17], 0
	s_waitcnt vmcnt(0)
	v_cmp_lt_i16_e32 vcc, s15, v10
                                        ; implicit-def: $sgpr15
	s_and_saveexec_b64 s[20:21], vcc
	s_xor_b64 s[20:21], exec, s[20:21]
	s_cbranch_execz .LBB33_1741
; %bb.1719:
	s_movk_i32 s15, 0x80
	v_cmp_eq_u16_e32 vcc, s15, v10
	s_mov_b64 s[16:17], -1
                                        ; implicit-def: $sgpr15
	s_and_saveexec_b64 s[22:23], vcc
; %bb.1720:
	s_mov_b32 s15, 0x7f800001
	s_xor_b64 s[16:17], exec, -1
; %bb.1721:
	s_or_b64 exec, exec, s[22:23]
	s_and_b64 s[16:17], s[16:17], exec
	s_or_saveexec_b64 s[20:21], s[20:21]
	v_mov_b32_e32 v3, s15
	s_xor_b64 exec, exec, s[20:21]
	s_cbranch_execnz .LBB33_1742
.LBB33_1722:
	s_or_b64 exec, exec, s[20:21]
	s_and_saveexec_b64 s[20:21], s[16:17]
	s_cbranch_execz .LBB33_1724
.LBB33_1723:
	v_lshlrev_b32_e32 v3, 24, v10
	v_and_b32_e32 v10, 0xffff, v10
	v_and_b32_e32 v11, 3, v10
	v_ffbh_u32_e32 v13, v11
	v_min_u32_e32 v13, 32, v13
	v_subrev_u32_e32 v14, 29, v13
	v_bfe_u32 v12, v10, 2, 5
	v_lshlrev_b32_e32 v10, v14, v10
	v_sub_u32_e32 v13, 30, v13
	v_and_b32_e32 v10, 3, v10
	v_cmp_eq_u32_e32 vcc, 0, v12
	v_cndmask_b32_e32 v12, v12, v13, vcc
	v_cndmask_b32_e32 v10, v11, v10, vcc
	v_mov_b32_e32 v11, 0x37800000
	v_lshlrev_b32_e32 v10, 21, v10
	v_and_b32_e32 v3, 0x80000000, v3
	v_lshl_add_u32 v11, v12, 23, v11
	v_or3_b32 v3, v3, v11, v10
.LBB33_1724:
	s_or_b64 exec, exec, s[20:21]
	s_mov_b64 s[16:17], 0
	s_branch .LBB33_1730
.LBB33_1725:
	s_mov_b64 s[16:17], -1
                                        ; implicit-def: $vgpr3
	s_branch .LBB33_1736
.LBB33_1726:
	s_or_saveexec_b64 s[22:23], s[22:23]
	v_mov_b32_e32 v3, s15
	s_xor_b64 exec, exec, s[22:23]
	s_cbranch_execz .LBB33_1710
.LBB33_1727:
	v_cmp_ne_u16_e32 vcc, 0, v10
	s_andn2_b64 s[20:21], s[20:21], exec
	s_and_b64 s[24:25], vcc, exec
	v_mov_b32_e32 v3, 0
	s_or_b64 s[20:21], s[20:21], s[24:25]
	s_or_b64 exec, exec, s[22:23]
	s_and_saveexec_b64 s[22:23], s[20:21]
	s_cbranch_execnz .LBB33_1711
	s_branch .LBB33_1712
.LBB33_1728:
	s_mov_b64 s[16:17], -1
                                        ; implicit-def: $vgpr3
	s_branch .LBB33_1733
.LBB33_1729:
	s_mov_b64 s[16:17], -1
                                        ; implicit-def: $vgpr3
.LBB33_1730:
	s_and_b64 vcc, exec, s[16:17]
	s_cbranch_vccz .LBB33_1732
; %bb.1731:
	global_load_ubyte v3, v[0:1], off
	s_mov_b32 s15, 0x7f800000
	s_waitcnt vmcnt(0)
	v_lshlrev_b32_e32 v3, 24, v3
	v_and_b32_e32 v10, 0x7f000000, v3
	v_ffbh_u32_e32 v11, v10
	v_min_u32_e32 v11, 32, v11
	v_sub_u32_e64 v11, v11, 4 clamp
	v_lshlrev_b32_e32 v13, v11, v10
	v_lshlrev_b32_e32 v11, 23, v11
	v_lshrrev_b32_e32 v13, 4, v13
	v_add_u32_e32 v12, 0x1000000, v10
	v_sub_u32_e32 v11, v13, v11
	v_ashrrev_i32_e32 v12, 8, v12
	v_add_u32_e32 v11, 0x3c000000, v11
	v_and_or_b32 v11, v12, s15, v11
	v_cmp_ne_u32_e32 vcc, 0, v10
	v_cndmask_b32_e32 v10, 0, v11, vcc
	s_brev_b32 s15, 1
	v_and_or_b32 v3, v3, s15, v10
.LBB33_1732:
	s_mov_b64 s[16:17], 0
.LBB33_1733:
	s_andn2_b64 vcc, exec, s[16:17]
	s_cbranch_vccnz .LBB33_1735
; %bb.1734:
	global_load_ubyte v3, v[0:1], off
	s_movk_i32 s15, 0x7f00
	s_brev_b32 s16, 16
	s_waitcnt vmcnt(0)
	v_lshlrev_b16_e32 v10, 8, v3
	v_lshlrev_b32_e32 v3, 25, v3
	v_lshrrev_b32_e32 v11, 4, v3
	v_and_or_b32 v12, v10, s15, 0.5
	v_or_b32_e32 v11, 0x70000000, v11
	v_add_f32_e32 v12, -0.5, v12
	v_mul_f32_e32 v11, 0x7800000, v11
	v_cmp_gt_u32_e32 vcc, s16, v3
	v_bfe_i32 v10, v10, 0, 16
	v_cndmask_b32_e32 v3, v11, v12, vcc
	s_brev_b32 s15, 1
	v_and_or_b32 v3, v10, s15, v3
.LBB33_1735:
	s_mov_b64 s[16:17], 0
	s_mov_b64 s[20:21], -1
.LBB33_1736:
	s_andn2_b64 vcc, exec, s[16:17]
	s_mov_b64 s[16:17], 0
	s_cbranch_vccnz .LBB33_1747
; %bb.1737:
	v_mov_b32_e32 v3, 14
	v_cmp_gt_i16_sdwa s[16:17], v6, v3 src0_sel:BYTE_0 src1_sel:DWORD
	s_and_b64 vcc, exec, s[16:17]
	s_cbranch_vccz .LBB33_1740
; %bb.1738:
	v_mov_b32_e32 v3, 15
	v_cmp_eq_u16_sdwa s[0:1], v6, v3 src0_sel:BYTE_0 src1_sel:DWORD
	s_and_b64 vcc, exec, s[0:1]
	s_cbranch_vccz .LBB33_1743
; %bb.1739:
	global_load_ushort v3, v[0:1], off
	s_mov_b64 s[0:1], 0
	s_mov_b64 s[20:21], -1
	s_waitcnt vmcnt(0)
	v_lshlrev_b32_e32 v3, 16, v3
	s_branch .LBB33_1744
.LBB33_1740:
	s_mov_b64 s[22:23], -1
                                        ; implicit-def: $vgpr3
	s_branch .LBB33_1745
.LBB33_1741:
	s_or_saveexec_b64 s[20:21], s[20:21]
	v_mov_b32_e32 v3, s15
	s_xor_b64 exec, exec, s[20:21]
	s_cbranch_execz .LBB33_1722
.LBB33_1742:
	v_cmp_ne_u16_e32 vcc, 0, v10
	s_andn2_b64 s[16:17], s[16:17], exec
	s_and_b64 s[22:23], vcc, exec
	v_mov_b32_e32 v3, 0
	s_or_b64 s[16:17], s[16:17], s[22:23]
	s_or_b64 exec, exec, s[20:21]
	s_and_saveexec_b64 s[20:21], s[16:17]
	s_cbranch_execnz .LBB33_1723
	s_branch .LBB33_1724
.LBB33_1743:
	s_mov_b64 s[0:1], -1
                                        ; implicit-def: $vgpr3
.LBB33_1744:
	s_mov_b64 s[22:23], 0
.LBB33_1745:
	s_mov_b64 s[16:17], 0
	s_and_b64 vcc, exec, s[22:23]
	s_cbranch_vccz .LBB33_1747
; %bb.1746:
	v_mov_b32_e32 v3, 11
	v_cmp_ne_u16_sdwa s[0:1], v6, v3 src0_sel:BYTE_0 src1_sel:DWORD
	s_mov_b64 s[16:17], -1
                                        ; implicit-def: $vgpr3
.LBB33_1747:
	s_and_b64 vcc, exec, s[0:1]
	s_cbranch_vccnz .LBB33_1810
; %bb.1748:
	s_andn2_b64 vcc, exec, s[16:17]
	s_cbranch_vccnz .LBB33_1750
.LBB33_1749:
	global_load_ubyte v3, v[0:1], off
	s_mov_b64 s[20:21], -1
	s_waitcnt vmcnt(0)
	v_cmp_ne_u16_e32 vcc, 0, v3
	v_cndmask_b32_e64 v3, 0, 1.0, vcc
.LBB33_1750:
	s_branch .LBB33_1677
.LBB33_1751:
	v_mov_b32_e32 v3, 5
	v_cmp_lt_i16_sdwa s[0:1], v6, v3 src0_sel:BYTE_0 src1_sel:DWORD
	s_and_b64 vcc, exec, s[0:1]
	s_cbranch_vccnz .LBB33_1756
; %bb.1752:
	v_mov_b32_e32 v3, 8
	v_cmp_lt_i16_sdwa s[0:1], v6, v3 src0_sel:BYTE_0 src1_sel:DWORD
	s_and_b64 vcc, exec, s[0:1]
	s_cbranch_vccnz .LBB33_1757
; %bb.1753:
	v_mov_b32_e32 v3, 9
	v_cmp_lt_i16_sdwa s[0:1], v6, v3 src0_sel:BYTE_0 src1_sel:DWORD
	s_and_b64 vcc, exec, s[0:1]
	s_cbranch_vccnz .LBB33_1758
; %bb.1754:
	v_cmp_gt_i16_sdwa s[0:1], v6, v3 src0_sel:BYTE_0 src1_sel:DWORD
	s_and_b64 vcc, exec, s[0:1]
	s_cbranch_vccz .LBB33_1759
; %bb.1755:
	global_load_dwordx2 v[10:11], v[0:1], off
	s_mov_b64 s[0:1], 0
	s_waitcnt vmcnt(0)
	v_cvt_f32_f64_e32 v3, v[10:11]
	s_branch .LBB33_1760
.LBB33_1756:
                                        ; implicit-def: $vgpr3
	s_branch .LBB33_1778
.LBB33_1757:
	s_mov_b64 s[0:1], -1
                                        ; implicit-def: $vgpr3
	s_branch .LBB33_1766
.LBB33_1758:
	s_mov_b64 s[0:1], -1
                                        ; implicit-def: $vgpr3
	s_branch .LBB33_1763
.LBB33_1759:
	s_mov_b64 s[0:1], -1
                                        ; implicit-def: $vgpr3
.LBB33_1760:
	s_andn2_b64 vcc, exec, s[0:1]
	s_cbranch_vccnz .LBB33_1762
; %bb.1761:
	global_load_dword v3, v[0:1], off
.LBB33_1762:
	s_mov_b64 s[0:1], 0
.LBB33_1763:
	s_andn2_b64 vcc, exec, s[0:1]
	s_cbranch_vccnz .LBB33_1765
; %bb.1764:
	global_load_dword v3, v[0:1], off
	s_waitcnt vmcnt(0)
	v_cvt_f32_f16_e32 v3, v3
.LBB33_1765:
	s_mov_b64 s[0:1], 0
.LBB33_1766:
	s_andn2_b64 vcc, exec, s[0:1]
	s_cbranch_vccnz .LBB33_1777
; %bb.1767:
	s_waitcnt vmcnt(0)
	v_mov_b32_e32 v3, 6
	v_cmp_lt_i16_sdwa s[0:1], v6, v3 src0_sel:BYTE_0 src1_sel:DWORD
	s_and_b64 vcc, exec, s[0:1]
	s_cbranch_vccnz .LBB33_1770
; %bb.1768:
	v_cmp_gt_i16_sdwa s[0:1], v6, v3 src0_sel:BYTE_0 src1_sel:DWORD
	s_and_b64 vcc, exec, s[0:1]
	s_cbranch_vccz .LBB33_1771
; %bb.1769:
	global_load_dwordx2 v[10:11], v[0:1], off
	s_mov_b64 s[0:1], 0
	s_waitcnt vmcnt(0)
	v_cvt_f32_f64_e32 v3, v[10:11]
	s_branch .LBB33_1772
.LBB33_1770:
	s_mov_b64 s[0:1], -1
                                        ; implicit-def: $vgpr3
	s_branch .LBB33_1775
.LBB33_1771:
	s_mov_b64 s[0:1], -1
                                        ; implicit-def: $vgpr3
.LBB33_1772:
	s_andn2_b64 vcc, exec, s[0:1]
	s_cbranch_vccnz .LBB33_1774
; %bb.1773:
	global_load_dword v3, v[0:1], off
.LBB33_1774:
	s_mov_b64 s[0:1], 0
.LBB33_1775:
	s_andn2_b64 vcc, exec, s[0:1]
	s_cbranch_vccnz .LBB33_1777
; %bb.1776:
	global_load_ushort v3, v[0:1], off
	s_waitcnt vmcnt(0)
	v_cvt_f32_f16_e32 v3, v3
.LBB33_1777:
	s_cbranch_execnz .LBB33_1797
.LBB33_1778:
	s_waitcnt vmcnt(0)
	v_mov_b32_e32 v3, 2
	v_cmp_lt_i16_sdwa s[0:1], v6, v3 src0_sel:BYTE_0 src1_sel:DWORD
	s_and_b64 vcc, exec, s[0:1]
	s_cbranch_vccnz .LBB33_1782
; %bb.1779:
	v_mov_b32_e32 v3, 3
	v_cmp_lt_i16_sdwa s[0:1], v6, v3 src0_sel:BYTE_0 src1_sel:DWORD
	s_and_b64 vcc, exec, s[0:1]
	s_cbranch_vccnz .LBB33_1783
; %bb.1780:
	v_cmp_gt_i16_sdwa s[0:1], v6, v3 src0_sel:BYTE_0 src1_sel:DWORD
	s_and_b64 vcc, exec, s[0:1]
	s_cbranch_vccz .LBB33_1784
; %bb.1781:
	global_load_dwordx2 v[10:11], v[0:1], off
	s_mov_b64 s[0:1], 0
	s_waitcnt vmcnt(0)
	v_xor_b32_e32 v12, v10, v11
	v_ffbh_i32_e32 v3, v11
	v_ashrrev_i32_e32 v12, 31, v12
	v_add_u32_e32 v3, -1, v3
	v_add_u32_e32 v12, 32, v12
	v_min_u32_e32 v3, v3, v12
	v_lshlrev_b64 v[10:11], v3, v[10:11]
	v_min_u32_e32 v10, 1, v10
	v_or_b32_e32 v10, v11, v10
	v_cvt_f32_i32_e32 v10, v10
	v_sub_u32_e32 v3, 32, v3
	v_ldexp_f32 v3, v10, v3
	s_branch .LBB33_1785
.LBB33_1782:
	s_mov_b64 s[0:1], -1
                                        ; implicit-def: $vgpr3
	s_branch .LBB33_1791
.LBB33_1783:
	s_mov_b64 s[0:1], -1
                                        ; implicit-def: $vgpr3
	s_branch .LBB33_1788
.LBB33_1784:
	s_mov_b64 s[0:1], -1
                                        ; implicit-def: $vgpr3
.LBB33_1785:
	s_andn2_b64 vcc, exec, s[0:1]
	s_cbranch_vccnz .LBB33_1787
; %bb.1786:
	global_load_dword v3, v[0:1], off
	s_waitcnt vmcnt(0)
	v_cvt_f32_i32_e32 v3, v3
.LBB33_1787:
	s_mov_b64 s[0:1], 0
.LBB33_1788:
	s_andn2_b64 vcc, exec, s[0:1]
	s_cbranch_vccnz .LBB33_1790
; %bb.1789:
	global_load_sshort v3, v[0:1], off
	s_waitcnt vmcnt(0)
	v_cvt_f32_i32_e32 v3, v3
.LBB33_1790:
	s_mov_b64 s[0:1], 0
.LBB33_1791:
	s_andn2_b64 vcc, exec, s[0:1]
	s_cbranch_vccnz .LBB33_1797
; %bb.1792:
	v_mov_b32_e32 v3, 0
	v_cmp_gt_i16_sdwa s[0:1], v6, v3 src0_sel:BYTE_0 src1_sel:DWORD
	s_and_b64 vcc, exec, s[0:1]
	s_cbranch_vccz .LBB33_1794
; %bb.1793:
	global_load_sbyte v3, v[0:1], off
	s_mov_b64 s[0:1], 0
	s_waitcnt vmcnt(0)
	v_cvt_f32_i32_e32 v3, v3
	s_branch .LBB33_1795
.LBB33_1794:
	s_mov_b64 s[0:1], -1
                                        ; implicit-def: $vgpr3
.LBB33_1795:
	s_andn2_b64 vcc, exec, s[0:1]
	s_cbranch_vccnz .LBB33_1797
; %bb.1796:
	global_load_ubyte v0, v[0:1], off
	s_waitcnt vmcnt(0)
	v_cvt_f32_ubyte0_e32 v3, v0
.LBB33_1797:
.LBB33_1798:
	s_lshl_b32 s13, s13, 7
	v_add_u32_e32 v10, s13, v8
	v_ashrrev_i32_e32 v1, 31, v10
	v_mov_b32_e32 v8, s11
	v_add_co_u32_e32 v0, vcc, s10, v10
	v_addc_co_u32_e32 v1, vcc, v8, v1, vcc
	v_mov_b32_e32 v8, 11
	v_cmp_lt_i16_sdwa s[0:1], v7, v8 src0_sel:BYTE_0 src1_sel:DWORD
	s_and_b64 vcc, exec, s[0:1]
	s_cbranch_vccnz .LBB33_1805
; %bb.1799:
	v_mov_b32_e32 v8, 25
	v_cmp_gt_i16_sdwa s[0:1], v7, v8 src0_sel:BYTE_0 src1_sel:DWORD
	s_mov_b64 s[16:17], 0
	s_and_b64 vcc, exec, s[0:1]
	s_cbranch_vccz .LBB33_1807
; %bb.1800:
	v_mov_b32_e32 v8, 28
	v_cmp_gt_i16_sdwa s[0:1], v7, v8 src0_sel:BYTE_0 src1_sel:DWORD
	s_and_b64 vcc, exec, s[0:1]
	s_cbranch_vccz .LBB33_1808
; %bb.1801:
	v_mov_b32_e32 v8, 43
	v_cmp_gt_i16_sdwa s[0:1], v7, v8 src0_sel:BYTE_0 src1_sel:DWORD
	s_and_b64 vcc, exec, s[0:1]
	s_cbranch_vccz .LBB33_1809
; %bb.1802:
	v_mov_b32_e32 v8, 45
	v_cmp_gt_i16_sdwa s[0:1], v7, v8 src0_sel:BYTE_0 src1_sel:DWORD
	s_and_b64 vcc, exec, s[0:1]
	s_cbranch_vccz .LBB33_1811
; %bb.1803:
	v_mov_b32_e32 v8, 46
	v_cmp_eq_u16_sdwa s[0:1], v7, v8 src0_sel:BYTE_0 src1_sel:DWORD
	s_mov_b64 s[22:23], 0
	s_and_b64 vcc, exec, s[0:1]
	s_cbranch_vccz .LBB33_1812
; %bb.1804:
	global_load_dword v8, v[0:1], off
	s_mov_b64 s[0:1], 0
	s_mov_b64 s[20:21], -1
	s_waitcnt vmcnt(0)
	v_lshlrev_b32_e32 v8, 16, v8
	s_branch .LBB33_1813
.LBB33_1805:
	s_mov_b64 s[20:21], 0
                                        ; implicit-def: $vgpr8
	s_cbranch_execnz .LBB33_1879
.LBB33_1806:
	s_andn2_b64 vcc, exec, s[20:21]
	s_cbranch_vccnz .LBB33_3032
	s_branch .LBB33_1927
.LBB33_1807:
	s_mov_b64 s[22:23], -1
	s_mov_b64 s[20:21], 0
	s_mov_b64 s[0:1], 0
                                        ; implicit-def: $vgpr8
	s_branch .LBB33_1842
.LBB33_1808:
	s_mov_b64 s[22:23], -1
	s_mov_b64 s[20:21], 0
	s_mov_b64 s[0:1], 0
                                        ; implicit-def: $vgpr8
	s_branch .LBB33_1823
.LBB33_1809:
	s_mov_b64 s[22:23], -1
	s_mov_b64 s[20:21], 0
	s_mov_b64 s[0:1], 0
                                        ; implicit-def: $vgpr8
	s_branch .LBB33_1818
.LBB33_1810:
	s_trap 2
	s_or_b64 s[18:19], s[18:19], exec
                                        ; implicit-def: $vgpr3
	s_cbranch_execz .LBB33_1749
	s_branch .LBB33_1750
.LBB33_1811:
	s_mov_b64 s[22:23], -1
	s_mov_b64 s[20:21], 0
	s_mov_b64 s[0:1], 0
                                        ; implicit-def: $vgpr8
	s_branch .LBB33_1813
.LBB33_1812:
	s_mov_b64 s[0:1], -1
                                        ; implicit-def: $vgpr8
	s_mov_b64 s[20:21], 0
.LBB33_1813:
	s_and_b64 vcc, exec, s[22:23]
	s_cbranch_vccz .LBB33_1817
; %bb.1814:
	v_mov_b32_e32 v8, 44
	v_cmp_eq_u16_sdwa s[0:1], v7, v8 src0_sel:BYTE_0 src1_sel:DWORD
	s_and_b64 vcc, exec, s[0:1]
	s_cbranch_vccz .LBB33_1816
; %bb.1815:
	global_load_ubyte v8, v[0:1], off
	s_movk_i32 s15, 0xff
	v_mov_b32_e32 v11, 0x7f800001
	v_mov_b32_e32 v12, 0x400000
	s_mov_b64 s[0:1], 0
	s_mov_b64 s[20:21], -1
	s_waitcnt vmcnt(0)
	v_lshlrev_b32_e32 v13, 23, v8
	v_cmp_ne_u32_e32 vcc, s15, v8
	v_cndmask_b32_e32 v11, v11, v13, vcc
	v_cmp_ne_u32_e32 vcc, 0, v8
	v_cndmask_b32_e32 v8, v12, v11, vcc
	s_branch .LBB33_1817
.LBB33_1816:
	s_mov_b64 s[0:1], -1
                                        ; implicit-def: $vgpr8
.LBB33_1817:
	s_mov_b64 s[22:23], 0
.LBB33_1818:
	s_and_b64 vcc, exec, s[22:23]
	s_cbranch_vccz .LBB33_1822
; %bb.1819:
	v_mov_b32_e32 v8, 29
	v_cmp_eq_u16_sdwa s[0:1], v7, v8 src0_sel:BYTE_0 src1_sel:DWORD
	s_and_b64 vcc, exec, s[0:1]
	s_cbranch_vccz .LBB33_1821
; %bb.1820:
	global_load_dwordx2 v[12:13], v[0:1], off
	s_mov_b64 s[0:1], 0
	s_mov_b64 s[20:21], -1
	s_mov_b64 s[22:23], 0
	s_waitcnt vmcnt(0)
	v_ffbh_u32_e32 v8, v13
	v_min_u32_e32 v8, 32, v8
	v_lshlrev_b64 v[12:13], v8, v[12:13]
	v_min_u32_e32 v11, 1, v12
	v_or_b32_e32 v11, v13, v11
	v_cvt_f32_u32_e32 v11, v11
	v_sub_u32_e32 v8, 32, v8
	v_ldexp_f32 v8, v11, v8
	s_branch .LBB33_1823
.LBB33_1821:
	s_mov_b64 s[0:1], -1
                                        ; implicit-def: $vgpr8
.LBB33_1822:
	s_mov_b64 s[22:23], 0
.LBB33_1823:
	s_and_b64 vcc, exec, s[22:23]
	s_cbranch_vccz .LBB33_1841
; %bb.1824:
	v_mov_b32_e32 v8, 27
	v_cmp_lt_i16_sdwa s[20:21], v7, v8 src0_sel:BYTE_0 src1_sel:DWORD
	s_and_b64 vcc, exec, s[20:21]
	s_cbranch_vccnz .LBB33_1827
; %bb.1825:
	v_cmp_gt_i16_sdwa s[20:21], v7, v8 src0_sel:BYTE_0 src1_sel:DWORD
	s_and_b64 vcc, exec, s[20:21]
	s_cbranch_vccz .LBB33_1828
; %bb.1826:
	global_load_dword v8, v[0:1], off
	s_mov_b64 s[20:21], 0
	s_waitcnt vmcnt(0)
	v_cvt_f32_u32_e32 v8, v8
	s_branch .LBB33_1829
.LBB33_1827:
	s_mov_b64 s[20:21], -1
                                        ; implicit-def: $vgpr8
	s_branch .LBB33_1832
.LBB33_1828:
	s_mov_b64 s[20:21], -1
                                        ; implicit-def: $vgpr8
.LBB33_1829:
	s_andn2_b64 vcc, exec, s[20:21]
	s_cbranch_vccnz .LBB33_1831
; %bb.1830:
	global_load_ushort v8, v[0:1], off
	s_waitcnt vmcnt(0)
	v_cvt_f32_u32_e32 v8, v8
.LBB33_1831:
	s_mov_b64 s[20:21], 0
.LBB33_1832:
	s_andn2_b64 vcc, exec, s[20:21]
	s_cbranch_vccnz .LBB33_1840
; %bb.1833:
	global_load_ubyte v11, v[0:1], off
	s_movk_i32 s15, 0x7f
	s_mov_b64 s[20:21], 0
	s_waitcnt vmcnt(0)
	v_cmp_lt_i16_e32 vcc, s15, v11
                                        ; implicit-def: $sgpr15
	s_and_saveexec_b64 s[22:23], vcc
	s_xor_b64 s[22:23], exec, s[22:23]
	s_cbranch_execz .LBB33_1854
; %bb.1834:
	s_movk_i32 s15, 0x80
	v_cmp_eq_u16_e32 vcc, s15, v11
	s_mov_b64 s[20:21], -1
                                        ; implicit-def: $sgpr15
	s_and_saveexec_b64 s[24:25], vcc
; %bb.1835:
	s_mov_b32 s15, 0x7f800001
	s_xor_b64 s[20:21], exec, -1
; %bb.1836:
	s_or_b64 exec, exec, s[24:25]
	s_and_b64 s[20:21], s[20:21], exec
	s_or_saveexec_b64 s[22:23], s[22:23]
	v_mov_b32_e32 v8, s15
	s_xor_b64 exec, exec, s[22:23]
	s_cbranch_execnz .LBB33_1855
.LBB33_1837:
	s_or_b64 exec, exec, s[22:23]
	s_and_saveexec_b64 s[22:23], s[20:21]
	s_cbranch_execz .LBB33_1839
.LBB33_1838:
	v_lshlrev_b32_e32 v8, 24, v11
	v_and_b32_e32 v11, 0xffff, v11
	v_and_b32_e32 v12, 7, v11
	v_ffbh_u32_e32 v14, v12
	v_min_u32_e32 v14, 32, v14
	v_subrev_u32_e32 v15, 28, v14
	v_bfe_u32 v13, v11, 3, 4
	v_lshlrev_b32_e32 v11, v15, v11
	v_sub_u32_e32 v14, 29, v14
	v_and_b32_e32 v11, 7, v11
	v_cmp_eq_u32_e32 vcc, 0, v13
	v_cndmask_b32_e32 v13, v13, v14, vcc
	v_cndmask_b32_e32 v11, v12, v11, vcc
	v_mov_b32_e32 v12, 0x3b800000
	v_lshlrev_b32_e32 v11, 20, v11
	v_and_b32_e32 v8, 0x80000000, v8
	v_lshl_add_u32 v12, v13, 23, v12
	v_or3_b32 v8, v8, v12, v11
.LBB33_1839:
	s_or_b64 exec, exec, s[22:23]
.LBB33_1840:
	s_mov_b64 s[20:21], -1
.LBB33_1841:
	s_mov_b64 s[22:23], 0
.LBB33_1842:
	s_and_b64 vcc, exec, s[22:23]
	s_cbranch_vccz .LBB33_1875
; %bb.1843:
	v_mov_b32_e32 v8, 22
	v_cmp_gt_i16_sdwa s[16:17], v7, v8 src0_sel:BYTE_0 src1_sel:DWORD
	s_and_b64 vcc, exec, s[16:17]
	s_cbranch_vccz .LBB33_1853
; %bb.1844:
	v_mov_b32_e32 v8, 24
	v_cmp_lt_i16_sdwa s[16:17], v7, v8 src0_sel:BYTE_0 src1_sel:DWORD
	s_and_b64 vcc, exec, s[16:17]
	s_cbranch_vccnz .LBB33_1856
; %bb.1845:
	v_cmp_gt_i16_sdwa s[16:17], v7, v8 src0_sel:BYTE_0 src1_sel:DWORD
	s_and_b64 vcc, exec, s[16:17]
	s_cbranch_vccz .LBB33_1857
; %bb.1846:
	global_load_ubyte v11, v[0:1], off
	s_movk_i32 s15, 0x7f
	s_mov_b64 s[16:17], 0
	s_waitcnt vmcnt(0)
	v_cmp_lt_i16_e32 vcc, s15, v11
                                        ; implicit-def: $sgpr15
	s_and_saveexec_b64 s[20:21], vcc
	s_xor_b64 s[20:21], exec, s[20:21]
	s_cbranch_execz .LBB33_1869
; %bb.1847:
	s_movk_i32 s15, 0x80
	v_cmp_eq_u16_e32 vcc, s15, v11
	s_mov_b64 s[16:17], -1
                                        ; implicit-def: $sgpr15
	s_and_saveexec_b64 s[22:23], vcc
; %bb.1848:
	s_mov_b32 s15, 0x7f800001
	s_xor_b64 s[16:17], exec, -1
; %bb.1849:
	s_or_b64 exec, exec, s[22:23]
	s_and_b64 s[16:17], s[16:17], exec
	s_or_saveexec_b64 s[20:21], s[20:21]
	v_mov_b32_e32 v8, s15
	s_xor_b64 exec, exec, s[20:21]
	s_cbranch_execnz .LBB33_1870
.LBB33_1850:
	s_or_b64 exec, exec, s[20:21]
	s_and_saveexec_b64 s[20:21], s[16:17]
	s_cbranch_execz .LBB33_1852
.LBB33_1851:
	v_lshlrev_b32_e32 v8, 24, v11
	v_and_b32_e32 v11, 0xffff, v11
	v_and_b32_e32 v12, 3, v11
	v_ffbh_u32_e32 v14, v12
	v_min_u32_e32 v14, 32, v14
	v_subrev_u32_e32 v15, 29, v14
	v_bfe_u32 v13, v11, 2, 5
	v_lshlrev_b32_e32 v11, v15, v11
	v_sub_u32_e32 v14, 30, v14
	v_and_b32_e32 v11, 3, v11
	v_cmp_eq_u32_e32 vcc, 0, v13
	v_cndmask_b32_e32 v13, v13, v14, vcc
	v_cndmask_b32_e32 v11, v12, v11, vcc
	v_mov_b32_e32 v12, 0x37800000
	v_lshlrev_b32_e32 v11, 21, v11
	v_and_b32_e32 v8, 0x80000000, v8
	v_lshl_add_u32 v12, v13, 23, v12
	v_or3_b32 v8, v8, v12, v11
.LBB33_1852:
	s_or_b64 exec, exec, s[20:21]
	s_mov_b64 s[16:17], 0
	s_branch .LBB33_1858
.LBB33_1853:
	s_mov_b64 s[16:17], -1
                                        ; implicit-def: $vgpr8
	s_branch .LBB33_1864
.LBB33_1854:
	s_or_saveexec_b64 s[22:23], s[22:23]
	v_mov_b32_e32 v8, s15
	s_xor_b64 exec, exec, s[22:23]
	s_cbranch_execz .LBB33_1837
.LBB33_1855:
	v_cmp_ne_u16_e32 vcc, 0, v11
	s_andn2_b64 s[20:21], s[20:21], exec
	s_and_b64 s[24:25], vcc, exec
	v_mov_b32_e32 v8, 0
	s_or_b64 s[20:21], s[20:21], s[24:25]
	s_or_b64 exec, exec, s[22:23]
	s_and_saveexec_b64 s[22:23], s[20:21]
	s_cbranch_execnz .LBB33_1838
	s_branch .LBB33_1839
.LBB33_1856:
	s_mov_b64 s[16:17], -1
                                        ; implicit-def: $vgpr8
	s_branch .LBB33_1861
.LBB33_1857:
	s_mov_b64 s[16:17], -1
                                        ; implicit-def: $vgpr8
.LBB33_1858:
	s_and_b64 vcc, exec, s[16:17]
	s_cbranch_vccz .LBB33_1860
; %bb.1859:
	global_load_ubyte v8, v[0:1], off
	s_mov_b32 s15, 0x7f800000
	s_waitcnt vmcnt(0)
	v_lshlrev_b32_e32 v8, 24, v8
	v_and_b32_e32 v11, 0x7f000000, v8
	v_ffbh_u32_e32 v12, v11
	v_min_u32_e32 v12, 32, v12
	v_sub_u32_e64 v12, v12, 4 clamp
	v_lshlrev_b32_e32 v14, v12, v11
	v_lshlrev_b32_e32 v12, 23, v12
	v_lshrrev_b32_e32 v14, 4, v14
	v_add_u32_e32 v13, 0x1000000, v11
	v_sub_u32_e32 v12, v14, v12
	v_ashrrev_i32_e32 v13, 8, v13
	v_add_u32_e32 v12, 0x3c000000, v12
	v_and_or_b32 v12, v13, s15, v12
	v_cmp_ne_u32_e32 vcc, 0, v11
	v_cndmask_b32_e32 v11, 0, v12, vcc
	s_brev_b32 s15, 1
	v_and_or_b32 v8, v8, s15, v11
.LBB33_1860:
	s_mov_b64 s[16:17], 0
.LBB33_1861:
	s_andn2_b64 vcc, exec, s[16:17]
	s_cbranch_vccnz .LBB33_1863
; %bb.1862:
	global_load_ubyte v8, v[0:1], off
	s_movk_i32 s15, 0x7f00
	s_brev_b32 s16, 16
	s_waitcnt vmcnt(0)
	v_lshlrev_b16_e32 v11, 8, v8
	v_lshlrev_b32_e32 v8, 25, v8
	v_lshrrev_b32_e32 v12, 4, v8
	v_and_or_b32 v13, v11, s15, 0.5
	v_or_b32_e32 v12, 0x70000000, v12
	v_add_f32_e32 v13, -0.5, v13
	v_mul_f32_e32 v12, 0x7800000, v12
	v_cmp_gt_u32_e32 vcc, s16, v8
	v_bfe_i32 v11, v11, 0, 16
	v_cndmask_b32_e32 v8, v12, v13, vcc
	s_brev_b32 s15, 1
	v_and_or_b32 v8, v11, s15, v8
.LBB33_1863:
	s_mov_b64 s[16:17], 0
	s_mov_b64 s[20:21], -1
.LBB33_1864:
	s_andn2_b64 vcc, exec, s[16:17]
	s_mov_b64 s[16:17], 0
	s_cbranch_vccnz .LBB33_1875
; %bb.1865:
	v_mov_b32_e32 v8, 14
	v_cmp_gt_i16_sdwa s[16:17], v7, v8 src0_sel:BYTE_0 src1_sel:DWORD
	s_and_b64 vcc, exec, s[16:17]
	s_cbranch_vccz .LBB33_1868
; %bb.1866:
	v_mov_b32_e32 v8, 15
	v_cmp_eq_u16_sdwa s[0:1], v7, v8 src0_sel:BYTE_0 src1_sel:DWORD
	s_and_b64 vcc, exec, s[0:1]
	s_cbranch_vccz .LBB33_1871
; %bb.1867:
	global_load_ushort v8, v[0:1], off
	s_mov_b64 s[0:1], 0
	s_mov_b64 s[20:21], -1
	s_waitcnt vmcnt(0)
	v_lshlrev_b32_e32 v8, 16, v8
	s_branch .LBB33_1872
.LBB33_1868:
	s_mov_b64 s[22:23], -1
                                        ; implicit-def: $vgpr8
	s_branch .LBB33_1873
.LBB33_1869:
	s_or_saveexec_b64 s[20:21], s[20:21]
	v_mov_b32_e32 v8, s15
	s_xor_b64 exec, exec, s[20:21]
	s_cbranch_execz .LBB33_1850
.LBB33_1870:
	v_cmp_ne_u16_e32 vcc, 0, v11
	s_andn2_b64 s[16:17], s[16:17], exec
	s_and_b64 s[22:23], vcc, exec
	v_mov_b32_e32 v8, 0
	s_or_b64 s[16:17], s[16:17], s[22:23]
	s_or_b64 exec, exec, s[20:21]
	s_and_saveexec_b64 s[20:21], s[16:17]
	s_cbranch_execnz .LBB33_1851
	s_branch .LBB33_1852
.LBB33_1871:
	s_mov_b64 s[0:1], -1
                                        ; implicit-def: $vgpr8
.LBB33_1872:
	s_mov_b64 s[22:23], 0
.LBB33_1873:
	s_mov_b64 s[16:17], 0
	s_and_b64 vcc, exec, s[22:23]
	s_cbranch_vccz .LBB33_1875
; %bb.1874:
	v_mov_b32_e32 v8, 11
	v_cmp_ne_u16_sdwa s[0:1], v7, v8 src0_sel:BYTE_0 src1_sel:DWORD
	s_mov_b64 s[16:17], -1
                                        ; implicit-def: $vgpr8
.LBB33_1875:
	s_and_b64 vcc, exec, s[0:1]
	s_cbranch_vccnz .LBB33_1938
; %bb.1876:
	s_andn2_b64 vcc, exec, s[16:17]
	s_cbranch_vccnz .LBB33_1878
.LBB33_1877:
	global_load_ubyte v8, v[0:1], off
	s_mov_b64 s[20:21], -1
	s_waitcnt vmcnt(0)
	v_cmp_ne_u16_e32 vcc, 0, v8
	v_cndmask_b32_e64 v8, 0, 1.0, vcc
.LBB33_1878:
	s_branch .LBB33_1806
.LBB33_1879:
	v_mov_b32_e32 v8, 5
	v_cmp_lt_i16_sdwa s[0:1], v7, v8 src0_sel:BYTE_0 src1_sel:DWORD
	s_and_b64 vcc, exec, s[0:1]
	s_cbranch_vccnz .LBB33_1884
; %bb.1880:
	v_mov_b32_e32 v8, 8
	v_cmp_lt_i16_sdwa s[0:1], v7, v8 src0_sel:BYTE_0 src1_sel:DWORD
	s_and_b64 vcc, exec, s[0:1]
	s_cbranch_vccnz .LBB33_1885
; %bb.1881:
	;; [unrolled: 5-line block ×3, first 2 shown]
	v_cmp_gt_i16_sdwa s[0:1], v7, v8 src0_sel:BYTE_0 src1_sel:DWORD
	s_and_b64 vcc, exec, s[0:1]
	s_cbranch_vccz .LBB33_1887
; %bb.1883:
	global_load_dwordx2 v[12:13], v[0:1], off
	s_mov_b64 s[0:1], 0
	s_waitcnt vmcnt(0)
	v_cvt_f32_f64_e32 v8, v[12:13]
	s_branch .LBB33_1888
.LBB33_1884:
	s_mov_b64 s[0:1], -1
                                        ; implicit-def: $vgpr8
	s_branch .LBB33_1906
.LBB33_1885:
	s_mov_b64 s[0:1], -1
                                        ; implicit-def: $vgpr8
	s_branch .LBB33_1894
.LBB33_1886:
	s_mov_b64 s[0:1], -1
                                        ; implicit-def: $vgpr8
	s_branch .LBB33_1891
.LBB33_1887:
	s_mov_b64 s[0:1], -1
                                        ; implicit-def: $vgpr8
.LBB33_1888:
	s_andn2_b64 vcc, exec, s[0:1]
	s_cbranch_vccnz .LBB33_1890
; %bb.1889:
	global_load_dword v8, v[0:1], off
.LBB33_1890:
	s_mov_b64 s[0:1], 0
.LBB33_1891:
	s_andn2_b64 vcc, exec, s[0:1]
	s_cbranch_vccnz .LBB33_1893
; %bb.1892:
	global_load_dword v8, v[0:1], off
	s_waitcnt vmcnt(0)
	v_cvt_f32_f16_e32 v8, v8
.LBB33_1893:
	s_mov_b64 s[0:1], 0
.LBB33_1894:
	s_andn2_b64 vcc, exec, s[0:1]
	s_cbranch_vccnz .LBB33_1905
; %bb.1895:
	s_waitcnt vmcnt(0)
	v_mov_b32_e32 v8, 6
	v_cmp_lt_i16_sdwa s[0:1], v7, v8 src0_sel:BYTE_0 src1_sel:DWORD
	s_and_b64 vcc, exec, s[0:1]
	s_cbranch_vccnz .LBB33_1898
; %bb.1896:
	v_cmp_gt_i16_sdwa s[0:1], v7, v8 src0_sel:BYTE_0 src1_sel:DWORD
	s_and_b64 vcc, exec, s[0:1]
	s_cbranch_vccz .LBB33_1899
; %bb.1897:
	global_load_dwordx2 v[12:13], v[0:1], off
	s_mov_b64 s[0:1], 0
	s_waitcnt vmcnt(0)
	v_cvt_f32_f64_e32 v8, v[12:13]
	s_branch .LBB33_1900
.LBB33_1898:
	s_mov_b64 s[0:1], -1
                                        ; implicit-def: $vgpr8
	s_branch .LBB33_1903
.LBB33_1899:
	s_mov_b64 s[0:1], -1
                                        ; implicit-def: $vgpr8
.LBB33_1900:
	s_andn2_b64 vcc, exec, s[0:1]
	s_cbranch_vccnz .LBB33_1902
; %bb.1901:
	global_load_dword v8, v[0:1], off
.LBB33_1902:
	s_mov_b64 s[0:1], 0
.LBB33_1903:
	s_andn2_b64 vcc, exec, s[0:1]
	s_cbranch_vccnz .LBB33_1905
; %bb.1904:
	global_load_ushort v8, v[0:1], off
	s_waitcnt vmcnt(0)
	v_cvt_f32_f16_e32 v8, v8
.LBB33_1905:
	s_mov_b64 s[0:1], 0
.LBB33_1906:
	s_andn2_b64 vcc, exec, s[0:1]
	s_cbranch_vccnz .LBB33_1926
; %bb.1907:
	s_waitcnt vmcnt(0)
	v_mov_b32_e32 v8, 2
	v_cmp_lt_i16_sdwa s[0:1], v7, v8 src0_sel:BYTE_0 src1_sel:DWORD
	s_and_b64 vcc, exec, s[0:1]
	s_cbranch_vccnz .LBB33_1911
; %bb.1908:
	v_mov_b32_e32 v8, 3
	v_cmp_lt_i16_sdwa s[0:1], v7, v8 src0_sel:BYTE_0 src1_sel:DWORD
	s_and_b64 vcc, exec, s[0:1]
	s_cbranch_vccnz .LBB33_1912
; %bb.1909:
	v_cmp_gt_i16_sdwa s[0:1], v7, v8 src0_sel:BYTE_0 src1_sel:DWORD
	s_and_b64 vcc, exec, s[0:1]
	s_cbranch_vccz .LBB33_1913
; %bb.1910:
	global_load_dwordx2 v[12:13], v[0:1], off
	s_mov_b64 s[0:1], 0
	s_waitcnt vmcnt(0)
	v_xor_b32_e32 v11, v12, v13
	v_ffbh_i32_e32 v8, v13
	v_ashrrev_i32_e32 v11, 31, v11
	v_add_u32_e32 v8, -1, v8
	v_add_u32_e32 v11, 32, v11
	v_min_u32_e32 v8, v8, v11
	v_lshlrev_b64 v[12:13], v8, v[12:13]
	v_min_u32_e32 v11, 1, v12
	v_or_b32_e32 v11, v13, v11
	v_cvt_f32_i32_e32 v11, v11
	v_sub_u32_e32 v8, 32, v8
	v_ldexp_f32 v8, v11, v8
	s_branch .LBB33_1914
.LBB33_1911:
	s_mov_b64 s[0:1], -1
                                        ; implicit-def: $vgpr8
	s_branch .LBB33_1920
.LBB33_1912:
	s_mov_b64 s[0:1], -1
                                        ; implicit-def: $vgpr8
	s_branch .LBB33_1917
.LBB33_1913:
	s_mov_b64 s[0:1], -1
                                        ; implicit-def: $vgpr8
.LBB33_1914:
	s_andn2_b64 vcc, exec, s[0:1]
	s_cbranch_vccnz .LBB33_1916
; %bb.1915:
	global_load_dword v8, v[0:1], off
	s_waitcnt vmcnt(0)
	v_cvt_f32_i32_e32 v8, v8
.LBB33_1916:
	s_mov_b64 s[0:1], 0
.LBB33_1917:
	s_andn2_b64 vcc, exec, s[0:1]
	s_cbranch_vccnz .LBB33_1919
; %bb.1918:
	global_load_sshort v8, v[0:1], off
	s_waitcnt vmcnt(0)
	v_cvt_f32_i32_e32 v8, v8
.LBB33_1919:
	s_mov_b64 s[0:1], 0
.LBB33_1920:
	s_andn2_b64 vcc, exec, s[0:1]
	s_cbranch_vccnz .LBB33_1926
; %bb.1921:
	v_mov_b32_e32 v8, 0
	v_cmp_gt_i16_sdwa s[0:1], v7, v8 src0_sel:BYTE_0 src1_sel:DWORD
	s_and_b64 vcc, exec, s[0:1]
	s_cbranch_vccz .LBB33_1923
; %bb.1922:
	global_load_sbyte v8, v[0:1], off
	s_mov_b64 s[0:1], 0
	s_waitcnt vmcnt(0)
	v_cvt_f32_i32_e32 v8, v8
	s_branch .LBB33_1924
.LBB33_1923:
	s_mov_b64 s[0:1], -1
                                        ; implicit-def: $vgpr8
.LBB33_1924:
	s_andn2_b64 vcc, exec, s[0:1]
	s_cbranch_vccnz .LBB33_1926
; %bb.1925:
	global_load_ubyte v0, v[0:1], off
	s_waitcnt vmcnt(0)
	v_cvt_f32_ubyte0_e32 v8, v0
.LBB33_1926:
.LBB33_1927:
	s_lshl_b32 s24, s14, 7
	v_add_u32_e32 v11, s24, v9
	v_ashrrev_i32_e32 v1, 31, v11
	v_mov_b32_e32 v9, s3
	v_add_co_u32_e32 v0, vcc, s2, v11
	v_addc_co_u32_e32 v1, vcc, v9, v1, vcc
	v_mov_b32_e32 v9, 11
	v_cmp_lt_i16_sdwa s[0:1], v6, v9 src0_sel:BYTE_0 src1_sel:DWORD
	s_and_b64 vcc, exec, s[0:1]
	s_cbranch_vccnz .LBB33_1934
; %bb.1928:
	v_mov_b32_e32 v9, 25
	v_cmp_gt_i16_sdwa s[0:1], v6, v9 src0_sel:BYTE_0 src1_sel:DWORD
	s_mov_b64 s[14:15], 0
	s_and_b64 vcc, exec, s[0:1]
	s_cbranch_vccz .LBB33_1935
; %bb.1929:
	v_mov_b32_e32 v9, 28
	v_cmp_gt_i16_sdwa s[0:1], v6, v9 src0_sel:BYTE_0 src1_sel:DWORD
	s_and_b64 vcc, exec, s[0:1]
	s_cbranch_vccz .LBB33_1936
; %bb.1930:
	v_mov_b32_e32 v9, 43
	v_cmp_gt_i16_sdwa s[0:1], v6, v9 src0_sel:BYTE_0 src1_sel:DWORD
	;; [unrolled: 5-line block ×3, first 2 shown]
	s_and_b64 vcc, exec, s[0:1]
	s_cbranch_vccz .LBB33_1939
; %bb.1932:
	v_mov_b32_e32 v9, 46
	v_cmp_eq_u16_sdwa s[0:1], v6, v9 src0_sel:BYTE_0 src1_sel:DWORD
	s_mov_b64 s[20:21], 0
	s_and_b64 vcc, exec, s[0:1]
	s_cbranch_vccz .LBB33_1940
; %bb.1933:
	global_load_dword v9, v[0:1], off
	s_mov_b64 s[0:1], 0
	s_mov_b64 s[16:17], -1
	s_waitcnt vmcnt(0)
	v_lshlrev_b32_e32 v9, 16, v9
	s_branch .LBB33_1941
.LBB33_1934:
	s_mov_b64 s[0:1], -1
	s_mov_b64 s[16:17], 0
                                        ; implicit-def: $vgpr9
	s_branch .LBB33_2007
.LBB33_1935:
	s_mov_b64 s[20:21], -1
	s_mov_b64 s[16:17], 0
	s_mov_b64 s[0:1], 0
                                        ; implicit-def: $vgpr9
	s_branch .LBB33_1970
.LBB33_1936:
	s_mov_b64 s[20:21], -1
	s_mov_b64 s[16:17], 0
	s_mov_b64 s[0:1], 0
                                        ; implicit-def: $vgpr9
	s_branch .LBB33_1951
.LBB33_1937:
	s_mov_b64 s[20:21], -1
	s_mov_b64 s[16:17], 0
	s_mov_b64 s[0:1], 0
                                        ; implicit-def: $vgpr9
	s_branch .LBB33_1946
.LBB33_1938:
	s_trap 2
	s_or_b64 s[18:19], s[18:19], exec
                                        ; implicit-def: $vgpr8
	s_cbranch_execz .LBB33_1877
	s_branch .LBB33_1878
.LBB33_1939:
	s_mov_b64 s[20:21], -1
	s_mov_b64 s[16:17], 0
	s_mov_b64 s[0:1], 0
                                        ; implicit-def: $vgpr9
	s_branch .LBB33_1941
.LBB33_1940:
	s_mov_b64 s[0:1], -1
                                        ; implicit-def: $vgpr9
	s_mov_b64 s[16:17], 0
.LBB33_1941:
	s_and_b64 vcc, exec, s[20:21]
	s_cbranch_vccz .LBB33_1945
; %bb.1942:
	v_mov_b32_e32 v9, 44
	v_cmp_eq_u16_sdwa s[0:1], v6, v9 src0_sel:BYTE_0 src1_sel:DWORD
	s_and_b64 vcc, exec, s[0:1]
	s_cbranch_vccz .LBB33_1944
; %bb.1943:
	global_load_ubyte v9, v[0:1], off
	s_movk_i32 s16, 0xff
	v_mov_b32_e32 v12, 0x7f800001
	v_mov_b32_e32 v13, 0x400000
	s_mov_b64 s[0:1], 0
	s_waitcnt vmcnt(0)
	v_lshlrev_b32_e32 v14, 23, v9
	v_cmp_ne_u32_e32 vcc, s16, v9
	v_cndmask_b32_e32 v12, v12, v14, vcc
	v_cmp_ne_u32_e32 vcc, 0, v9
	v_cndmask_b32_e32 v9, v13, v12, vcc
	s_mov_b64 s[16:17], -1
	s_branch .LBB33_1945
.LBB33_1944:
	s_mov_b64 s[0:1], -1
                                        ; implicit-def: $vgpr9
.LBB33_1945:
	s_mov_b64 s[20:21], 0
.LBB33_1946:
	s_and_b64 vcc, exec, s[20:21]
	s_cbranch_vccz .LBB33_1950
; %bb.1947:
	v_mov_b32_e32 v9, 29
	v_cmp_eq_u16_sdwa s[0:1], v6, v9 src0_sel:BYTE_0 src1_sel:DWORD
	s_and_b64 vcc, exec, s[0:1]
	s_cbranch_vccz .LBB33_1949
; %bb.1948:
	global_load_dwordx2 v[12:13], v[0:1], off
	s_mov_b64 s[0:1], 0
	s_mov_b64 s[16:17], -1
	s_mov_b64 s[20:21], 0
	s_waitcnt vmcnt(0)
	v_ffbh_u32_e32 v9, v13
	v_min_u32_e32 v9, 32, v9
	v_lshlrev_b64 v[12:13], v9, v[12:13]
	v_min_u32_e32 v12, 1, v12
	v_or_b32_e32 v12, v13, v12
	v_cvt_f32_u32_e32 v12, v12
	v_sub_u32_e32 v9, 32, v9
	v_ldexp_f32 v9, v12, v9
	s_branch .LBB33_1951
.LBB33_1949:
	s_mov_b64 s[0:1], -1
                                        ; implicit-def: $vgpr9
.LBB33_1950:
	s_mov_b64 s[20:21], 0
.LBB33_1951:
	s_and_b64 vcc, exec, s[20:21]
	s_cbranch_vccz .LBB33_1969
; %bb.1952:
	v_mov_b32_e32 v9, 27
	v_cmp_lt_i16_sdwa s[16:17], v6, v9 src0_sel:BYTE_0 src1_sel:DWORD
	s_and_b64 vcc, exec, s[16:17]
	s_cbranch_vccnz .LBB33_1955
; %bb.1953:
	v_cmp_gt_i16_sdwa s[16:17], v6, v9 src0_sel:BYTE_0 src1_sel:DWORD
	s_and_b64 vcc, exec, s[16:17]
	s_cbranch_vccz .LBB33_1956
; %bb.1954:
	global_load_dword v9, v[0:1], off
	s_mov_b64 s[16:17], 0
	s_waitcnt vmcnt(0)
	v_cvt_f32_u32_e32 v9, v9
	s_branch .LBB33_1957
.LBB33_1955:
	s_mov_b64 s[16:17], -1
                                        ; implicit-def: $vgpr9
	s_branch .LBB33_1960
.LBB33_1956:
	s_mov_b64 s[16:17], -1
                                        ; implicit-def: $vgpr9
.LBB33_1957:
	s_andn2_b64 vcc, exec, s[16:17]
	s_cbranch_vccnz .LBB33_1959
; %bb.1958:
	global_load_ushort v9, v[0:1], off
	s_waitcnt vmcnt(0)
	v_cvt_f32_u32_e32 v9, v9
.LBB33_1959:
	s_mov_b64 s[16:17], 0
.LBB33_1960:
	s_andn2_b64 vcc, exec, s[16:17]
	s_cbranch_vccnz .LBB33_1968
; %bb.1961:
	global_load_ubyte v12, v[0:1], off
	s_movk_i32 s16, 0x7f
                                        ; implicit-def: $sgpr25
	s_waitcnt vmcnt(0)
	v_cmp_lt_i16_e32 vcc, s16, v12
	s_mov_b64 s[16:17], 0
	s_and_saveexec_b64 s[20:21], vcc
	s_xor_b64 s[20:21], exec, s[20:21]
	s_cbranch_execz .LBB33_1982
; %bb.1962:
	s_movk_i32 s16, 0x80
	v_cmp_eq_u16_e32 vcc, s16, v12
	s_mov_b64 s[16:17], -1
                                        ; implicit-def: $sgpr25
	s_and_saveexec_b64 s[22:23], vcc
; %bb.1963:
	s_mov_b32 s25, 0x7f800001
	s_xor_b64 s[16:17], exec, -1
; %bb.1964:
	s_or_b64 exec, exec, s[22:23]
	s_and_b64 s[16:17], s[16:17], exec
	s_or_saveexec_b64 s[20:21], s[20:21]
	v_mov_b32_e32 v9, s25
	s_xor_b64 exec, exec, s[20:21]
	s_cbranch_execnz .LBB33_1983
.LBB33_1965:
	s_or_b64 exec, exec, s[20:21]
	s_and_saveexec_b64 s[20:21], s[16:17]
	s_cbranch_execz .LBB33_1967
.LBB33_1966:
	v_lshlrev_b32_e32 v9, 24, v12
	v_and_b32_e32 v12, 0xffff, v12
	v_and_b32_e32 v13, 7, v12
	v_ffbh_u32_e32 v15, v13
	v_min_u32_e32 v15, 32, v15
	v_subrev_u32_e32 v16, 28, v15
	v_bfe_u32 v14, v12, 3, 4
	v_lshlrev_b32_e32 v12, v16, v12
	v_sub_u32_e32 v15, 29, v15
	v_and_b32_e32 v12, 7, v12
	v_cmp_eq_u32_e32 vcc, 0, v14
	v_cndmask_b32_e32 v14, v14, v15, vcc
	v_cndmask_b32_e32 v12, v13, v12, vcc
	v_mov_b32_e32 v13, 0x3b800000
	v_lshlrev_b32_e32 v12, 20, v12
	v_and_b32_e32 v9, 0x80000000, v9
	v_lshl_add_u32 v13, v14, 23, v13
	v_or3_b32 v9, v9, v13, v12
.LBB33_1967:
	s_or_b64 exec, exec, s[20:21]
.LBB33_1968:
	s_mov_b64 s[16:17], -1
.LBB33_1969:
	s_mov_b64 s[20:21], 0
.LBB33_1970:
	s_and_b64 vcc, exec, s[20:21]
	s_cbranch_vccz .LBB33_2003
; %bb.1971:
	v_mov_b32_e32 v9, 22
	v_cmp_gt_i16_sdwa s[14:15], v6, v9 src0_sel:BYTE_0 src1_sel:DWORD
	s_and_b64 vcc, exec, s[14:15]
	s_cbranch_vccz .LBB33_1981
; %bb.1972:
	v_mov_b32_e32 v9, 24
	v_cmp_lt_i16_sdwa s[14:15], v6, v9 src0_sel:BYTE_0 src1_sel:DWORD
	s_and_b64 vcc, exec, s[14:15]
	s_cbranch_vccnz .LBB33_1984
; %bb.1973:
	v_cmp_gt_i16_sdwa s[14:15], v6, v9 src0_sel:BYTE_0 src1_sel:DWORD
	s_and_b64 vcc, exec, s[14:15]
	s_cbranch_vccz .LBB33_1985
; %bb.1974:
	global_load_ubyte v12, v[0:1], off
	s_movk_i32 s14, 0x7f
                                        ; implicit-def: $sgpr22
	s_waitcnt vmcnt(0)
	v_cmp_lt_i16_e32 vcc, s14, v12
	s_mov_b64 s[14:15], 0
	s_and_saveexec_b64 s[16:17], vcc
	s_xor_b64 s[16:17], exec, s[16:17]
	s_cbranch_execz .LBB33_1997
; %bb.1975:
	s_movk_i32 s14, 0x80
	v_cmp_eq_u16_e32 vcc, s14, v12
	s_mov_b64 s[14:15], -1
                                        ; implicit-def: $sgpr22
	s_and_saveexec_b64 s[20:21], vcc
; %bb.1976:
	s_mov_b32 s22, 0x7f800001
	s_xor_b64 s[14:15], exec, -1
; %bb.1977:
	s_or_b64 exec, exec, s[20:21]
	s_and_b64 s[14:15], s[14:15], exec
	s_or_saveexec_b64 s[16:17], s[16:17]
	v_mov_b32_e32 v9, s22
	s_xor_b64 exec, exec, s[16:17]
	s_cbranch_execnz .LBB33_1998
.LBB33_1978:
	s_or_b64 exec, exec, s[16:17]
	s_and_saveexec_b64 s[16:17], s[14:15]
	s_cbranch_execz .LBB33_1980
.LBB33_1979:
	v_lshlrev_b32_e32 v9, 24, v12
	v_and_b32_e32 v12, 0xffff, v12
	v_and_b32_e32 v13, 3, v12
	v_ffbh_u32_e32 v15, v13
	v_min_u32_e32 v15, 32, v15
	v_subrev_u32_e32 v16, 29, v15
	v_bfe_u32 v14, v12, 2, 5
	v_lshlrev_b32_e32 v12, v16, v12
	v_sub_u32_e32 v15, 30, v15
	v_and_b32_e32 v12, 3, v12
	v_cmp_eq_u32_e32 vcc, 0, v14
	v_cndmask_b32_e32 v14, v14, v15, vcc
	v_cndmask_b32_e32 v12, v13, v12, vcc
	v_mov_b32_e32 v13, 0x37800000
	v_lshlrev_b32_e32 v12, 21, v12
	v_and_b32_e32 v9, 0x80000000, v9
	v_lshl_add_u32 v13, v14, 23, v13
	v_or3_b32 v9, v9, v13, v12
.LBB33_1980:
	s_or_b64 exec, exec, s[16:17]
	s_mov_b64 s[14:15], 0
	s_branch .LBB33_1986
.LBB33_1981:
	s_mov_b64 s[14:15], -1
                                        ; implicit-def: $vgpr9
	s_branch .LBB33_1992
.LBB33_1982:
	s_or_saveexec_b64 s[20:21], s[20:21]
	v_mov_b32_e32 v9, s25
	s_xor_b64 exec, exec, s[20:21]
	s_cbranch_execz .LBB33_1965
.LBB33_1983:
	v_cmp_ne_u16_e32 vcc, 0, v12
	s_andn2_b64 s[16:17], s[16:17], exec
	s_and_b64 s[22:23], vcc, exec
	v_mov_b32_e32 v9, 0
	s_or_b64 s[16:17], s[16:17], s[22:23]
	s_or_b64 exec, exec, s[20:21]
	s_and_saveexec_b64 s[20:21], s[16:17]
	s_cbranch_execnz .LBB33_1966
	s_branch .LBB33_1967
.LBB33_1984:
	s_mov_b64 s[14:15], -1
                                        ; implicit-def: $vgpr9
	s_branch .LBB33_1989
.LBB33_1985:
	s_mov_b64 s[14:15], -1
                                        ; implicit-def: $vgpr9
.LBB33_1986:
	s_and_b64 vcc, exec, s[14:15]
	s_cbranch_vccz .LBB33_1988
; %bb.1987:
	global_load_ubyte v9, v[0:1], off
	s_mov_b32 s14, 0x7f800000
	s_waitcnt vmcnt(0)
	v_lshlrev_b32_e32 v9, 24, v9
	v_and_b32_e32 v12, 0x7f000000, v9
	v_ffbh_u32_e32 v13, v12
	v_min_u32_e32 v13, 32, v13
	v_sub_u32_e64 v13, v13, 4 clamp
	v_lshlrev_b32_e32 v15, v13, v12
	v_lshlrev_b32_e32 v13, 23, v13
	v_lshrrev_b32_e32 v15, 4, v15
	v_add_u32_e32 v14, 0x1000000, v12
	v_sub_u32_e32 v13, v15, v13
	v_ashrrev_i32_e32 v14, 8, v14
	v_add_u32_e32 v13, 0x3c000000, v13
	v_and_or_b32 v13, v14, s14, v13
	v_cmp_ne_u32_e32 vcc, 0, v12
	v_cndmask_b32_e32 v12, 0, v13, vcc
	s_brev_b32 s14, 1
	v_and_or_b32 v9, v9, s14, v12
.LBB33_1988:
	s_mov_b64 s[14:15], 0
.LBB33_1989:
	s_andn2_b64 vcc, exec, s[14:15]
	s_cbranch_vccnz .LBB33_1991
; %bb.1990:
	global_load_ubyte v9, v[0:1], off
	s_movk_i32 s14, 0x7f00
	s_brev_b32 s15, 16
	s_waitcnt vmcnt(0)
	v_lshlrev_b16_e32 v12, 8, v9
	v_lshlrev_b32_e32 v9, 25, v9
	v_lshrrev_b32_e32 v13, 4, v9
	v_and_or_b32 v14, v12, s14, 0.5
	v_or_b32_e32 v13, 0x70000000, v13
	v_add_f32_e32 v14, -0.5, v14
	v_mul_f32_e32 v13, 0x7800000, v13
	v_cmp_gt_u32_e32 vcc, s15, v9
	v_bfe_i32 v12, v12, 0, 16
	v_cndmask_b32_e32 v9, v13, v14, vcc
	s_brev_b32 s14, 1
	v_and_or_b32 v9, v12, s14, v9
.LBB33_1991:
	s_mov_b64 s[14:15], 0
	s_mov_b64 s[16:17], -1
.LBB33_1992:
	s_andn2_b64 vcc, exec, s[14:15]
	s_mov_b64 s[14:15], 0
	s_cbranch_vccnz .LBB33_2003
; %bb.1993:
	v_mov_b32_e32 v9, 14
	v_cmp_gt_i16_sdwa s[14:15], v6, v9 src0_sel:BYTE_0 src1_sel:DWORD
	s_and_b64 vcc, exec, s[14:15]
	s_cbranch_vccz .LBB33_1996
; %bb.1994:
	v_mov_b32_e32 v9, 15
	v_cmp_eq_u16_sdwa s[0:1], v6, v9 src0_sel:BYTE_0 src1_sel:DWORD
	s_and_b64 vcc, exec, s[0:1]
	s_cbranch_vccz .LBB33_1999
; %bb.1995:
	global_load_ushort v9, v[0:1], off
	s_mov_b64 s[0:1], 0
	s_mov_b64 s[16:17], -1
	s_waitcnt vmcnt(0)
	v_lshlrev_b32_e32 v9, 16, v9
	s_branch .LBB33_2000
.LBB33_1996:
	s_mov_b64 s[20:21], -1
                                        ; implicit-def: $vgpr9
	s_branch .LBB33_2001
.LBB33_1997:
	s_or_saveexec_b64 s[16:17], s[16:17]
	v_mov_b32_e32 v9, s22
	s_xor_b64 exec, exec, s[16:17]
	s_cbranch_execz .LBB33_1978
.LBB33_1998:
	v_cmp_ne_u16_e32 vcc, 0, v12
	s_andn2_b64 s[14:15], s[14:15], exec
	s_and_b64 s[20:21], vcc, exec
	v_mov_b32_e32 v9, 0
	s_or_b64 s[14:15], s[14:15], s[20:21]
	s_or_b64 exec, exec, s[16:17]
	s_and_saveexec_b64 s[16:17], s[14:15]
	s_cbranch_execnz .LBB33_1979
	s_branch .LBB33_1980
.LBB33_1999:
	s_mov_b64 s[0:1], -1
                                        ; implicit-def: $vgpr9
.LBB33_2000:
	s_mov_b64 s[20:21], 0
.LBB33_2001:
	s_mov_b64 s[14:15], 0
	s_and_b64 vcc, exec, s[20:21]
	s_cbranch_vccz .LBB33_2003
; %bb.2002:
	v_mov_b32_e32 v9, 11
	v_cmp_ne_u16_sdwa s[0:1], v6, v9 src0_sel:BYTE_0 src1_sel:DWORD
	s_mov_b64 s[14:15], -1
                                        ; implicit-def: $vgpr9
.LBB33_2003:
	s_and_b64 vcc, exec, s[0:1]
	s_cbranch_vccnz .LBB33_2068
; %bb.2004:
	s_andn2_b64 vcc, exec, s[14:15]
	s_cbranch_vccnz .LBB33_2006
.LBB33_2005:
	global_load_ubyte v9, v[0:1], off
	s_mov_b64 s[16:17], -1
	s_waitcnt vmcnt(0)
	v_cmp_ne_u16_e32 vcc, 0, v9
	v_cndmask_b32_e64 v9, 0, 1.0, vcc
.LBB33_2006:
	s_mov_b64 s[0:1], 0
.LBB33_2007:
	s_and_b64 vcc, exec, s[0:1]
	s_cbranch_vccz .LBB33_2056
; %bb.2008:
	v_mov_b32_e32 v9, 5
	v_cmp_lt_i16_sdwa s[0:1], v6, v9 src0_sel:BYTE_0 src1_sel:DWORD
	s_and_b64 vcc, exec, s[0:1]
	s_cbranch_vccnz .LBB33_2013
; %bb.2009:
	v_mov_b32_e32 v9, 8
	v_cmp_lt_i16_sdwa s[0:1], v6, v9 src0_sel:BYTE_0 src1_sel:DWORD
	s_and_b64 vcc, exec, s[0:1]
	s_cbranch_vccnz .LBB33_2014
	;; [unrolled: 5-line block ×3, first 2 shown]
; %bb.2011:
	v_cmp_gt_i16_sdwa s[0:1], v6, v9 src0_sel:BYTE_0 src1_sel:DWORD
	s_and_b64 vcc, exec, s[0:1]
	s_cbranch_vccz .LBB33_2016
; %bb.2012:
	global_load_dwordx2 v[12:13], v[0:1], off
	s_mov_b64 s[0:1], 0
	s_waitcnt vmcnt(0)
	v_cvt_f32_f64_e32 v9, v[12:13]
	s_branch .LBB33_2017
.LBB33_2013:
	s_mov_b64 s[0:1], -1
                                        ; implicit-def: $vgpr9
	s_branch .LBB33_2035
.LBB33_2014:
	s_mov_b64 s[0:1], -1
                                        ; implicit-def: $vgpr9
	s_branch .LBB33_2023
.LBB33_2015:
	s_mov_b64 s[0:1], -1
                                        ; implicit-def: $vgpr9
	s_branch .LBB33_2020
.LBB33_2016:
	s_mov_b64 s[0:1], -1
                                        ; implicit-def: $vgpr9
.LBB33_2017:
	s_andn2_b64 vcc, exec, s[0:1]
	s_cbranch_vccnz .LBB33_2019
; %bb.2018:
	global_load_dword v9, v[0:1], off
.LBB33_2019:
	s_mov_b64 s[0:1], 0
.LBB33_2020:
	s_andn2_b64 vcc, exec, s[0:1]
	s_cbranch_vccnz .LBB33_2022
; %bb.2021:
	global_load_dword v9, v[0:1], off
	s_waitcnt vmcnt(0)
	v_cvt_f32_f16_e32 v9, v9
.LBB33_2022:
	s_mov_b64 s[0:1], 0
.LBB33_2023:
	s_andn2_b64 vcc, exec, s[0:1]
	s_cbranch_vccnz .LBB33_2034
; %bb.2024:
	s_waitcnt vmcnt(0)
	v_mov_b32_e32 v9, 6
	v_cmp_lt_i16_sdwa s[0:1], v6, v9 src0_sel:BYTE_0 src1_sel:DWORD
	s_and_b64 vcc, exec, s[0:1]
	s_cbranch_vccnz .LBB33_2027
; %bb.2025:
	v_cmp_gt_i16_sdwa s[0:1], v6, v9 src0_sel:BYTE_0 src1_sel:DWORD
	s_and_b64 vcc, exec, s[0:1]
	s_cbranch_vccz .LBB33_2028
; %bb.2026:
	global_load_dwordx2 v[12:13], v[0:1], off
	s_mov_b64 s[0:1], 0
	s_waitcnt vmcnt(0)
	v_cvt_f32_f64_e32 v9, v[12:13]
	s_branch .LBB33_2029
.LBB33_2027:
	s_mov_b64 s[0:1], -1
                                        ; implicit-def: $vgpr9
	s_branch .LBB33_2032
.LBB33_2028:
	s_mov_b64 s[0:1], -1
                                        ; implicit-def: $vgpr9
.LBB33_2029:
	s_andn2_b64 vcc, exec, s[0:1]
	s_cbranch_vccnz .LBB33_2031
; %bb.2030:
	global_load_dword v9, v[0:1], off
.LBB33_2031:
	s_mov_b64 s[0:1], 0
.LBB33_2032:
	s_andn2_b64 vcc, exec, s[0:1]
	s_cbranch_vccnz .LBB33_2034
; %bb.2033:
	global_load_ushort v9, v[0:1], off
	s_waitcnt vmcnt(0)
	v_cvt_f32_f16_e32 v9, v9
.LBB33_2034:
	s_mov_b64 s[0:1], 0
.LBB33_2035:
	s_andn2_b64 vcc, exec, s[0:1]
	s_cbranch_vccnz .LBB33_2055
; %bb.2036:
	s_waitcnt vmcnt(0)
	v_mov_b32_e32 v9, 2
	v_cmp_lt_i16_sdwa s[0:1], v6, v9 src0_sel:BYTE_0 src1_sel:DWORD
	s_and_b64 vcc, exec, s[0:1]
	s_cbranch_vccnz .LBB33_2040
; %bb.2037:
	v_mov_b32_e32 v9, 3
	v_cmp_lt_i16_sdwa s[0:1], v6, v9 src0_sel:BYTE_0 src1_sel:DWORD
	s_and_b64 vcc, exec, s[0:1]
	s_cbranch_vccnz .LBB33_2041
; %bb.2038:
	v_cmp_gt_i16_sdwa s[0:1], v6, v9 src0_sel:BYTE_0 src1_sel:DWORD
	s_and_b64 vcc, exec, s[0:1]
	s_cbranch_vccz .LBB33_2042
; %bb.2039:
	global_load_dwordx2 v[12:13], v[0:1], off
	s_mov_b64 s[0:1], 0
	s_waitcnt vmcnt(0)
	v_xor_b32_e32 v14, v12, v13
	v_ffbh_i32_e32 v9, v13
	v_ashrrev_i32_e32 v14, 31, v14
	v_add_u32_e32 v9, -1, v9
	v_add_u32_e32 v14, 32, v14
	v_min_u32_e32 v9, v9, v14
	v_lshlrev_b64 v[12:13], v9, v[12:13]
	v_min_u32_e32 v12, 1, v12
	v_or_b32_e32 v12, v13, v12
	v_cvt_f32_i32_e32 v12, v12
	v_sub_u32_e32 v9, 32, v9
	v_ldexp_f32 v9, v12, v9
	s_branch .LBB33_2043
.LBB33_2040:
	s_mov_b64 s[0:1], -1
                                        ; implicit-def: $vgpr9
	s_branch .LBB33_2049
.LBB33_2041:
	s_mov_b64 s[0:1], -1
                                        ; implicit-def: $vgpr9
	s_branch .LBB33_2046
.LBB33_2042:
	s_mov_b64 s[0:1], -1
                                        ; implicit-def: $vgpr9
.LBB33_2043:
	s_andn2_b64 vcc, exec, s[0:1]
	s_cbranch_vccnz .LBB33_2045
; %bb.2044:
	global_load_dword v9, v[0:1], off
	s_waitcnt vmcnt(0)
	v_cvt_f32_i32_e32 v9, v9
.LBB33_2045:
	s_mov_b64 s[0:1], 0
.LBB33_2046:
	s_andn2_b64 vcc, exec, s[0:1]
	s_cbranch_vccnz .LBB33_2048
; %bb.2047:
	global_load_sshort v9, v[0:1], off
	s_waitcnt vmcnt(0)
	v_cvt_f32_i32_e32 v9, v9
.LBB33_2048:
	s_mov_b64 s[0:1], 0
.LBB33_2049:
	s_andn2_b64 vcc, exec, s[0:1]
	s_cbranch_vccnz .LBB33_2055
; %bb.2050:
	v_mov_b32_e32 v9, 0
	v_cmp_gt_i16_sdwa s[0:1], v6, v9 src0_sel:BYTE_0 src1_sel:DWORD
	s_and_b64 vcc, exec, s[0:1]
	s_cbranch_vccz .LBB33_2052
; %bb.2051:
	global_load_sbyte v9, v[0:1], off
	s_mov_b64 s[0:1], 0
	s_waitcnt vmcnt(0)
	v_cvt_f32_i32_e32 v9, v9
	s_branch .LBB33_2053
.LBB33_2052:
	s_mov_b64 s[0:1], -1
                                        ; implicit-def: $vgpr9
.LBB33_2053:
	s_andn2_b64 vcc, exec, s[0:1]
	s_cbranch_vccnz .LBB33_2055
; %bb.2054:
	global_load_ubyte v0, v[0:1], off
	s_waitcnt vmcnt(0)
	v_cvt_f32_ubyte0_e32 v9, v0
.LBB33_2055:
	s_mov_b64 s[16:17], -1
.LBB33_2056:
	s_andn2_b64 vcc, exec, s[16:17]
	s_cbranch_vccnz .LBB33_3032
; %bb.2057:
	v_add_u32_e32 v12, s13, v10
	v_ashrrev_i32_e32 v1, 31, v12
	v_mov_b32_e32 v10, s11
	v_add_co_u32_e32 v0, vcc, s10, v12
	v_addc_co_u32_e32 v1, vcc, v10, v1, vcc
	v_mov_b32_e32 v10, 11
	v_cmp_lt_i16_sdwa s[0:1], v7, v10 src0_sel:BYTE_0 src1_sel:DWORD
	s_and_b64 vcc, exec, s[0:1]
	s_cbranch_vccnz .LBB33_2064
; %bb.2058:
	v_mov_b32_e32 v10, 25
	v_cmp_gt_i16_sdwa s[0:1], v7, v10 src0_sel:BYTE_0 src1_sel:DWORD
	s_mov_b64 s[14:15], 0
	s_and_b64 vcc, exec, s[0:1]
	s_cbranch_vccz .LBB33_2065
; %bb.2059:
	v_mov_b32_e32 v10, 28
	v_cmp_gt_i16_sdwa s[0:1], v7, v10 src0_sel:BYTE_0 src1_sel:DWORD
	s_and_b64 vcc, exec, s[0:1]
	s_cbranch_vccz .LBB33_2066
; %bb.2060:
	v_mov_b32_e32 v10, 43
	v_cmp_gt_i16_sdwa s[0:1], v7, v10 src0_sel:BYTE_0 src1_sel:DWORD
	;; [unrolled: 5-line block ×3, first 2 shown]
	s_and_b64 vcc, exec, s[0:1]
	s_cbranch_vccz .LBB33_2069
; %bb.2062:
	v_mov_b32_e32 v10, 46
	v_cmp_eq_u16_sdwa s[0:1], v7, v10 src0_sel:BYTE_0 src1_sel:DWORD
	s_mov_b64 s[20:21], 0
	s_and_b64 vcc, exec, s[0:1]
	s_cbranch_vccz .LBB33_2070
; %bb.2063:
	global_load_dword v10, v[0:1], off
	s_mov_b64 s[0:1], 0
	s_mov_b64 s[16:17], -1
	s_waitcnt vmcnt(0)
	v_lshlrev_b32_e32 v10, 16, v10
	s_branch .LBB33_2071
.LBB33_2064:
	s_mov_b64 s[0:1], -1
	s_mov_b64 s[16:17], 0
                                        ; implicit-def: $vgpr10
	s_branch .LBB33_2137
.LBB33_2065:
	s_mov_b64 s[20:21], -1
	s_mov_b64 s[16:17], 0
	s_mov_b64 s[0:1], 0
                                        ; implicit-def: $vgpr10
	s_branch .LBB33_2100
.LBB33_2066:
	s_mov_b64 s[20:21], -1
	s_mov_b64 s[16:17], 0
	s_mov_b64 s[0:1], 0
                                        ; implicit-def: $vgpr10
	s_branch .LBB33_2081
.LBB33_2067:
	s_mov_b64 s[20:21], -1
	s_mov_b64 s[16:17], 0
	s_mov_b64 s[0:1], 0
                                        ; implicit-def: $vgpr10
	s_branch .LBB33_2076
.LBB33_2068:
	s_trap 2
	s_or_b64 s[18:19], s[18:19], exec
                                        ; implicit-def: $vgpr9
	s_cbranch_execz .LBB33_2005
	s_branch .LBB33_2006
.LBB33_2069:
	s_mov_b64 s[20:21], -1
	s_mov_b64 s[16:17], 0
	s_mov_b64 s[0:1], 0
                                        ; implicit-def: $vgpr10
	s_branch .LBB33_2071
.LBB33_2070:
	s_mov_b64 s[0:1], -1
                                        ; implicit-def: $vgpr10
	s_mov_b64 s[16:17], 0
.LBB33_2071:
	s_and_b64 vcc, exec, s[20:21]
	s_cbranch_vccz .LBB33_2075
; %bb.2072:
	v_mov_b32_e32 v10, 44
	v_cmp_eq_u16_sdwa s[0:1], v7, v10 src0_sel:BYTE_0 src1_sel:DWORD
	s_and_b64 vcc, exec, s[0:1]
	s_cbranch_vccz .LBB33_2074
; %bb.2073:
	global_load_ubyte v10, v[0:1], off
	s_movk_i32 s16, 0xff
	v_mov_b32_e32 v13, 0x7f800001
	v_mov_b32_e32 v14, 0x400000
	s_mov_b64 s[0:1], 0
	s_waitcnt vmcnt(0)
	v_lshlrev_b32_e32 v15, 23, v10
	v_cmp_ne_u32_e32 vcc, s16, v10
	v_cndmask_b32_e32 v13, v13, v15, vcc
	v_cmp_ne_u32_e32 vcc, 0, v10
	v_cndmask_b32_e32 v10, v14, v13, vcc
	s_mov_b64 s[16:17], -1
	s_branch .LBB33_2075
.LBB33_2074:
	s_mov_b64 s[0:1], -1
                                        ; implicit-def: $vgpr10
.LBB33_2075:
	s_mov_b64 s[20:21], 0
.LBB33_2076:
	s_and_b64 vcc, exec, s[20:21]
	s_cbranch_vccz .LBB33_2080
; %bb.2077:
	v_mov_b32_e32 v10, 29
	v_cmp_eq_u16_sdwa s[0:1], v7, v10 src0_sel:BYTE_0 src1_sel:DWORD
	s_and_b64 vcc, exec, s[0:1]
	s_cbranch_vccz .LBB33_2079
; %bb.2078:
	global_load_dwordx2 v[14:15], v[0:1], off
	s_mov_b64 s[0:1], 0
	s_mov_b64 s[16:17], -1
	s_mov_b64 s[20:21], 0
	s_waitcnt vmcnt(0)
	v_ffbh_u32_e32 v10, v15
	v_min_u32_e32 v10, 32, v10
	v_lshlrev_b64 v[14:15], v10, v[14:15]
	v_min_u32_e32 v13, 1, v14
	v_or_b32_e32 v13, v15, v13
	v_cvt_f32_u32_e32 v13, v13
	v_sub_u32_e32 v10, 32, v10
	v_ldexp_f32 v10, v13, v10
	s_branch .LBB33_2081
.LBB33_2079:
	s_mov_b64 s[0:1], -1
                                        ; implicit-def: $vgpr10
.LBB33_2080:
	s_mov_b64 s[20:21], 0
.LBB33_2081:
	s_and_b64 vcc, exec, s[20:21]
	s_cbranch_vccz .LBB33_2099
; %bb.2082:
	v_mov_b32_e32 v10, 27
	v_cmp_lt_i16_sdwa s[16:17], v7, v10 src0_sel:BYTE_0 src1_sel:DWORD
	s_and_b64 vcc, exec, s[16:17]
	s_cbranch_vccnz .LBB33_2085
; %bb.2083:
	v_cmp_gt_i16_sdwa s[16:17], v7, v10 src0_sel:BYTE_0 src1_sel:DWORD
	s_and_b64 vcc, exec, s[16:17]
	s_cbranch_vccz .LBB33_2086
; %bb.2084:
	global_load_dword v10, v[0:1], off
	s_mov_b64 s[16:17], 0
	s_waitcnt vmcnt(0)
	v_cvt_f32_u32_e32 v10, v10
	s_branch .LBB33_2087
.LBB33_2085:
	s_mov_b64 s[16:17], -1
                                        ; implicit-def: $vgpr10
	s_branch .LBB33_2090
.LBB33_2086:
	s_mov_b64 s[16:17], -1
                                        ; implicit-def: $vgpr10
.LBB33_2087:
	s_andn2_b64 vcc, exec, s[16:17]
	s_cbranch_vccnz .LBB33_2089
; %bb.2088:
	global_load_ushort v10, v[0:1], off
	s_waitcnt vmcnt(0)
	v_cvt_f32_u32_e32 v10, v10
.LBB33_2089:
	s_mov_b64 s[16:17], 0
.LBB33_2090:
	s_andn2_b64 vcc, exec, s[16:17]
	s_cbranch_vccnz .LBB33_2098
; %bb.2091:
	global_load_ubyte v13, v[0:1], off
	s_movk_i32 s16, 0x7f
                                        ; implicit-def: $sgpr25
	s_waitcnt vmcnt(0)
	v_cmp_lt_i16_e32 vcc, s16, v13
	s_mov_b64 s[16:17], 0
	s_and_saveexec_b64 s[20:21], vcc
	s_xor_b64 s[20:21], exec, s[20:21]
	s_cbranch_execz .LBB33_2112
; %bb.2092:
	s_movk_i32 s16, 0x80
	v_cmp_eq_u16_e32 vcc, s16, v13
	s_mov_b64 s[16:17], -1
                                        ; implicit-def: $sgpr25
	s_and_saveexec_b64 s[22:23], vcc
; %bb.2093:
	s_mov_b32 s25, 0x7f800001
	s_xor_b64 s[16:17], exec, -1
; %bb.2094:
	s_or_b64 exec, exec, s[22:23]
	s_and_b64 s[16:17], s[16:17], exec
	s_or_saveexec_b64 s[20:21], s[20:21]
	v_mov_b32_e32 v10, s25
	s_xor_b64 exec, exec, s[20:21]
	s_cbranch_execnz .LBB33_2113
.LBB33_2095:
	s_or_b64 exec, exec, s[20:21]
	s_and_saveexec_b64 s[20:21], s[16:17]
	s_cbranch_execz .LBB33_2097
.LBB33_2096:
	v_lshlrev_b32_e32 v10, 24, v13
	v_and_b32_e32 v13, 0xffff, v13
	v_and_b32_e32 v14, 7, v13
	v_ffbh_u32_e32 v16, v14
	v_min_u32_e32 v16, 32, v16
	v_subrev_u32_e32 v17, 28, v16
	v_bfe_u32 v15, v13, 3, 4
	v_lshlrev_b32_e32 v13, v17, v13
	v_sub_u32_e32 v16, 29, v16
	v_and_b32_e32 v13, 7, v13
	v_cmp_eq_u32_e32 vcc, 0, v15
	v_cndmask_b32_e32 v15, v15, v16, vcc
	v_cndmask_b32_e32 v13, v14, v13, vcc
	v_mov_b32_e32 v14, 0x3b800000
	v_lshlrev_b32_e32 v13, 20, v13
	v_and_b32_e32 v10, 0x80000000, v10
	v_lshl_add_u32 v14, v15, 23, v14
	v_or3_b32 v10, v10, v14, v13
.LBB33_2097:
	s_or_b64 exec, exec, s[20:21]
.LBB33_2098:
	s_mov_b64 s[16:17], -1
.LBB33_2099:
	s_mov_b64 s[20:21], 0
.LBB33_2100:
	s_and_b64 vcc, exec, s[20:21]
	s_cbranch_vccz .LBB33_2133
; %bb.2101:
	v_mov_b32_e32 v10, 22
	v_cmp_gt_i16_sdwa s[14:15], v7, v10 src0_sel:BYTE_0 src1_sel:DWORD
	s_and_b64 vcc, exec, s[14:15]
	s_cbranch_vccz .LBB33_2111
; %bb.2102:
	v_mov_b32_e32 v10, 24
	v_cmp_lt_i16_sdwa s[14:15], v7, v10 src0_sel:BYTE_0 src1_sel:DWORD
	s_and_b64 vcc, exec, s[14:15]
	s_cbranch_vccnz .LBB33_2114
; %bb.2103:
	v_cmp_gt_i16_sdwa s[14:15], v7, v10 src0_sel:BYTE_0 src1_sel:DWORD
	s_and_b64 vcc, exec, s[14:15]
	s_cbranch_vccz .LBB33_2115
; %bb.2104:
	global_load_ubyte v13, v[0:1], off
	s_movk_i32 s14, 0x7f
                                        ; implicit-def: $sgpr22
	s_waitcnt vmcnt(0)
	v_cmp_lt_i16_e32 vcc, s14, v13
	s_mov_b64 s[14:15], 0
	s_and_saveexec_b64 s[16:17], vcc
	s_xor_b64 s[16:17], exec, s[16:17]
	s_cbranch_execz .LBB33_2127
; %bb.2105:
	s_movk_i32 s14, 0x80
	v_cmp_eq_u16_e32 vcc, s14, v13
	s_mov_b64 s[14:15], -1
                                        ; implicit-def: $sgpr22
	s_and_saveexec_b64 s[20:21], vcc
; %bb.2106:
	s_mov_b32 s22, 0x7f800001
	s_xor_b64 s[14:15], exec, -1
; %bb.2107:
	s_or_b64 exec, exec, s[20:21]
	s_and_b64 s[14:15], s[14:15], exec
	s_or_saveexec_b64 s[16:17], s[16:17]
	v_mov_b32_e32 v10, s22
	s_xor_b64 exec, exec, s[16:17]
	s_cbranch_execnz .LBB33_2128
.LBB33_2108:
	s_or_b64 exec, exec, s[16:17]
	s_and_saveexec_b64 s[16:17], s[14:15]
	s_cbranch_execz .LBB33_2110
.LBB33_2109:
	v_lshlrev_b32_e32 v10, 24, v13
	v_and_b32_e32 v13, 0xffff, v13
	v_and_b32_e32 v14, 3, v13
	v_ffbh_u32_e32 v16, v14
	v_min_u32_e32 v16, 32, v16
	v_subrev_u32_e32 v17, 29, v16
	v_bfe_u32 v15, v13, 2, 5
	v_lshlrev_b32_e32 v13, v17, v13
	v_sub_u32_e32 v16, 30, v16
	v_and_b32_e32 v13, 3, v13
	v_cmp_eq_u32_e32 vcc, 0, v15
	v_cndmask_b32_e32 v15, v15, v16, vcc
	v_cndmask_b32_e32 v13, v14, v13, vcc
	v_mov_b32_e32 v14, 0x37800000
	v_lshlrev_b32_e32 v13, 21, v13
	v_and_b32_e32 v10, 0x80000000, v10
	v_lshl_add_u32 v14, v15, 23, v14
	v_or3_b32 v10, v10, v14, v13
.LBB33_2110:
	s_or_b64 exec, exec, s[16:17]
	s_mov_b64 s[14:15], 0
	s_branch .LBB33_2116
.LBB33_2111:
	s_mov_b64 s[14:15], -1
                                        ; implicit-def: $vgpr10
	s_branch .LBB33_2122
.LBB33_2112:
	s_or_saveexec_b64 s[20:21], s[20:21]
	v_mov_b32_e32 v10, s25
	s_xor_b64 exec, exec, s[20:21]
	s_cbranch_execz .LBB33_2095
.LBB33_2113:
	v_cmp_ne_u16_e32 vcc, 0, v13
	s_andn2_b64 s[16:17], s[16:17], exec
	s_and_b64 s[22:23], vcc, exec
	v_mov_b32_e32 v10, 0
	s_or_b64 s[16:17], s[16:17], s[22:23]
	s_or_b64 exec, exec, s[20:21]
	s_and_saveexec_b64 s[20:21], s[16:17]
	s_cbranch_execnz .LBB33_2096
	s_branch .LBB33_2097
.LBB33_2114:
	s_mov_b64 s[14:15], -1
                                        ; implicit-def: $vgpr10
	s_branch .LBB33_2119
.LBB33_2115:
	s_mov_b64 s[14:15], -1
                                        ; implicit-def: $vgpr10
.LBB33_2116:
	s_and_b64 vcc, exec, s[14:15]
	s_cbranch_vccz .LBB33_2118
; %bb.2117:
	global_load_ubyte v10, v[0:1], off
	s_mov_b32 s14, 0x7f800000
	s_waitcnt vmcnt(0)
	v_lshlrev_b32_e32 v10, 24, v10
	v_and_b32_e32 v13, 0x7f000000, v10
	v_ffbh_u32_e32 v14, v13
	v_min_u32_e32 v14, 32, v14
	v_sub_u32_e64 v14, v14, 4 clamp
	v_lshlrev_b32_e32 v16, v14, v13
	v_lshlrev_b32_e32 v14, 23, v14
	v_lshrrev_b32_e32 v16, 4, v16
	v_add_u32_e32 v15, 0x1000000, v13
	v_sub_u32_e32 v14, v16, v14
	v_ashrrev_i32_e32 v15, 8, v15
	v_add_u32_e32 v14, 0x3c000000, v14
	v_and_or_b32 v14, v15, s14, v14
	v_cmp_ne_u32_e32 vcc, 0, v13
	v_cndmask_b32_e32 v13, 0, v14, vcc
	s_brev_b32 s14, 1
	v_and_or_b32 v10, v10, s14, v13
.LBB33_2118:
	s_mov_b64 s[14:15], 0
.LBB33_2119:
	s_andn2_b64 vcc, exec, s[14:15]
	s_cbranch_vccnz .LBB33_2121
; %bb.2120:
	global_load_ubyte v10, v[0:1], off
	s_movk_i32 s14, 0x7f00
	s_brev_b32 s15, 16
	s_waitcnt vmcnt(0)
	v_lshlrev_b16_e32 v13, 8, v10
	v_lshlrev_b32_e32 v10, 25, v10
	v_lshrrev_b32_e32 v14, 4, v10
	v_and_or_b32 v15, v13, s14, 0.5
	v_or_b32_e32 v14, 0x70000000, v14
	v_add_f32_e32 v15, -0.5, v15
	v_mul_f32_e32 v14, 0x7800000, v14
	v_cmp_gt_u32_e32 vcc, s15, v10
	v_bfe_i32 v13, v13, 0, 16
	v_cndmask_b32_e32 v10, v14, v15, vcc
	s_brev_b32 s14, 1
	v_and_or_b32 v10, v13, s14, v10
.LBB33_2121:
	s_mov_b64 s[14:15], 0
	s_mov_b64 s[16:17], -1
.LBB33_2122:
	s_andn2_b64 vcc, exec, s[14:15]
	s_mov_b64 s[14:15], 0
	s_cbranch_vccnz .LBB33_2133
; %bb.2123:
	v_mov_b32_e32 v10, 14
	v_cmp_gt_i16_sdwa s[14:15], v7, v10 src0_sel:BYTE_0 src1_sel:DWORD
	s_and_b64 vcc, exec, s[14:15]
	s_cbranch_vccz .LBB33_2126
; %bb.2124:
	v_mov_b32_e32 v10, 15
	v_cmp_eq_u16_sdwa s[0:1], v7, v10 src0_sel:BYTE_0 src1_sel:DWORD
	s_and_b64 vcc, exec, s[0:1]
	s_cbranch_vccz .LBB33_2129
; %bb.2125:
	global_load_ushort v10, v[0:1], off
	s_mov_b64 s[0:1], 0
	s_mov_b64 s[16:17], -1
	s_waitcnt vmcnt(0)
	v_lshlrev_b32_e32 v10, 16, v10
	s_branch .LBB33_2130
.LBB33_2126:
	s_mov_b64 s[20:21], -1
                                        ; implicit-def: $vgpr10
	s_branch .LBB33_2131
.LBB33_2127:
	s_or_saveexec_b64 s[16:17], s[16:17]
	v_mov_b32_e32 v10, s22
	s_xor_b64 exec, exec, s[16:17]
	s_cbranch_execz .LBB33_2108
.LBB33_2128:
	v_cmp_ne_u16_e32 vcc, 0, v13
	s_andn2_b64 s[14:15], s[14:15], exec
	s_and_b64 s[20:21], vcc, exec
	v_mov_b32_e32 v10, 0
	s_or_b64 s[14:15], s[14:15], s[20:21]
	s_or_b64 exec, exec, s[16:17]
	s_and_saveexec_b64 s[16:17], s[14:15]
	s_cbranch_execnz .LBB33_2109
	s_branch .LBB33_2110
.LBB33_2129:
	s_mov_b64 s[0:1], -1
                                        ; implicit-def: $vgpr10
.LBB33_2130:
	s_mov_b64 s[20:21], 0
.LBB33_2131:
	s_mov_b64 s[14:15], 0
	s_and_b64 vcc, exec, s[20:21]
	s_cbranch_vccz .LBB33_2133
; %bb.2132:
	v_mov_b32_e32 v10, 11
	v_cmp_ne_u16_sdwa s[0:1], v7, v10 src0_sel:BYTE_0 src1_sel:DWORD
	s_mov_b64 s[14:15], -1
                                        ; implicit-def: $vgpr10
.LBB33_2133:
	s_and_b64 vcc, exec, s[0:1]
	s_cbranch_vccnz .LBB33_2198
; %bb.2134:
	s_andn2_b64 vcc, exec, s[14:15]
	s_cbranch_vccnz .LBB33_2136
.LBB33_2135:
	global_load_ubyte v10, v[0:1], off
	s_mov_b64 s[16:17], -1
	s_waitcnt vmcnt(0)
	v_cmp_ne_u16_e32 vcc, 0, v10
	v_cndmask_b32_e64 v10, 0, 1.0, vcc
.LBB33_2136:
	s_mov_b64 s[0:1], 0
.LBB33_2137:
	s_and_b64 vcc, exec, s[0:1]
	s_cbranch_vccz .LBB33_2186
; %bb.2138:
	v_mov_b32_e32 v10, 5
	v_cmp_lt_i16_sdwa s[0:1], v7, v10 src0_sel:BYTE_0 src1_sel:DWORD
	s_and_b64 vcc, exec, s[0:1]
	s_cbranch_vccnz .LBB33_2143
; %bb.2139:
	v_mov_b32_e32 v10, 8
	v_cmp_lt_i16_sdwa s[0:1], v7, v10 src0_sel:BYTE_0 src1_sel:DWORD
	s_and_b64 vcc, exec, s[0:1]
	s_cbranch_vccnz .LBB33_2144
	;; [unrolled: 5-line block ×3, first 2 shown]
; %bb.2141:
	v_cmp_gt_i16_sdwa s[0:1], v7, v10 src0_sel:BYTE_0 src1_sel:DWORD
	s_and_b64 vcc, exec, s[0:1]
	s_cbranch_vccz .LBB33_2146
; %bb.2142:
	global_load_dwordx2 v[14:15], v[0:1], off
	s_mov_b64 s[0:1], 0
	s_waitcnt vmcnt(0)
	v_cvt_f32_f64_e32 v10, v[14:15]
	s_branch .LBB33_2147
.LBB33_2143:
	s_mov_b64 s[0:1], -1
                                        ; implicit-def: $vgpr10
	s_branch .LBB33_2165
.LBB33_2144:
	s_mov_b64 s[0:1], -1
                                        ; implicit-def: $vgpr10
	s_branch .LBB33_2153
.LBB33_2145:
	s_mov_b64 s[0:1], -1
                                        ; implicit-def: $vgpr10
	s_branch .LBB33_2150
.LBB33_2146:
	s_mov_b64 s[0:1], -1
                                        ; implicit-def: $vgpr10
.LBB33_2147:
	s_andn2_b64 vcc, exec, s[0:1]
	s_cbranch_vccnz .LBB33_2149
; %bb.2148:
	global_load_dword v10, v[0:1], off
.LBB33_2149:
	s_mov_b64 s[0:1], 0
.LBB33_2150:
	s_andn2_b64 vcc, exec, s[0:1]
	s_cbranch_vccnz .LBB33_2152
; %bb.2151:
	global_load_dword v10, v[0:1], off
	s_waitcnt vmcnt(0)
	v_cvt_f32_f16_e32 v10, v10
.LBB33_2152:
	s_mov_b64 s[0:1], 0
.LBB33_2153:
	s_andn2_b64 vcc, exec, s[0:1]
	s_cbranch_vccnz .LBB33_2164
; %bb.2154:
	s_waitcnt vmcnt(0)
	v_mov_b32_e32 v10, 6
	v_cmp_lt_i16_sdwa s[0:1], v7, v10 src0_sel:BYTE_0 src1_sel:DWORD
	s_and_b64 vcc, exec, s[0:1]
	s_cbranch_vccnz .LBB33_2157
; %bb.2155:
	v_cmp_gt_i16_sdwa s[0:1], v7, v10 src0_sel:BYTE_0 src1_sel:DWORD
	s_and_b64 vcc, exec, s[0:1]
	s_cbranch_vccz .LBB33_2158
; %bb.2156:
	global_load_dwordx2 v[14:15], v[0:1], off
	s_mov_b64 s[0:1], 0
	s_waitcnt vmcnt(0)
	v_cvt_f32_f64_e32 v10, v[14:15]
	s_branch .LBB33_2159
.LBB33_2157:
	s_mov_b64 s[0:1], -1
                                        ; implicit-def: $vgpr10
	s_branch .LBB33_2162
.LBB33_2158:
	s_mov_b64 s[0:1], -1
                                        ; implicit-def: $vgpr10
.LBB33_2159:
	s_andn2_b64 vcc, exec, s[0:1]
	s_cbranch_vccnz .LBB33_2161
; %bb.2160:
	global_load_dword v10, v[0:1], off
.LBB33_2161:
	s_mov_b64 s[0:1], 0
.LBB33_2162:
	s_andn2_b64 vcc, exec, s[0:1]
	s_cbranch_vccnz .LBB33_2164
; %bb.2163:
	global_load_ushort v10, v[0:1], off
	s_waitcnt vmcnt(0)
	v_cvt_f32_f16_e32 v10, v10
.LBB33_2164:
	s_mov_b64 s[0:1], 0
.LBB33_2165:
	s_andn2_b64 vcc, exec, s[0:1]
	s_cbranch_vccnz .LBB33_2185
; %bb.2166:
	s_waitcnt vmcnt(0)
	v_mov_b32_e32 v10, 2
	v_cmp_lt_i16_sdwa s[0:1], v7, v10 src0_sel:BYTE_0 src1_sel:DWORD
	s_and_b64 vcc, exec, s[0:1]
	s_cbranch_vccnz .LBB33_2170
; %bb.2167:
	v_mov_b32_e32 v10, 3
	v_cmp_lt_i16_sdwa s[0:1], v7, v10 src0_sel:BYTE_0 src1_sel:DWORD
	s_and_b64 vcc, exec, s[0:1]
	s_cbranch_vccnz .LBB33_2171
; %bb.2168:
	v_cmp_gt_i16_sdwa s[0:1], v7, v10 src0_sel:BYTE_0 src1_sel:DWORD
	s_and_b64 vcc, exec, s[0:1]
	s_cbranch_vccz .LBB33_2172
; %bb.2169:
	global_load_dwordx2 v[14:15], v[0:1], off
	s_mov_b64 s[0:1], 0
	s_waitcnt vmcnt(0)
	v_xor_b32_e32 v13, v14, v15
	v_ffbh_i32_e32 v10, v15
	v_ashrrev_i32_e32 v13, 31, v13
	v_add_u32_e32 v10, -1, v10
	v_add_u32_e32 v13, 32, v13
	v_min_u32_e32 v10, v10, v13
	v_lshlrev_b64 v[14:15], v10, v[14:15]
	v_min_u32_e32 v13, 1, v14
	v_or_b32_e32 v13, v15, v13
	v_cvt_f32_i32_e32 v13, v13
	v_sub_u32_e32 v10, 32, v10
	v_ldexp_f32 v10, v13, v10
	s_branch .LBB33_2173
.LBB33_2170:
	s_mov_b64 s[0:1], -1
                                        ; implicit-def: $vgpr10
	s_branch .LBB33_2179
.LBB33_2171:
	s_mov_b64 s[0:1], -1
                                        ; implicit-def: $vgpr10
	s_branch .LBB33_2176
.LBB33_2172:
	s_mov_b64 s[0:1], -1
                                        ; implicit-def: $vgpr10
.LBB33_2173:
	s_andn2_b64 vcc, exec, s[0:1]
	s_cbranch_vccnz .LBB33_2175
; %bb.2174:
	global_load_dword v10, v[0:1], off
	s_waitcnt vmcnt(0)
	v_cvt_f32_i32_e32 v10, v10
.LBB33_2175:
	s_mov_b64 s[0:1], 0
.LBB33_2176:
	s_andn2_b64 vcc, exec, s[0:1]
	s_cbranch_vccnz .LBB33_2178
; %bb.2177:
	global_load_sshort v10, v[0:1], off
	s_waitcnt vmcnt(0)
	v_cvt_f32_i32_e32 v10, v10
.LBB33_2178:
	s_mov_b64 s[0:1], 0
.LBB33_2179:
	s_andn2_b64 vcc, exec, s[0:1]
	s_cbranch_vccnz .LBB33_2185
; %bb.2180:
	v_mov_b32_e32 v10, 0
	v_cmp_gt_i16_sdwa s[0:1], v7, v10 src0_sel:BYTE_0 src1_sel:DWORD
	s_and_b64 vcc, exec, s[0:1]
	s_cbranch_vccz .LBB33_2182
; %bb.2181:
	global_load_sbyte v10, v[0:1], off
	s_mov_b64 s[0:1], 0
	s_waitcnt vmcnt(0)
	v_cvt_f32_i32_e32 v10, v10
	s_branch .LBB33_2183
.LBB33_2182:
	s_mov_b64 s[0:1], -1
                                        ; implicit-def: $vgpr10
.LBB33_2183:
	s_andn2_b64 vcc, exec, s[0:1]
	s_cbranch_vccnz .LBB33_2185
; %bb.2184:
	global_load_ubyte v0, v[0:1], off
	s_waitcnt vmcnt(0)
	v_cvt_f32_ubyte0_e32 v10, v0
.LBB33_2185:
	s_mov_b64 s[16:17], -1
.LBB33_2186:
	s_andn2_b64 vcc, exec, s[16:17]
	s_cbranch_vccnz .LBB33_3032
; %bb.2187:
	v_add_u32_e32 v13, s24, v11
	v_ashrrev_i32_e32 v1, 31, v13
	v_mov_b32_e32 v11, s3
	v_add_co_u32_e32 v0, vcc, s2, v13
	v_addc_co_u32_e32 v1, vcc, v11, v1, vcc
	v_mov_b32_e32 v11, 11
	v_cmp_lt_i16_sdwa s[0:1], v6, v11 src0_sel:BYTE_0 src1_sel:DWORD
	s_and_b64 vcc, exec, s[0:1]
	s_cbranch_vccnz .LBB33_2194
; %bb.2188:
	v_mov_b32_e32 v11, 25
	v_cmp_gt_i16_sdwa s[0:1], v6, v11 src0_sel:BYTE_0 src1_sel:DWORD
	s_mov_b64 s[14:15], 0
	s_and_b64 vcc, exec, s[0:1]
	s_cbranch_vccz .LBB33_2195
; %bb.2189:
	v_mov_b32_e32 v11, 28
	v_cmp_gt_i16_sdwa s[0:1], v6, v11 src0_sel:BYTE_0 src1_sel:DWORD
	s_and_b64 vcc, exec, s[0:1]
	s_cbranch_vccz .LBB33_2196
; %bb.2190:
	v_mov_b32_e32 v11, 43
	v_cmp_gt_i16_sdwa s[0:1], v6, v11 src0_sel:BYTE_0 src1_sel:DWORD
	;; [unrolled: 5-line block ×3, first 2 shown]
	s_and_b64 vcc, exec, s[0:1]
	s_cbranch_vccz .LBB33_2199
; %bb.2192:
	v_mov_b32_e32 v11, 46
	v_cmp_eq_u16_sdwa s[0:1], v6, v11 src0_sel:BYTE_0 src1_sel:DWORD
	s_mov_b64 s[20:21], 0
	s_and_b64 vcc, exec, s[0:1]
	s_cbranch_vccz .LBB33_2202
; %bb.2193:
	global_load_dword v11, v[0:1], off
	s_mov_b64 s[0:1], 0
	s_mov_b64 s[16:17], -1
	s_waitcnt vmcnt(0)
	v_lshlrev_b32_e32 v11, 16, v11
	s_branch .LBB33_2203
.LBB33_2194:
	s_mov_b64 s[0:1], -1
	s_mov_b64 s[16:17], 0
                                        ; implicit-def: $vgpr11
	s_branch .LBB33_2269
.LBB33_2195:
	s_mov_b64 s[20:21], -1
	s_mov_b64 s[16:17], 0
	s_mov_b64 s[0:1], 0
                                        ; implicit-def: $vgpr11
	s_branch .LBB33_2232
.LBB33_2196:
	s_mov_b64 s[20:21], -1
	s_mov_b64 s[16:17], 0
	s_mov_b64 s[0:1], 0
                                        ; implicit-def: $vgpr11
	s_branch .LBB33_2213
.LBB33_2197:
	s_mov_b64 s[20:21], -1
	s_mov_b64 s[16:17], 0
	s_mov_b64 s[0:1], 0
                                        ; implicit-def: $vgpr11
	s_branch .LBB33_2208
.LBB33_2198:
	s_trap 2
	s_or_b64 s[18:19], s[18:19], exec
                                        ; implicit-def: $vgpr10
	s_cbranch_execz .LBB33_2135
	s_branch .LBB33_2136
.LBB33_2199:
	s_mov_b64 s[20:21], -1
	s_mov_b64 s[16:17], 0
	s_mov_b64 s[0:1], 0
                                        ; implicit-def: $vgpr11
	s_branch .LBB33_2203
.LBB33_2200:
	s_or_saveexec_b64 s[44:45], s[44:45]
                                        ; implicit-def: $sgpr15
	s_xor_b64 exec, exec, s[44:45]
	s_cbranch_execz .LBB33_1085
.LBB33_2201:
	s_mov_b32 s15, 0x42800000
	v_add_f32_e64 v3, |v2|, s15
	v_and_b32_e32 v3, 0xff, v3
	v_cmp_ne_u32_e32 vcc, 0, v3
	s_andn2_b64 s[42:43], s[42:43], exec
	s_and_b64 s[46:47], vcc, exec
	s_mov_b32 s15, 0
	s_or_b64 s[42:43], s[42:43], s[46:47]
	s_or_b64 exec, exec, s[44:45]
	v_mov_b32_e32 v8, s15
	s_and_saveexec_b64 s[44:45], s[42:43]
	s_cbranch_execnz .LBB33_1086
	s_branch .LBB33_1087
.LBB33_2202:
	s_mov_b64 s[0:1], -1
                                        ; implicit-def: $vgpr11
	s_mov_b64 s[16:17], 0
.LBB33_2203:
	s_and_b64 vcc, exec, s[20:21]
	s_cbranch_vccz .LBB33_2207
; %bb.2204:
	v_mov_b32_e32 v11, 44
	v_cmp_eq_u16_sdwa s[0:1], v6, v11 src0_sel:BYTE_0 src1_sel:DWORD
	s_and_b64 vcc, exec, s[0:1]
	s_cbranch_vccz .LBB33_2206
; %bb.2205:
	global_load_ubyte v11, v[0:1], off
	s_movk_i32 s16, 0xff
	v_mov_b32_e32 v14, 0x7f800001
	v_mov_b32_e32 v15, 0x400000
	s_mov_b64 s[0:1], 0
	s_waitcnt vmcnt(0)
	v_lshlrev_b32_e32 v16, 23, v11
	v_cmp_ne_u32_e32 vcc, s16, v11
	v_cndmask_b32_e32 v14, v14, v16, vcc
	v_cmp_ne_u32_e32 vcc, 0, v11
	v_cndmask_b32_e32 v11, v15, v14, vcc
	s_mov_b64 s[16:17], -1
	s_branch .LBB33_2207
.LBB33_2206:
	s_mov_b64 s[0:1], -1
                                        ; implicit-def: $vgpr11
.LBB33_2207:
	s_mov_b64 s[20:21], 0
.LBB33_2208:
	s_and_b64 vcc, exec, s[20:21]
	s_cbranch_vccz .LBB33_2212
; %bb.2209:
	v_mov_b32_e32 v11, 29
	v_cmp_eq_u16_sdwa s[0:1], v6, v11 src0_sel:BYTE_0 src1_sel:DWORD
	s_and_b64 vcc, exec, s[0:1]
	s_cbranch_vccz .LBB33_2211
; %bb.2210:
	global_load_dwordx2 v[14:15], v[0:1], off
	s_mov_b64 s[0:1], 0
	s_mov_b64 s[16:17], -1
	s_mov_b64 s[20:21], 0
	s_waitcnt vmcnt(0)
	v_ffbh_u32_e32 v11, v15
	v_min_u32_e32 v11, 32, v11
	v_lshlrev_b64 v[14:15], v11, v[14:15]
	v_min_u32_e32 v14, 1, v14
	v_or_b32_e32 v14, v15, v14
	v_cvt_f32_u32_e32 v14, v14
	v_sub_u32_e32 v11, 32, v11
	v_ldexp_f32 v11, v14, v11
	s_branch .LBB33_2213
.LBB33_2211:
	s_mov_b64 s[0:1], -1
                                        ; implicit-def: $vgpr11
.LBB33_2212:
	s_mov_b64 s[20:21], 0
.LBB33_2213:
	s_and_b64 vcc, exec, s[20:21]
	s_cbranch_vccz .LBB33_2231
; %bb.2214:
	v_mov_b32_e32 v11, 27
	v_cmp_lt_i16_sdwa s[16:17], v6, v11 src0_sel:BYTE_0 src1_sel:DWORD
	s_and_b64 vcc, exec, s[16:17]
	s_cbranch_vccnz .LBB33_2217
; %bb.2215:
	v_cmp_gt_i16_sdwa s[16:17], v6, v11 src0_sel:BYTE_0 src1_sel:DWORD
	s_and_b64 vcc, exec, s[16:17]
	s_cbranch_vccz .LBB33_2218
; %bb.2216:
	global_load_dword v11, v[0:1], off
	s_mov_b64 s[16:17], 0
	s_waitcnt vmcnt(0)
	v_cvt_f32_u32_e32 v11, v11
	s_branch .LBB33_2219
.LBB33_2217:
	s_mov_b64 s[16:17], -1
                                        ; implicit-def: $vgpr11
	s_branch .LBB33_2222
.LBB33_2218:
	s_mov_b64 s[16:17], -1
                                        ; implicit-def: $vgpr11
.LBB33_2219:
	s_andn2_b64 vcc, exec, s[16:17]
	s_cbranch_vccnz .LBB33_2221
; %bb.2220:
	global_load_ushort v11, v[0:1], off
	s_waitcnt vmcnt(0)
	v_cvt_f32_u32_e32 v11, v11
.LBB33_2221:
	s_mov_b64 s[16:17], 0
.LBB33_2222:
	s_andn2_b64 vcc, exec, s[16:17]
	s_cbranch_vccnz .LBB33_2230
; %bb.2223:
	global_load_ubyte v14, v[0:1], off
	s_movk_i32 s16, 0x7f
                                        ; implicit-def: $sgpr25
	s_waitcnt vmcnt(0)
	v_cmp_lt_i16_e32 vcc, s16, v14
	s_mov_b64 s[16:17], 0
	s_and_saveexec_b64 s[20:21], vcc
	s_xor_b64 s[20:21], exec, s[20:21]
	s_cbranch_execz .LBB33_2244
; %bb.2224:
	s_movk_i32 s16, 0x80
	v_cmp_eq_u16_e32 vcc, s16, v14
	s_mov_b64 s[16:17], -1
                                        ; implicit-def: $sgpr25
	s_and_saveexec_b64 s[22:23], vcc
; %bb.2225:
	s_mov_b32 s25, 0x7f800001
	s_xor_b64 s[16:17], exec, -1
; %bb.2226:
	s_or_b64 exec, exec, s[22:23]
	s_and_b64 s[16:17], s[16:17], exec
	s_or_saveexec_b64 s[20:21], s[20:21]
	v_mov_b32_e32 v11, s25
	s_xor_b64 exec, exec, s[20:21]
	s_cbranch_execnz .LBB33_2245
.LBB33_2227:
	s_or_b64 exec, exec, s[20:21]
	s_and_saveexec_b64 s[20:21], s[16:17]
	s_cbranch_execz .LBB33_2229
.LBB33_2228:
	v_lshlrev_b32_e32 v11, 24, v14
	v_and_b32_e32 v14, 0xffff, v14
	v_and_b32_e32 v15, 7, v14
	v_ffbh_u32_e32 v17, v15
	v_min_u32_e32 v17, 32, v17
	v_subrev_u32_e32 v18, 28, v17
	v_bfe_u32 v16, v14, 3, 4
	v_lshlrev_b32_e32 v14, v18, v14
	v_sub_u32_e32 v17, 29, v17
	v_and_b32_e32 v14, 7, v14
	v_cmp_eq_u32_e32 vcc, 0, v16
	v_cndmask_b32_e32 v16, v16, v17, vcc
	v_cndmask_b32_e32 v14, v15, v14, vcc
	v_mov_b32_e32 v15, 0x3b800000
	v_lshlrev_b32_e32 v14, 20, v14
	v_and_b32_e32 v11, 0x80000000, v11
	v_lshl_add_u32 v15, v16, 23, v15
	v_or3_b32 v11, v11, v15, v14
.LBB33_2229:
	s_or_b64 exec, exec, s[20:21]
.LBB33_2230:
	s_mov_b64 s[16:17], -1
.LBB33_2231:
	s_mov_b64 s[20:21], 0
.LBB33_2232:
	s_and_b64 vcc, exec, s[20:21]
	s_cbranch_vccz .LBB33_2265
; %bb.2233:
	v_mov_b32_e32 v11, 22
	v_cmp_gt_i16_sdwa s[14:15], v6, v11 src0_sel:BYTE_0 src1_sel:DWORD
	s_and_b64 vcc, exec, s[14:15]
	s_cbranch_vccz .LBB33_2243
; %bb.2234:
	v_mov_b32_e32 v11, 24
	v_cmp_lt_i16_sdwa s[14:15], v6, v11 src0_sel:BYTE_0 src1_sel:DWORD
	s_and_b64 vcc, exec, s[14:15]
	s_cbranch_vccnz .LBB33_2246
; %bb.2235:
	v_cmp_gt_i16_sdwa s[14:15], v6, v11 src0_sel:BYTE_0 src1_sel:DWORD
	s_and_b64 vcc, exec, s[14:15]
	s_cbranch_vccz .LBB33_2247
; %bb.2236:
	global_load_ubyte v14, v[0:1], off
	s_movk_i32 s14, 0x7f
                                        ; implicit-def: $sgpr22
	s_waitcnt vmcnt(0)
	v_cmp_lt_i16_e32 vcc, s14, v14
	s_mov_b64 s[14:15], 0
	s_and_saveexec_b64 s[16:17], vcc
	s_xor_b64 s[16:17], exec, s[16:17]
	s_cbranch_execz .LBB33_2259
; %bb.2237:
	s_movk_i32 s14, 0x80
	v_cmp_eq_u16_e32 vcc, s14, v14
	s_mov_b64 s[14:15], -1
                                        ; implicit-def: $sgpr22
	s_and_saveexec_b64 s[20:21], vcc
; %bb.2238:
	s_mov_b32 s22, 0x7f800001
	s_xor_b64 s[14:15], exec, -1
; %bb.2239:
	s_or_b64 exec, exec, s[20:21]
	s_and_b64 s[14:15], s[14:15], exec
	s_or_saveexec_b64 s[16:17], s[16:17]
	v_mov_b32_e32 v11, s22
	s_xor_b64 exec, exec, s[16:17]
	s_cbranch_execnz .LBB33_2260
.LBB33_2240:
	s_or_b64 exec, exec, s[16:17]
	s_and_saveexec_b64 s[16:17], s[14:15]
	s_cbranch_execz .LBB33_2242
.LBB33_2241:
	v_lshlrev_b32_e32 v11, 24, v14
	v_and_b32_e32 v14, 0xffff, v14
	v_and_b32_e32 v15, 3, v14
	v_ffbh_u32_e32 v17, v15
	v_min_u32_e32 v17, 32, v17
	v_subrev_u32_e32 v18, 29, v17
	v_bfe_u32 v16, v14, 2, 5
	v_lshlrev_b32_e32 v14, v18, v14
	v_sub_u32_e32 v17, 30, v17
	v_and_b32_e32 v14, 3, v14
	v_cmp_eq_u32_e32 vcc, 0, v16
	v_cndmask_b32_e32 v16, v16, v17, vcc
	v_cndmask_b32_e32 v14, v15, v14, vcc
	v_mov_b32_e32 v15, 0x37800000
	v_lshlrev_b32_e32 v14, 21, v14
	v_and_b32_e32 v11, 0x80000000, v11
	v_lshl_add_u32 v15, v16, 23, v15
	v_or3_b32 v11, v11, v15, v14
.LBB33_2242:
	s_or_b64 exec, exec, s[16:17]
	s_mov_b64 s[14:15], 0
	s_branch .LBB33_2248
.LBB33_2243:
	s_mov_b64 s[14:15], -1
                                        ; implicit-def: $vgpr11
	s_branch .LBB33_2254
.LBB33_2244:
	s_or_saveexec_b64 s[20:21], s[20:21]
	v_mov_b32_e32 v11, s25
	s_xor_b64 exec, exec, s[20:21]
	s_cbranch_execz .LBB33_2227
.LBB33_2245:
	v_cmp_ne_u16_e32 vcc, 0, v14
	s_andn2_b64 s[16:17], s[16:17], exec
	s_and_b64 s[22:23], vcc, exec
	v_mov_b32_e32 v11, 0
	s_or_b64 s[16:17], s[16:17], s[22:23]
	s_or_b64 exec, exec, s[20:21]
	s_and_saveexec_b64 s[20:21], s[16:17]
	s_cbranch_execnz .LBB33_2228
	s_branch .LBB33_2229
.LBB33_2246:
	s_mov_b64 s[14:15], -1
                                        ; implicit-def: $vgpr11
	s_branch .LBB33_2251
.LBB33_2247:
	s_mov_b64 s[14:15], -1
                                        ; implicit-def: $vgpr11
.LBB33_2248:
	s_and_b64 vcc, exec, s[14:15]
	s_cbranch_vccz .LBB33_2250
; %bb.2249:
	global_load_ubyte v11, v[0:1], off
	s_mov_b32 s14, 0x7f800000
	s_waitcnt vmcnt(0)
	v_lshlrev_b32_e32 v11, 24, v11
	v_and_b32_e32 v14, 0x7f000000, v11
	v_ffbh_u32_e32 v15, v14
	v_min_u32_e32 v15, 32, v15
	v_sub_u32_e64 v15, v15, 4 clamp
	v_lshlrev_b32_e32 v17, v15, v14
	v_lshlrev_b32_e32 v15, 23, v15
	v_lshrrev_b32_e32 v17, 4, v17
	v_add_u32_e32 v16, 0x1000000, v14
	v_sub_u32_e32 v15, v17, v15
	v_ashrrev_i32_e32 v16, 8, v16
	v_add_u32_e32 v15, 0x3c000000, v15
	v_and_or_b32 v15, v16, s14, v15
	v_cmp_ne_u32_e32 vcc, 0, v14
	v_cndmask_b32_e32 v14, 0, v15, vcc
	s_brev_b32 s14, 1
	v_and_or_b32 v11, v11, s14, v14
.LBB33_2250:
	s_mov_b64 s[14:15], 0
.LBB33_2251:
	s_andn2_b64 vcc, exec, s[14:15]
	s_cbranch_vccnz .LBB33_2253
; %bb.2252:
	global_load_ubyte v11, v[0:1], off
	s_movk_i32 s14, 0x7f00
	s_brev_b32 s15, 16
	s_waitcnt vmcnt(0)
	v_lshlrev_b16_e32 v14, 8, v11
	v_lshlrev_b32_e32 v11, 25, v11
	v_lshrrev_b32_e32 v15, 4, v11
	v_and_or_b32 v16, v14, s14, 0.5
	v_or_b32_e32 v15, 0x70000000, v15
	v_add_f32_e32 v16, -0.5, v16
	v_mul_f32_e32 v15, 0x7800000, v15
	v_cmp_gt_u32_e32 vcc, s15, v11
	v_bfe_i32 v14, v14, 0, 16
	v_cndmask_b32_e32 v11, v15, v16, vcc
	s_brev_b32 s14, 1
	v_and_or_b32 v11, v14, s14, v11
.LBB33_2253:
	s_mov_b64 s[14:15], 0
	s_mov_b64 s[16:17], -1
.LBB33_2254:
	s_andn2_b64 vcc, exec, s[14:15]
	s_mov_b64 s[14:15], 0
	s_cbranch_vccnz .LBB33_2265
; %bb.2255:
	v_mov_b32_e32 v11, 14
	v_cmp_gt_i16_sdwa s[14:15], v6, v11 src0_sel:BYTE_0 src1_sel:DWORD
	s_and_b64 vcc, exec, s[14:15]
	s_cbranch_vccz .LBB33_2258
; %bb.2256:
	v_mov_b32_e32 v11, 15
	v_cmp_eq_u16_sdwa s[0:1], v6, v11 src0_sel:BYTE_0 src1_sel:DWORD
	s_and_b64 vcc, exec, s[0:1]
	s_cbranch_vccz .LBB33_2261
; %bb.2257:
	global_load_ushort v11, v[0:1], off
	s_mov_b64 s[0:1], 0
	s_mov_b64 s[16:17], -1
	s_waitcnt vmcnt(0)
	v_lshlrev_b32_e32 v11, 16, v11
	s_branch .LBB33_2262
.LBB33_2258:
	s_mov_b64 s[20:21], -1
                                        ; implicit-def: $vgpr11
	s_branch .LBB33_2263
.LBB33_2259:
	s_or_saveexec_b64 s[16:17], s[16:17]
	v_mov_b32_e32 v11, s22
	s_xor_b64 exec, exec, s[16:17]
	s_cbranch_execz .LBB33_2240
.LBB33_2260:
	v_cmp_ne_u16_e32 vcc, 0, v14
	s_andn2_b64 s[14:15], s[14:15], exec
	s_and_b64 s[20:21], vcc, exec
	v_mov_b32_e32 v11, 0
	s_or_b64 s[14:15], s[14:15], s[20:21]
	s_or_b64 exec, exec, s[16:17]
	s_and_saveexec_b64 s[16:17], s[14:15]
	s_cbranch_execnz .LBB33_2241
	s_branch .LBB33_2242
.LBB33_2261:
	s_mov_b64 s[0:1], -1
                                        ; implicit-def: $vgpr11
.LBB33_2262:
	s_mov_b64 s[20:21], 0
.LBB33_2263:
	s_mov_b64 s[14:15], 0
	s_and_b64 vcc, exec, s[20:21]
	s_cbranch_vccz .LBB33_2265
; %bb.2264:
	v_mov_b32_e32 v11, 11
	v_cmp_ne_u16_sdwa s[0:1], v6, v11 src0_sel:BYTE_0 src1_sel:DWORD
	s_mov_b64 s[14:15], -1
                                        ; implicit-def: $vgpr11
.LBB33_2265:
	s_and_b64 vcc, exec, s[0:1]
	s_cbranch_vccnz .LBB33_2330
; %bb.2266:
	s_andn2_b64 vcc, exec, s[14:15]
	s_cbranch_vccnz .LBB33_2268
.LBB33_2267:
	global_load_ubyte v11, v[0:1], off
	s_mov_b64 s[16:17], -1
	s_waitcnt vmcnt(0)
	v_cmp_ne_u16_e32 vcc, 0, v11
	v_cndmask_b32_e64 v11, 0, 1.0, vcc
.LBB33_2268:
	s_mov_b64 s[0:1], 0
.LBB33_2269:
	s_and_b64 vcc, exec, s[0:1]
	s_cbranch_vccz .LBB33_2318
; %bb.2270:
	v_mov_b32_e32 v11, 5
	v_cmp_lt_i16_sdwa s[0:1], v6, v11 src0_sel:BYTE_0 src1_sel:DWORD
	s_and_b64 vcc, exec, s[0:1]
	s_cbranch_vccnz .LBB33_2275
; %bb.2271:
	v_mov_b32_e32 v11, 8
	v_cmp_lt_i16_sdwa s[0:1], v6, v11 src0_sel:BYTE_0 src1_sel:DWORD
	s_and_b64 vcc, exec, s[0:1]
	s_cbranch_vccnz .LBB33_2276
	;; [unrolled: 5-line block ×3, first 2 shown]
; %bb.2273:
	v_cmp_gt_i16_sdwa s[0:1], v6, v11 src0_sel:BYTE_0 src1_sel:DWORD
	s_and_b64 vcc, exec, s[0:1]
	s_cbranch_vccz .LBB33_2278
; %bb.2274:
	global_load_dwordx2 v[14:15], v[0:1], off
	s_mov_b64 s[0:1], 0
	s_waitcnt vmcnt(0)
	v_cvt_f32_f64_e32 v11, v[14:15]
	s_branch .LBB33_2279
.LBB33_2275:
	s_mov_b64 s[0:1], -1
                                        ; implicit-def: $vgpr11
	s_branch .LBB33_2297
.LBB33_2276:
	s_mov_b64 s[0:1], -1
                                        ; implicit-def: $vgpr11
	s_branch .LBB33_2285
.LBB33_2277:
	s_mov_b64 s[0:1], -1
                                        ; implicit-def: $vgpr11
	s_branch .LBB33_2282
.LBB33_2278:
	s_mov_b64 s[0:1], -1
                                        ; implicit-def: $vgpr11
.LBB33_2279:
	s_andn2_b64 vcc, exec, s[0:1]
	s_cbranch_vccnz .LBB33_2281
; %bb.2280:
	global_load_dword v11, v[0:1], off
.LBB33_2281:
	s_mov_b64 s[0:1], 0
.LBB33_2282:
	s_andn2_b64 vcc, exec, s[0:1]
	s_cbranch_vccnz .LBB33_2284
; %bb.2283:
	global_load_dword v11, v[0:1], off
	s_waitcnt vmcnt(0)
	v_cvt_f32_f16_e32 v11, v11
.LBB33_2284:
	s_mov_b64 s[0:1], 0
.LBB33_2285:
	s_andn2_b64 vcc, exec, s[0:1]
	s_cbranch_vccnz .LBB33_2296
; %bb.2286:
	s_waitcnt vmcnt(0)
	v_mov_b32_e32 v11, 6
	v_cmp_lt_i16_sdwa s[0:1], v6, v11 src0_sel:BYTE_0 src1_sel:DWORD
	s_and_b64 vcc, exec, s[0:1]
	s_cbranch_vccnz .LBB33_2289
; %bb.2287:
	v_cmp_gt_i16_sdwa s[0:1], v6, v11 src0_sel:BYTE_0 src1_sel:DWORD
	s_and_b64 vcc, exec, s[0:1]
	s_cbranch_vccz .LBB33_2290
; %bb.2288:
	global_load_dwordx2 v[14:15], v[0:1], off
	s_mov_b64 s[0:1], 0
	s_waitcnt vmcnt(0)
	v_cvt_f32_f64_e32 v11, v[14:15]
	s_branch .LBB33_2291
.LBB33_2289:
	s_mov_b64 s[0:1], -1
                                        ; implicit-def: $vgpr11
	s_branch .LBB33_2294
.LBB33_2290:
	s_mov_b64 s[0:1], -1
                                        ; implicit-def: $vgpr11
.LBB33_2291:
	s_andn2_b64 vcc, exec, s[0:1]
	s_cbranch_vccnz .LBB33_2293
; %bb.2292:
	global_load_dword v11, v[0:1], off
.LBB33_2293:
	s_mov_b64 s[0:1], 0
.LBB33_2294:
	s_andn2_b64 vcc, exec, s[0:1]
	s_cbranch_vccnz .LBB33_2296
; %bb.2295:
	global_load_ushort v11, v[0:1], off
	s_waitcnt vmcnt(0)
	v_cvt_f32_f16_e32 v11, v11
.LBB33_2296:
	s_mov_b64 s[0:1], 0
.LBB33_2297:
	s_andn2_b64 vcc, exec, s[0:1]
	s_cbranch_vccnz .LBB33_2317
; %bb.2298:
	s_waitcnt vmcnt(0)
	v_mov_b32_e32 v11, 2
	v_cmp_lt_i16_sdwa s[0:1], v6, v11 src0_sel:BYTE_0 src1_sel:DWORD
	s_and_b64 vcc, exec, s[0:1]
	s_cbranch_vccnz .LBB33_2302
; %bb.2299:
	v_mov_b32_e32 v11, 3
	v_cmp_lt_i16_sdwa s[0:1], v6, v11 src0_sel:BYTE_0 src1_sel:DWORD
	s_and_b64 vcc, exec, s[0:1]
	s_cbranch_vccnz .LBB33_2303
; %bb.2300:
	v_cmp_gt_i16_sdwa s[0:1], v6, v11 src0_sel:BYTE_0 src1_sel:DWORD
	s_and_b64 vcc, exec, s[0:1]
	s_cbranch_vccz .LBB33_2304
; %bb.2301:
	global_load_dwordx2 v[14:15], v[0:1], off
	s_mov_b64 s[0:1], 0
	s_waitcnt vmcnt(0)
	v_xor_b32_e32 v16, v14, v15
	v_ffbh_i32_e32 v11, v15
	v_ashrrev_i32_e32 v16, 31, v16
	v_add_u32_e32 v11, -1, v11
	v_add_u32_e32 v16, 32, v16
	v_min_u32_e32 v11, v11, v16
	v_lshlrev_b64 v[14:15], v11, v[14:15]
	v_min_u32_e32 v14, 1, v14
	v_or_b32_e32 v14, v15, v14
	v_cvt_f32_i32_e32 v14, v14
	v_sub_u32_e32 v11, 32, v11
	v_ldexp_f32 v11, v14, v11
	s_branch .LBB33_2305
.LBB33_2302:
	s_mov_b64 s[0:1], -1
                                        ; implicit-def: $vgpr11
	s_branch .LBB33_2311
.LBB33_2303:
	s_mov_b64 s[0:1], -1
                                        ; implicit-def: $vgpr11
	s_branch .LBB33_2308
.LBB33_2304:
	s_mov_b64 s[0:1], -1
                                        ; implicit-def: $vgpr11
.LBB33_2305:
	s_andn2_b64 vcc, exec, s[0:1]
	s_cbranch_vccnz .LBB33_2307
; %bb.2306:
	global_load_dword v11, v[0:1], off
	s_waitcnt vmcnt(0)
	v_cvt_f32_i32_e32 v11, v11
.LBB33_2307:
	s_mov_b64 s[0:1], 0
.LBB33_2308:
	s_andn2_b64 vcc, exec, s[0:1]
	s_cbranch_vccnz .LBB33_2310
; %bb.2309:
	global_load_sshort v11, v[0:1], off
	s_waitcnt vmcnt(0)
	v_cvt_f32_i32_e32 v11, v11
.LBB33_2310:
	s_mov_b64 s[0:1], 0
.LBB33_2311:
	s_andn2_b64 vcc, exec, s[0:1]
	s_cbranch_vccnz .LBB33_2317
; %bb.2312:
	v_mov_b32_e32 v11, 0
	v_cmp_gt_i16_sdwa s[0:1], v6, v11 src0_sel:BYTE_0 src1_sel:DWORD
	s_and_b64 vcc, exec, s[0:1]
	s_cbranch_vccz .LBB33_2314
; %bb.2313:
	global_load_sbyte v11, v[0:1], off
	s_mov_b64 s[0:1], 0
	s_waitcnt vmcnt(0)
	v_cvt_f32_i32_e32 v11, v11
	s_branch .LBB33_2315
.LBB33_2314:
	s_mov_b64 s[0:1], -1
                                        ; implicit-def: $vgpr11
.LBB33_2315:
	s_andn2_b64 vcc, exec, s[0:1]
	s_cbranch_vccnz .LBB33_2317
; %bb.2316:
	global_load_ubyte v0, v[0:1], off
	s_waitcnt vmcnt(0)
	v_cvt_f32_ubyte0_e32 v11, v0
.LBB33_2317:
	s_mov_b64 s[16:17], -1
.LBB33_2318:
	s_andn2_b64 vcc, exec, s[16:17]
	s_cbranch_vccnz .LBB33_3032
; %bb.2319:
	v_add_u32_e32 v0, s13, v12
	v_ashrrev_i32_e32 v1, 31, v0
	v_mov_b32_e32 v12, s11
	v_add_co_u32_e32 v0, vcc, s10, v0
	v_addc_co_u32_e32 v1, vcc, v12, v1, vcc
	v_mov_b32_e32 v12, 11
	v_cmp_lt_i16_sdwa s[0:1], v7, v12 src0_sel:BYTE_0 src1_sel:DWORD
	s_and_b64 vcc, exec, s[0:1]
	s_cbranch_vccnz .LBB33_2326
; %bb.2320:
	v_mov_b32_e32 v12, 25
	v_cmp_gt_i16_sdwa s[0:1], v7, v12 src0_sel:BYTE_0 src1_sel:DWORD
	s_mov_b64 s[10:11], 0
	s_and_b64 vcc, exec, s[0:1]
	s_cbranch_vccz .LBB33_2327
; %bb.2321:
	v_mov_b32_e32 v12, 28
	v_cmp_gt_i16_sdwa s[0:1], v7, v12 src0_sel:BYTE_0 src1_sel:DWORD
	s_and_b64 vcc, exec, s[0:1]
	s_cbranch_vccz .LBB33_2328
; %bb.2322:
	v_mov_b32_e32 v12, 43
	v_cmp_gt_i16_sdwa s[0:1], v7, v12 src0_sel:BYTE_0 src1_sel:DWORD
	;; [unrolled: 5-line block ×3, first 2 shown]
	s_and_b64 vcc, exec, s[0:1]
	s_cbranch_vccz .LBB33_2331
; %bb.2324:
	v_mov_b32_e32 v12, 46
	v_cmp_eq_u16_sdwa s[0:1], v7, v12 src0_sel:BYTE_0 src1_sel:DWORD
	s_mov_b64 s[16:17], 0
	s_and_b64 vcc, exec, s[0:1]
	s_cbranch_vccz .LBB33_2332
; %bb.2325:
	global_load_dword v12, v[0:1], off
	s_mov_b64 s[0:1], 0
	s_mov_b64 s[14:15], -1
	s_waitcnt vmcnt(0)
	v_lshlrev_b32_e32 v12, 16, v12
	s_branch .LBB33_2333
.LBB33_2326:
	s_mov_b64 s[0:1], -1
	s_mov_b64 s[14:15], 0
                                        ; implicit-def: $vgpr12
	s_branch .LBB33_2399
.LBB33_2327:
	s_mov_b64 s[16:17], -1
	s_mov_b64 s[14:15], 0
	s_mov_b64 s[0:1], 0
                                        ; implicit-def: $vgpr12
	s_branch .LBB33_2362
.LBB33_2328:
	s_mov_b64 s[16:17], -1
	s_mov_b64 s[14:15], 0
	s_mov_b64 s[0:1], 0
                                        ; implicit-def: $vgpr12
	s_branch .LBB33_2343
.LBB33_2329:
	s_mov_b64 s[16:17], -1
	s_mov_b64 s[14:15], 0
	s_mov_b64 s[0:1], 0
                                        ; implicit-def: $vgpr12
	s_branch .LBB33_2338
.LBB33_2330:
	s_trap 2
	s_or_b64 s[18:19], s[18:19], exec
                                        ; implicit-def: $vgpr11
	s_cbranch_execz .LBB33_2267
	s_branch .LBB33_2268
.LBB33_2331:
	s_mov_b64 s[16:17], -1
	s_mov_b64 s[14:15], 0
	s_mov_b64 s[0:1], 0
                                        ; implicit-def: $vgpr12
	s_branch .LBB33_2333
.LBB33_2332:
	s_mov_b64 s[0:1], -1
                                        ; implicit-def: $vgpr12
	s_mov_b64 s[14:15], 0
.LBB33_2333:
	s_and_b64 vcc, exec, s[16:17]
	s_cbranch_vccz .LBB33_2337
; %bb.2334:
	v_mov_b32_e32 v12, 44
	v_cmp_eq_u16_sdwa s[0:1], v7, v12 src0_sel:BYTE_0 src1_sel:DWORD
	s_and_b64 vcc, exec, s[0:1]
	s_cbranch_vccz .LBB33_2336
; %bb.2335:
	global_load_ubyte v12, v[0:1], off
	s_movk_i32 s13, 0xff
	v_mov_b32_e32 v14, 0x7f800001
	v_mov_b32_e32 v15, 0x400000
	s_mov_b64 s[0:1], 0
	s_mov_b64 s[14:15], -1
	s_waitcnt vmcnt(0)
	v_lshlrev_b32_e32 v16, 23, v12
	v_cmp_ne_u32_e32 vcc, s13, v12
	v_cndmask_b32_e32 v14, v14, v16, vcc
	v_cmp_ne_u32_e32 vcc, 0, v12
	v_cndmask_b32_e32 v12, v15, v14, vcc
	s_branch .LBB33_2337
.LBB33_2336:
	s_mov_b64 s[0:1], -1
                                        ; implicit-def: $vgpr12
.LBB33_2337:
	s_mov_b64 s[16:17], 0
.LBB33_2338:
	s_and_b64 vcc, exec, s[16:17]
	s_cbranch_vccz .LBB33_2342
; %bb.2339:
	v_mov_b32_e32 v12, 29
	v_cmp_eq_u16_sdwa s[0:1], v7, v12 src0_sel:BYTE_0 src1_sel:DWORD
	s_and_b64 vcc, exec, s[0:1]
	s_cbranch_vccz .LBB33_2341
; %bb.2340:
	global_load_dwordx2 v[14:15], v[0:1], off
	s_mov_b64 s[0:1], 0
	s_mov_b64 s[14:15], -1
	s_mov_b64 s[16:17], 0
	s_waitcnt vmcnt(0)
	v_ffbh_u32_e32 v12, v15
	v_min_u32_e32 v12, 32, v12
	v_lshlrev_b64 v[14:15], v12, v[14:15]
	v_min_u32_e32 v14, 1, v14
	v_or_b32_e32 v14, v15, v14
	v_cvt_f32_u32_e32 v14, v14
	v_sub_u32_e32 v12, 32, v12
	v_ldexp_f32 v12, v14, v12
	s_branch .LBB33_2343
.LBB33_2341:
	s_mov_b64 s[0:1], -1
                                        ; implicit-def: $vgpr12
.LBB33_2342:
	s_mov_b64 s[16:17], 0
.LBB33_2343:
	s_and_b64 vcc, exec, s[16:17]
	s_cbranch_vccz .LBB33_2361
; %bb.2344:
	v_mov_b32_e32 v12, 27
	v_cmp_lt_i16_sdwa s[14:15], v7, v12 src0_sel:BYTE_0 src1_sel:DWORD
	s_and_b64 vcc, exec, s[14:15]
	s_cbranch_vccnz .LBB33_2347
; %bb.2345:
	v_cmp_gt_i16_sdwa s[14:15], v7, v12 src0_sel:BYTE_0 src1_sel:DWORD
	s_and_b64 vcc, exec, s[14:15]
	s_cbranch_vccz .LBB33_2348
; %bb.2346:
	global_load_dword v12, v[0:1], off
	s_mov_b64 s[14:15], 0
	s_waitcnt vmcnt(0)
	v_cvt_f32_u32_e32 v12, v12
	s_branch .LBB33_2349
.LBB33_2347:
	s_mov_b64 s[14:15], -1
                                        ; implicit-def: $vgpr12
	s_branch .LBB33_2352
.LBB33_2348:
	s_mov_b64 s[14:15], -1
                                        ; implicit-def: $vgpr12
.LBB33_2349:
	s_andn2_b64 vcc, exec, s[14:15]
	s_cbranch_vccnz .LBB33_2351
; %bb.2350:
	global_load_ushort v12, v[0:1], off
	s_waitcnt vmcnt(0)
	v_cvt_f32_u32_e32 v12, v12
.LBB33_2351:
	s_mov_b64 s[14:15], 0
.LBB33_2352:
	s_andn2_b64 vcc, exec, s[14:15]
	s_cbranch_vccnz .LBB33_2360
; %bb.2353:
	global_load_ubyte v14, v[0:1], off
	s_movk_i32 s13, 0x7f
	s_mov_b64 s[14:15], 0
	s_waitcnt vmcnt(0)
	v_cmp_lt_i16_e32 vcc, s13, v14
                                        ; implicit-def: $sgpr13
	s_and_saveexec_b64 s[16:17], vcc
	s_xor_b64 s[16:17], exec, s[16:17]
	s_cbranch_execz .LBB33_2374
; %bb.2354:
	s_movk_i32 s13, 0x80
	v_cmp_eq_u16_e32 vcc, s13, v14
	s_mov_b64 s[14:15], -1
                                        ; implicit-def: $sgpr13
	s_and_saveexec_b64 s[20:21], vcc
; %bb.2355:
	s_mov_b32 s13, 0x7f800001
	s_xor_b64 s[14:15], exec, -1
; %bb.2356:
	s_or_b64 exec, exec, s[20:21]
	s_and_b64 s[14:15], s[14:15], exec
	s_or_saveexec_b64 s[16:17], s[16:17]
	v_mov_b32_e32 v12, s13
	s_xor_b64 exec, exec, s[16:17]
	s_cbranch_execnz .LBB33_2375
.LBB33_2357:
	s_or_b64 exec, exec, s[16:17]
	s_and_saveexec_b64 s[16:17], s[14:15]
	s_cbranch_execz .LBB33_2359
.LBB33_2358:
	v_lshlrev_b32_e32 v12, 24, v14
	v_and_b32_e32 v14, 0xffff, v14
	v_and_b32_e32 v15, 7, v14
	v_ffbh_u32_e32 v17, v15
	v_min_u32_e32 v17, 32, v17
	v_subrev_u32_e32 v18, 28, v17
	v_bfe_u32 v16, v14, 3, 4
	v_lshlrev_b32_e32 v14, v18, v14
	v_sub_u32_e32 v17, 29, v17
	v_and_b32_e32 v14, 7, v14
	v_cmp_eq_u32_e32 vcc, 0, v16
	v_cndmask_b32_e32 v16, v16, v17, vcc
	v_cndmask_b32_e32 v14, v15, v14, vcc
	v_mov_b32_e32 v15, 0x3b800000
	v_lshlrev_b32_e32 v14, 20, v14
	v_and_b32_e32 v12, 0x80000000, v12
	v_lshl_add_u32 v15, v16, 23, v15
	v_or3_b32 v12, v12, v15, v14
.LBB33_2359:
	s_or_b64 exec, exec, s[16:17]
.LBB33_2360:
	s_mov_b64 s[14:15], -1
.LBB33_2361:
	s_mov_b64 s[16:17], 0
.LBB33_2362:
	s_and_b64 vcc, exec, s[16:17]
	s_cbranch_vccz .LBB33_2395
; %bb.2363:
	v_mov_b32_e32 v12, 22
	v_cmp_gt_i16_sdwa s[10:11], v7, v12 src0_sel:BYTE_0 src1_sel:DWORD
	s_and_b64 vcc, exec, s[10:11]
	s_cbranch_vccz .LBB33_2373
; %bb.2364:
	v_mov_b32_e32 v12, 24
	v_cmp_lt_i16_sdwa s[10:11], v7, v12 src0_sel:BYTE_0 src1_sel:DWORD
	s_and_b64 vcc, exec, s[10:11]
	s_cbranch_vccnz .LBB33_2376
; %bb.2365:
	v_cmp_gt_i16_sdwa s[10:11], v7, v12 src0_sel:BYTE_0 src1_sel:DWORD
	s_and_b64 vcc, exec, s[10:11]
	s_cbranch_vccz .LBB33_2377
; %bb.2366:
	global_load_ubyte v14, v[0:1], off
	s_movk_i32 s10, 0x7f
                                        ; implicit-def: $sgpr13
	s_waitcnt vmcnt(0)
	v_cmp_lt_i16_e32 vcc, s10, v14
	s_mov_b64 s[10:11], 0
	s_and_saveexec_b64 s[14:15], vcc
	s_xor_b64 s[14:15], exec, s[14:15]
	s_cbranch_execz .LBB33_2389
; %bb.2367:
	s_movk_i32 s10, 0x80
	v_cmp_eq_u16_e32 vcc, s10, v14
	s_mov_b64 s[10:11], -1
                                        ; implicit-def: $sgpr13
	s_and_saveexec_b64 s[16:17], vcc
; %bb.2368:
	s_mov_b32 s13, 0x7f800001
	s_xor_b64 s[10:11], exec, -1
; %bb.2369:
	s_or_b64 exec, exec, s[16:17]
	s_and_b64 s[10:11], s[10:11], exec
	s_or_saveexec_b64 s[14:15], s[14:15]
	v_mov_b32_e32 v12, s13
	s_xor_b64 exec, exec, s[14:15]
	s_cbranch_execnz .LBB33_2390
.LBB33_2370:
	s_or_b64 exec, exec, s[14:15]
	s_and_saveexec_b64 s[14:15], s[10:11]
	s_cbranch_execz .LBB33_2372
.LBB33_2371:
	v_lshlrev_b32_e32 v12, 24, v14
	v_and_b32_e32 v14, 0xffff, v14
	v_and_b32_e32 v15, 3, v14
	v_ffbh_u32_e32 v17, v15
	v_min_u32_e32 v17, 32, v17
	v_subrev_u32_e32 v18, 29, v17
	v_bfe_u32 v16, v14, 2, 5
	v_lshlrev_b32_e32 v14, v18, v14
	v_sub_u32_e32 v17, 30, v17
	v_and_b32_e32 v14, 3, v14
	v_cmp_eq_u32_e32 vcc, 0, v16
	v_cndmask_b32_e32 v16, v16, v17, vcc
	v_cndmask_b32_e32 v14, v15, v14, vcc
	v_mov_b32_e32 v15, 0x37800000
	v_lshlrev_b32_e32 v14, 21, v14
	v_and_b32_e32 v12, 0x80000000, v12
	v_lshl_add_u32 v15, v16, 23, v15
	v_or3_b32 v12, v12, v15, v14
.LBB33_2372:
	s_or_b64 exec, exec, s[14:15]
	s_mov_b64 s[10:11], 0
	s_branch .LBB33_2378
.LBB33_2373:
	s_mov_b64 s[10:11], -1
                                        ; implicit-def: $vgpr12
	s_branch .LBB33_2384
.LBB33_2374:
	s_or_saveexec_b64 s[16:17], s[16:17]
	v_mov_b32_e32 v12, s13
	s_xor_b64 exec, exec, s[16:17]
	s_cbranch_execz .LBB33_2357
.LBB33_2375:
	v_cmp_ne_u16_e32 vcc, 0, v14
	s_andn2_b64 s[14:15], s[14:15], exec
	s_and_b64 s[20:21], vcc, exec
	v_mov_b32_e32 v12, 0
	s_or_b64 s[14:15], s[14:15], s[20:21]
	s_or_b64 exec, exec, s[16:17]
	s_and_saveexec_b64 s[16:17], s[14:15]
	s_cbranch_execnz .LBB33_2358
	s_branch .LBB33_2359
.LBB33_2376:
	s_mov_b64 s[10:11], -1
                                        ; implicit-def: $vgpr12
	s_branch .LBB33_2381
.LBB33_2377:
	s_mov_b64 s[10:11], -1
                                        ; implicit-def: $vgpr12
.LBB33_2378:
	s_and_b64 vcc, exec, s[10:11]
	s_cbranch_vccz .LBB33_2380
; %bb.2379:
	global_load_ubyte v12, v[0:1], off
	s_mov_b32 s10, 0x7f800000
	s_waitcnt vmcnt(0)
	v_lshlrev_b32_e32 v12, 24, v12
	v_and_b32_e32 v14, 0x7f000000, v12
	v_ffbh_u32_e32 v15, v14
	v_min_u32_e32 v15, 32, v15
	v_sub_u32_e64 v15, v15, 4 clamp
	v_lshlrev_b32_e32 v17, v15, v14
	v_lshlrev_b32_e32 v15, 23, v15
	v_lshrrev_b32_e32 v17, 4, v17
	v_add_u32_e32 v16, 0x1000000, v14
	v_sub_u32_e32 v15, v17, v15
	v_ashrrev_i32_e32 v16, 8, v16
	v_add_u32_e32 v15, 0x3c000000, v15
	v_and_or_b32 v15, v16, s10, v15
	v_cmp_ne_u32_e32 vcc, 0, v14
	v_cndmask_b32_e32 v14, 0, v15, vcc
	s_brev_b32 s10, 1
	v_and_or_b32 v12, v12, s10, v14
.LBB33_2380:
	s_mov_b64 s[10:11], 0
.LBB33_2381:
	s_andn2_b64 vcc, exec, s[10:11]
	s_cbranch_vccnz .LBB33_2383
; %bb.2382:
	global_load_ubyte v12, v[0:1], off
	s_movk_i32 s10, 0x7f00
	s_brev_b32 s11, 16
	s_waitcnt vmcnt(0)
	v_lshlrev_b16_e32 v14, 8, v12
	v_lshlrev_b32_e32 v12, 25, v12
	v_lshrrev_b32_e32 v15, 4, v12
	v_and_or_b32 v16, v14, s10, 0.5
	v_or_b32_e32 v15, 0x70000000, v15
	v_add_f32_e32 v16, -0.5, v16
	v_mul_f32_e32 v15, 0x7800000, v15
	v_cmp_gt_u32_e32 vcc, s11, v12
	v_bfe_i32 v14, v14, 0, 16
	v_cndmask_b32_e32 v12, v15, v16, vcc
	s_brev_b32 s10, 1
	v_and_or_b32 v12, v14, s10, v12
.LBB33_2383:
	s_mov_b64 s[10:11], 0
	s_mov_b64 s[14:15], -1
.LBB33_2384:
	s_andn2_b64 vcc, exec, s[10:11]
	s_mov_b64 s[10:11], 0
	s_cbranch_vccnz .LBB33_2395
; %bb.2385:
	v_mov_b32_e32 v12, 14
	v_cmp_gt_i16_sdwa s[10:11], v7, v12 src0_sel:BYTE_0 src1_sel:DWORD
	s_and_b64 vcc, exec, s[10:11]
	s_cbranch_vccz .LBB33_2388
; %bb.2386:
	v_mov_b32_e32 v12, 15
	v_cmp_eq_u16_sdwa s[0:1], v7, v12 src0_sel:BYTE_0 src1_sel:DWORD
	s_and_b64 vcc, exec, s[0:1]
	s_cbranch_vccz .LBB33_2391
; %bb.2387:
	global_load_ushort v12, v[0:1], off
	s_mov_b64 s[0:1], 0
	s_mov_b64 s[14:15], -1
	s_waitcnt vmcnt(0)
	v_lshlrev_b32_e32 v12, 16, v12
	s_branch .LBB33_2392
.LBB33_2388:
	s_mov_b64 s[16:17], -1
                                        ; implicit-def: $vgpr12
	s_branch .LBB33_2393
.LBB33_2389:
	s_or_saveexec_b64 s[14:15], s[14:15]
	v_mov_b32_e32 v12, s13
	s_xor_b64 exec, exec, s[14:15]
	s_cbranch_execz .LBB33_2370
.LBB33_2390:
	v_cmp_ne_u16_e32 vcc, 0, v14
	s_andn2_b64 s[10:11], s[10:11], exec
	s_and_b64 s[16:17], vcc, exec
	v_mov_b32_e32 v12, 0
	s_or_b64 s[10:11], s[10:11], s[16:17]
	s_or_b64 exec, exec, s[14:15]
	s_and_saveexec_b64 s[14:15], s[10:11]
	s_cbranch_execnz .LBB33_2371
	s_branch .LBB33_2372
.LBB33_2391:
	s_mov_b64 s[0:1], -1
                                        ; implicit-def: $vgpr12
.LBB33_2392:
	s_mov_b64 s[16:17], 0
.LBB33_2393:
	s_mov_b64 s[10:11], 0
	s_and_b64 vcc, exec, s[16:17]
	s_cbranch_vccz .LBB33_2395
; %bb.2394:
	v_mov_b32_e32 v12, 11
	v_cmp_ne_u16_sdwa s[0:1], v7, v12 src0_sel:BYTE_0 src1_sel:DWORD
	s_mov_b64 s[10:11], -1
                                        ; implicit-def: $vgpr12
.LBB33_2395:
	s_and_b64 vcc, exec, s[0:1]
	s_cbranch_vccnz .LBB33_2460
; %bb.2396:
	s_andn2_b64 vcc, exec, s[10:11]
	s_cbranch_vccnz .LBB33_2398
.LBB33_2397:
	global_load_ubyte v12, v[0:1], off
	s_mov_b64 s[14:15], -1
	s_waitcnt vmcnt(0)
	v_cmp_ne_u16_e32 vcc, 0, v12
	v_cndmask_b32_e64 v12, 0, 1.0, vcc
.LBB33_2398:
	s_mov_b64 s[0:1], 0
.LBB33_2399:
	s_and_b64 vcc, exec, s[0:1]
	s_cbranch_vccz .LBB33_2448
; %bb.2400:
	v_mov_b32_e32 v12, 5
	v_cmp_lt_i16_sdwa s[0:1], v7, v12 src0_sel:BYTE_0 src1_sel:DWORD
	s_and_b64 vcc, exec, s[0:1]
	s_cbranch_vccnz .LBB33_2405
; %bb.2401:
	v_mov_b32_e32 v12, 8
	v_cmp_lt_i16_sdwa s[0:1], v7, v12 src0_sel:BYTE_0 src1_sel:DWORD
	s_and_b64 vcc, exec, s[0:1]
	s_cbranch_vccnz .LBB33_2406
	;; [unrolled: 5-line block ×3, first 2 shown]
; %bb.2403:
	v_cmp_gt_i16_sdwa s[0:1], v7, v12 src0_sel:BYTE_0 src1_sel:DWORD
	s_and_b64 vcc, exec, s[0:1]
	s_cbranch_vccz .LBB33_2408
; %bb.2404:
	global_load_dwordx2 v[14:15], v[0:1], off
	s_mov_b64 s[0:1], 0
	s_waitcnt vmcnt(0)
	v_cvt_f32_f64_e32 v12, v[14:15]
	s_branch .LBB33_2409
.LBB33_2405:
	s_mov_b64 s[0:1], -1
                                        ; implicit-def: $vgpr12
	s_branch .LBB33_2427
.LBB33_2406:
	s_mov_b64 s[0:1], -1
                                        ; implicit-def: $vgpr12
	s_branch .LBB33_2415
.LBB33_2407:
	s_mov_b64 s[0:1], -1
                                        ; implicit-def: $vgpr12
	s_branch .LBB33_2412
.LBB33_2408:
	s_mov_b64 s[0:1], -1
                                        ; implicit-def: $vgpr12
.LBB33_2409:
	s_andn2_b64 vcc, exec, s[0:1]
	s_cbranch_vccnz .LBB33_2411
; %bb.2410:
	global_load_dword v12, v[0:1], off
.LBB33_2411:
	s_mov_b64 s[0:1], 0
.LBB33_2412:
	s_andn2_b64 vcc, exec, s[0:1]
	s_cbranch_vccnz .LBB33_2414
; %bb.2413:
	global_load_dword v12, v[0:1], off
	s_waitcnt vmcnt(0)
	v_cvt_f32_f16_e32 v12, v12
.LBB33_2414:
	s_mov_b64 s[0:1], 0
.LBB33_2415:
	s_andn2_b64 vcc, exec, s[0:1]
	s_cbranch_vccnz .LBB33_2426
; %bb.2416:
	s_waitcnt vmcnt(0)
	v_mov_b32_e32 v12, 6
	v_cmp_lt_i16_sdwa s[0:1], v7, v12 src0_sel:BYTE_0 src1_sel:DWORD
	s_and_b64 vcc, exec, s[0:1]
	s_cbranch_vccnz .LBB33_2419
; %bb.2417:
	v_cmp_gt_i16_sdwa s[0:1], v7, v12 src0_sel:BYTE_0 src1_sel:DWORD
	s_and_b64 vcc, exec, s[0:1]
	s_cbranch_vccz .LBB33_2420
; %bb.2418:
	global_load_dwordx2 v[14:15], v[0:1], off
	s_mov_b64 s[0:1], 0
	s_waitcnt vmcnt(0)
	v_cvt_f32_f64_e32 v12, v[14:15]
	s_branch .LBB33_2421
.LBB33_2419:
	s_mov_b64 s[0:1], -1
                                        ; implicit-def: $vgpr12
	s_branch .LBB33_2424
.LBB33_2420:
	s_mov_b64 s[0:1], -1
                                        ; implicit-def: $vgpr12
.LBB33_2421:
	s_andn2_b64 vcc, exec, s[0:1]
	s_cbranch_vccnz .LBB33_2423
; %bb.2422:
	global_load_dword v12, v[0:1], off
.LBB33_2423:
	s_mov_b64 s[0:1], 0
.LBB33_2424:
	s_andn2_b64 vcc, exec, s[0:1]
	s_cbranch_vccnz .LBB33_2426
; %bb.2425:
	global_load_ushort v12, v[0:1], off
	s_waitcnt vmcnt(0)
	v_cvt_f32_f16_e32 v12, v12
.LBB33_2426:
	s_mov_b64 s[0:1], 0
.LBB33_2427:
	s_andn2_b64 vcc, exec, s[0:1]
	s_cbranch_vccnz .LBB33_2447
; %bb.2428:
	s_waitcnt vmcnt(0)
	v_mov_b32_e32 v12, 2
	v_cmp_lt_i16_sdwa s[0:1], v7, v12 src0_sel:BYTE_0 src1_sel:DWORD
	s_and_b64 vcc, exec, s[0:1]
	s_cbranch_vccnz .LBB33_2432
; %bb.2429:
	v_mov_b32_e32 v12, 3
	v_cmp_lt_i16_sdwa s[0:1], v7, v12 src0_sel:BYTE_0 src1_sel:DWORD
	s_and_b64 vcc, exec, s[0:1]
	s_cbranch_vccnz .LBB33_2433
; %bb.2430:
	v_cmp_gt_i16_sdwa s[0:1], v7, v12 src0_sel:BYTE_0 src1_sel:DWORD
	s_and_b64 vcc, exec, s[0:1]
	s_cbranch_vccz .LBB33_2434
; %bb.2431:
	global_load_dwordx2 v[14:15], v[0:1], off
	s_mov_b64 s[0:1], 0
	s_waitcnt vmcnt(0)
	v_xor_b32_e32 v16, v14, v15
	v_ffbh_i32_e32 v12, v15
	v_ashrrev_i32_e32 v16, 31, v16
	v_add_u32_e32 v12, -1, v12
	v_add_u32_e32 v16, 32, v16
	v_min_u32_e32 v12, v12, v16
	v_lshlrev_b64 v[14:15], v12, v[14:15]
	v_min_u32_e32 v14, 1, v14
	v_or_b32_e32 v14, v15, v14
	v_cvt_f32_i32_e32 v14, v14
	v_sub_u32_e32 v12, 32, v12
	v_ldexp_f32 v12, v14, v12
	s_branch .LBB33_2435
.LBB33_2432:
	s_mov_b64 s[0:1], -1
                                        ; implicit-def: $vgpr12
	s_branch .LBB33_2441
.LBB33_2433:
	s_mov_b64 s[0:1], -1
                                        ; implicit-def: $vgpr12
	s_branch .LBB33_2438
.LBB33_2434:
	s_mov_b64 s[0:1], -1
                                        ; implicit-def: $vgpr12
.LBB33_2435:
	s_andn2_b64 vcc, exec, s[0:1]
	s_cbranch_vccnz .LBB33_2437
; %bb.2436:
	global_load_dword v12, v[0:1], off
	s_waitcnt vmcnt(0)
	v_cvt_f32_i32_e32 v12, v12
.LBB33_2437:
	s_mov_b64 s[0:1], 0
.LBB33_2438:
	s_andn2_b64 vcc, exec, s[0:1]
	s_cbranch_vccnz .LBB33_2440
; %bb.2439:
	global_load_sshort v12, v[0:1], off
	s_waitcnt vmcnt(0)
	v_cvt_f32_i32_e32 v12, v12
.LBB33_2440:
	s_mov_b64 s[0:1], 0
.LBB33_2441:
	s_andn2_b64 vcc, exec, s[0:1]
	s_cbranch_vccnz .LBB33_2447
; %bb.2442:
	v_mov_b32_e32 v12, 0
	v_cmp_gt_i16_sdwa s[0:1], v7, v12 src0_sel:BYTE_0 src1_sel:DWORD
	s_and_b64 vcc, exec, s[0:1]
	s_cbranch_vccz .LBB33_2444
; %bb.2443:
	global_load_sbyte v7, v[0:1], off
	s_mov_b64 s[0:1], 0
	s_waitcnt vmcnt(0)
	v_cvt_f32_i32_e32 v12, v7
	s_branch .LBB33_2445
.LBB33_2444:
	s_mov_b64 s[0:1], -1
                                        ; implicit-def: $vgpr12
.LBB33_2445:
	s_andn2_b64 vcc, exec, s[0:1]
	s_cbranch_vccnz .LBB33_2447
; %bb.2446:
	global_load_ubyte v0, v[0:1], off
	s_waitcnt vmcnt(0)
	v_cvt_f32_ubyte0_e32 v12, v0
.LBB33_2447:
	s_mov_b64 s[14:15], -1
.LBB33_2448:
	s_andn2_b64 vcc, exec, s[14:15]
	s_cbranch_vccnz .LBB33_3032
; %bb.2449:
	v_add_u32_e32 v0, s24, v13
	v_ashrrev_i32_e32 v1, 31, v0
	v_mov_b32_e32 v7, s3
	v_add_co_u32_e32 v0, vcc, s2, v0
	v_addc_co_u32_e32 v1, vcc, v7, v1, vcc
	v_mov_b32_e32 v7, 11
	v_cmp_lt_i16_sdwa s[0:1], v6, v7 src0_sel:BYTE_0 src1_sel:DWORD
	s_and_b64 vcc, exec, s[0:1]
	s_cbranch_vccnz .LBB33_2456
; %bb.2450:
	v_mov_b32_e32 v7, 25
	v_cmp_gt_i16_sdwa s[0:1], v6, v7 src0_sel:BYTE_0 src1_sel:DWORD
	s_mov_b64 s[2:3], 0
	s_and_b64 vcc, exec, s[0:1]
	s_cbranch_vccz .LBB33_2457
; %bb.2451:
	v_mov_b32_e32 v7, 28
	v_cmp_gt_i16_sdwa s[0:1], v6, v7 src0_sel:BYTE_0 src1_sel:DWORD
	s_and_b64 vcc, exec, s[0:1]
	s_cbranch_vccz .LBB33_2458
; %bb.2452:
	v_mov_b32_e32 v7, 43
	v_cmp_gt_i16_sdwa s[0:1], v6, v7 src0_sel:BYTE_0 src1_sel:DWORD
	s_and_b64 vcc, exec, s[0:1]
	s_cbranch_vccz .LBB33_2459
; %bb.2453:
	v_mov_b32_e32 v7, 45
	v_cmp_gt_i16_sdwa s[0:1], v6, v7 src0_sel:BYTE_0 src1_sel:DWORD
	s_and_b64 vcc, exec, s[0:1]
	s_cbranch_vccz .LBB33_2461
; %bb.2454:
	v_mov_b32_e32 v7, 46
	v_cmp_eq_u16_sdwa s[0:1], v6, v7 src0_sel:BYTE_0 src1_sel:DWORD
	s_mov_b64 s[14:15], 0
	s_and_b64 vcc, exec, s[0:1]
	s_cbranch_vccz .LBB33_2462
; %bb.2455:
	global_load_dword v7, v[0:1], off
	s_mov_b64 s[0:1], 0
	s_mov_b64 s[10:11], -1
	s_waitcnt vmcnt(0)
	v_lshlrev_b32_e32 v7, 16, v7
	s_branch .LBB33_2463
.LBB33_2456:
	s_mov_b64 s[0:1], -1
	s_mov_b64 s[10:11], 0
                                        ; implicit-def: $vgpr7
	s_branch .LBB33_2529
.LBB33_2457:
	s_mov_b64 s[14:15], -1
	s_mov_b64 s[10:11], 0
	s_mov_b64 s[0:1], 0
                                        ; implicit-def: $vgpr7
	s_branch .LBB33_2492
.LBB33_2458:
	s_mov_b64 s[14:15], -1
	s_mov_b64 s[10:11], 0
	s_mov_b64 s[0:1], 0
                                        ; implicit-def: $vgpr7
	s_branch .LBB33_2473
.LBB33_2459:
	s_mov_b64 s[14:15], -1
	s_mov_b64 s[10:11], 0
	s_mov_b64 s[0:1], 0
                                        ; implicit-def: $vgpr7
	s_branch .LBB33_2468
.LBB33_2460:
	s_trap 2
	s_or_b64 s[18:19], s[18:19], exec
                                        ; implicit-def: $vgpr12
	s_cbranch_execz .LBB33_2397
	s_branch .LBB33_2398
.LBB33_2461:
	s_mov_b64 s[14:15], -1
	s_mov_b64 s[10:11], 0
	s_mov_b64 s[0:1], 0
                                        ; implicit-def: $vgpr7
	s_branch .LBB33_2463
.LBB33_2462:
	s_mov_b64 s[0:1], -1
                                        ; implicit-def: $vgpr7
	s_mov_b64 s[10:11], 0
.LBB33_2463:
	s_and_b64 vcc, exec, s[14:15]
	s_cbranch_vccz .LBB33_2467
; %bb.2464:
	v_mov_b32_e32 v7, 44
	v_cmp_eq_u16_sdwa s[0:1], v6, v7 src0_sel:BYTE_0 src1_sel:DWORD
	s_and_b64 vcc, exec, s[0:1]
	s_cbranch_vccz .LBB33_2466
; %bb.2465:
	global_load_ubyte v7, v[0:1], off
	s_movk_i32 s10, 0xff
	v_mov_b32_e32 v13, 0x7f800001
	v_mov_b32_e32 v14, 0x400000
	s_mov_b64 s[0:1], 0
	s_waitcnt vmcnt(0)
	v_lshlrev_b32_e32 v15, 23, v7
	v_cmp_ne_u32_e32 vcc, s10, v7
	v_cndmask_b32_e32 v13, v13, v15, vcc
	v_cmp_ne_u32_e32 vcc, 0, v7
	v_cndmask_b32_e32 v7, v14, v13, vcc
	s_mov_b64 s[10:11], -1
	s_branch .LBB33_2467
.LBB33_2466:
	s_mov_b64 s[0:1], -1
                                        ; implicit-def: $vgpr7
.LBB33_2467:
	s_mov_b64 s[14:15], 0
.LBB33_2468:
	s_and_b64 vcc, exec, s[14:15]
	s_cbranch_vccz .LBB33_2472
; %bb.2469:
	v_mov_b32_e32 v7, 29
	v_cmp_eq_u16_sdwa s[0:1], v6, v7 src0_sel:BYTE_0 src1_sel:DWORD
	s_and_b64 vcc, exec, s[0:1]
	s_cbranch_vccz .LBB33_2471
; %bb.2470:
	global_load_dwordx2 v[14:15], v[0:1], off
	s_mov_b64 s[0:1], 0
	s_mov_b64 s[10:11], -1
	s_mov_b64 s[14:15], 0
	s_waitcnt vmcnt(0)
	v_ffbh_u32_e32 v7, v15
	v_min_u32_e32 v7, 32, v7
	v_lshlrev_b64 v[14:15], v7, v[14:15]
	v_min_u32_e32 v13, 1, v14
	v_or_b32_e32 v13, v15, v13
	v_cvt_f32_u32_e32 v13, v13
	v_sub_u32_e32 v7, 32, v7
	v_ldexp_f32 v7, v13, v7
	s_branch .LBB33_2473
.LBB33_2471:
	s_mov_b64 s[0:1], -1
                                        ; implicit-def: $vgpr7
.LBB33_2472:
	s_mov_b64 s[14:15], 0
.LBB33_2473:
	s_and_b64 vcc, exec, s[14:15]
	s_cbranch_vccz .LBB33_2491
; %bb.2474:
	v_mov_b32_e32 v7, 27
	v_cmp_lt_i16_sdwa s[10:11], v6, v7 src0_sel:BYTE_0 src1_sel:DWORD
	s_and_b64 vcc, exec, s[10:11]
	s_cbranch_vccnz .LBB33_2477
; %bb.2475:
	v_cmp_gt_i16_sdwa s[10:11], v6, v7 src0_sel:BYTE_0 src1_sel:DWORD
	s_and_b64 vcc, exec, s[10:11]
	s_cbranch_vccz .LBB33_2478
; %bb.2476:
	global_load_dword v7, v[0:1], off
	s_mov_b64 s[10:11], 0
	s_waitcnt vmcnt(0)
	v_cvt_f32_u32_e32 v7, v7
	s_branch .LBB33_2479
.LBB33_2477:
	s_mov_b64 s[10:11], -1
                                        ; implicit-def: $vgpr7
	s_branch .LBB33_2482
.LBB33_2478:
	s_mov_b64 s[10:11], -1
                                        ; implicit-def: $vgpr7
.LBB33_2479:
	s_andn2_b64 vcc, exec, s[10:11]
	s_cbranch_vccnz .LBB33_2481
; %bb.2480:
	global_load_ushort v7, v[0:1], off
	s_waitcnt vmcnt(0)
	v_cvt_f32_u32_e32 v7, v7
.LBB33_2481:
	s_mov_b64 s[10:11], 0
.LBB33_2482:
	s_andn2_b64 vcc, exec, s[10:11]
	s_cbranch_vccnz .LBB33_2490
; %bb.2483:
	global_load_ubyte v13, v[0:1], off
	s_movk_i32 s10, 0x7f
                                        ; implicit-def: $sgpr13
	s_waitcnt vmcnt(0)
	v_cmp_lt_i16_e32 vcc, s10, v13
	s_mov_b64 s[10:11], 0
	s_and_saveexec_b64 s[14:15], vcc
	s_xor_b64 s[14:15], exec, s[14:15]
	s_cbranch_execz .LBB33_2504
; %bb.2484:
	s_movk_i32 s10, 0x80
	v_cmp_eq_u16_e32 vcc, s10, v13
	s_mov_b64 s[10:11], -1
                                        ; implicit-def: $sgpr13
	s_and_saveexec_b64 s[16:17], vcc
; %bb.2485:
	s_mov_b32 s13, 0x7f800001
	s_xor_b64 s[10:11], exec, -1
; %bb.2486:
	s_or_b64 exec, exec, s[16:17]
	s_and_b64 s[10:11], s[10:11], exec
	s_or_saveexec_b64 s[14:15], s[14:15]
	v_mov_b32_e32 v7, s13
	s_xor_b64 exec, exec, s[14:15]
	s_cbranch_execnz .LBB33_2505
.LBB33_2487:
	s_or_b64 exec, exec, s[14:15]
	s_and_saveexec_b64 s[14:15], s[10:11]
	s_cbranch_execz .LBB33_2489
.LBB33_2488:
	v_lshlrev_b32_e32 v7, 24, v13
	v_and_b32_e32 v13, 0xffff, v13
	v_and_b32_e32 v14, 7, v13
	v_ffbh_u32_e32 v16, v14
	v_min_u32_e32 v16, 32, v16
	v_subrev_u32_e32 v17, 28, v16
	v_bfe_u32 v15, v13, 3, 4
	v_lshlrev_b32_e32 v13, v17, v13
	v_sub_u32_e32 v16, 29, v16
	v_and_b32_e32 v13, 7, v13
	v_cmp_eq_u32_e32 vcc, 0, v15
	v_cndmask_b32_e32 v15, v15, v16, vcc
	v_cndmask_b32_e32 v13, v14, v13, vcc
	v_mov_b32_e32 v14, 0x3b800000
	v_lshlrev_b32_e32 v13, 20, v13
	v_and_b32_e32 v7, 0x80000000, v7
	v_lshl_add_u32 v14, v15, 23, v14
	v_or3_b32 v7, v7, v14, v13
.LBB33_2489:
	s_or_b64 exec, exec, s[14:15]
.LBB33_2490:
	s_mov_b64 s[10:11], -1
.LBB33_2491:
	s_mov_b64 s[14:15], 0
.LBB33_2492:
	s_and_b64 vcc, exec, s[14:15]
	s_cbranch_vccz .LBB33_2525
; %bb.2493:
	v_mov_b32_e32 v7, 22
	v_cmp_gt_i16_sdwa s[2:3], v6, v7 src0_sel:BYTE_0 src1_sel:DWORD
	s_and_b64 vcc, exec, s[2:3]
	s_cbranch_vccz .LBB33_2503
; %bb.2494:
	v_mov_b32_e32 v7, 24
	v_cmp_lt_i16_sdwa s[2:3], v6, v7 src0_sel:BYTE_0 src1_sel:DWORD
	s_and_b64 vcc, exec, s[2:3]
	s_cbranch_vccnz .LBB33_2506
; %bb.2495:
	v_cmp_gt_i16_sdwa s[2:3], v6, v7 src0_sel:BYTE_0 src1_sel:DWORD
	s_and_b64 vcc, exec, s[2:3]
	s_cbranch_vccz .LBB33_2507
; %bb.2496:
	global_load_ubyte v13, v[0:1], off
	s_movk_i32 s2, 0x7f
                                        ; implicit-def: $sgpr13
	s_waitcnt vmcnt(0)
	v_cmp_lt_i16_e32 vcc, s2, v13
	s_mov_b64 s[2:3], 0
	s_and_saveexec_b64 s[10:11], vcc
	s_xor_b64 s[10:11], exec, s[10:11]
	s_cbranch_execz .LBB33_2519
; %bb.2497:
	s_movk_i32 s2, 0x80
	v_cmp_eq_u16_e32 vcc, s2, v13
	s_mov_b64 s[2:3], -1
                                        ; implicit-def: $sgpr13
	s_and_saveexec_b64 s[14:15], vcc
; %bb.2498:
	s_mov_b32 s13, 0x7f800001
	s_xor_b64 s[2:3], exec, -1
; %bb.2499:
	s_or_b64 exec, exec, s[14:15]
	s_and_b64 s[2:3], s[2:3], exec
	s_or_saveexec_b64 s[10:11], s[10:11]
	v_mov_b32_e32 v7, s13
	s_xor_b64 exec, exec, s[10:11]
	s_cbranch_execnz .LBB33_2520
.LBB33_2500:
	s_or_b64 exec, exec, s[10:11]
	s_and_saveexec_b64 s[10:11], s[2:3]
	s_cbranch_execz .LBB33_2502
.LBB33_2501:
	v_lshlrev_b32_e32 v7, 24, v13
	v_and_b32_e32 v13, 0xffff, v13
	v_and_b32_e32 v14, 3, v13
	v_ffbh_u32_e32 v16, v14
	v_min_u32_e32 v16, 32, v16
	v_subrev_u32_e32 v17, 29, v16
	v_bfe_u32 v15, v13, 2, 5
	v_lshlrev_b32_e32 v13, v17, v13
	v_sub_u32_e32 v16, 30, v16
	v_and_b32_e32 v13, 3, v13
	v_cmp_eq_u32_e32 vcc, 0, v15
	v_cndmask_b32_e32 v15, v15, v16, vcc
	v_cndmask_b32_e32 v13, v14, v13, vcc
	v_mov_b32_e32 v14, 0x37800000
	v_lshlrev_b32_e32 v13, 21, v13
	v_and_b32_e32 v7, 0x80000000, v7
	v_lshl_add_u32 v14, v15, 23, v14
	v_or3_b32 v7, v7, v14, v13
.LBB33_2502:
	s_or_b64 exec, exec, s[10:11]
	s_mov_b64 s[2:3], 0
	s_branch .LBB33_2508
.LBB33_2503:
	s_mov_b64 s[2:3], -1
                                        ; implicit-def: $vgpr7
	s_branch .LBB33_2514
.LBB33_2504:
	s_or_saveexec_b64 s[14:15], s[14:15]
	v_mov_b32_e32 v7, s13
	s_xor_b64 exec, exec, s[14:15]
	s_cbranch_execz .LBB33_2487
.LBB33_2505:
	v_cmp_ne_u16_e32 vcc, 0, v13
	s_andn2_b64 s[10:11], s[10:11], exec
	s_and_b64 s[16:17], vcc, exec
	v_mov_b32_e32 v7, 0
	s_or_b64 s[10:11], s[10:11], s[16:17]
	s_or_b64 exec, exec, s[14:15]
	s_and_saveexec_b64 s[14:15], s[10:11]
	s_cbranch_execnz .LBB33_2488
	s_branch .LBB33_2489
.LBB33_2506:
	s_mov_b64 s[2:3], -1
                                        ; implicit-def: $vgpr7
	s_branch .LBB33_2511
.LBB33_2507:
	s_mov_b64 s[2:3], -1
                                        ; implicit-def: $vgpr7
.LBB33_2508:
	s_and_b64 vcc, exec, s[2:3]
	s_cbranch_vccz .LBB33_2510
; %bb.2509:
	global_load_ubyte v7, v[0:1], off
	s_mov_b32 s2, 0x7f800000
	s_waitcnt vmcnt(0)
	v_lshlrev_b32_e32 v7, 24, v7
	v_and_b32_e32 v13, 0x7f000000, v7
	v_ffbh_u32_e32 v14, v13
	v_min_u32_e32 v14, 32, v14
	v_sub_u32_e64 v14, v14, 4 clamp
	v_lshlrev_b32_e32 v16, v14, v13
	v_lshlrev_b32_e32 v14, 23, v14
	v_lshrrev_b32_e32 v16, 4, v16
	v_add_u32_e32 v15, 0x1000000, v13
	v_sub_u32_e32 v14, v16, v14
	v_ashrrev_i32_e32 v15, 8, v15
	v_add_u32_e32 v14, 0x3c000000, v14
	v_and_or_b32 v14, v15, s2, v14
	v_cmp_ne_u32_e32 vcc, 0, v13
	v_cndmask_b32_e32 v13, 0, v14, vcc
	s_brev_b32 s2, 1
	v_and_or_b32 v7, v7, s2, v13
.LBB33_2510:
	s_mov_b64 s[2:3], 0
.LBB33_2511:
	s_andn2_b64 vcc, exec, s[2:3]
	s_cbranch_vccnz .LBB33_2513
; %bb.2512:
	global_load_ubyte v7, v[0:1], off
	s_movk_i32 s2, 0x7f00
	s_brev_b32 s3, 16
	s_waitcnt vmcnt(0)
	v_lshlrev_b16_e32 v13, 8, v7
	v_lshlrev_b32_e32 v7, 25, v7
	v_lshrrev_b32_e32 v14, 4, v7
	v_and_or_b32 v15, v13, s2, 0.5
	v_or_b32_e32 v14, 0x70000000, v14
	v_add_f32_e32 v15, -0.5, v15
	v_mul_f32_e32 v14, 0x7800000, v14
	v_cmp_gt_u32_e32 vcc, s3, v7
	v_bfe_i32 v13, v13, 0, 16
	v_cndmask_b32_e32 v7, v14, v15, vcc
	s_brev_b32 s2, 1
	v_and_or_b32 v7, v13, s2, v7
.LBB33_2513:
	s_mov_b64 s[2:3], 0
	s_mov_b64 s[10:11], -1
.LBB33_2514:
	s_andn2_b64 vcc, exec, s[2:3]
	s_mov_b64 s[2:3], 0
	s_cbranch_vccnz .LBB33_2525
; %bb.2515:
	v_mov_b32_e32 v7, 14
	v_cmp_gt_i16_sdwa s[2:3], v6, v7 src0_sel:BYTE_0 src1_sel:DWORD
	s_and_b64 vcc, exec, s[2:3]
	s_cbranch_vccz .LBB33_2518
; %bb.2516:
	v_mov_b32_e32 v7, 15
	v_cmp_eq_u16_sdwa s[0:1], v6, v7 src0_sel:BYTE_0 src1_sel:DWORD
	s_and_b64 vcc, exec, s[0:1]
	s_cbranch_vccz .LBB33_2521
; %bb.2517:
	global_load_ushort v7, v[0:1], off
	s_mov_b64 s[0:1], 0
	s_mov_b64 s[10:11], -1
	s_waitcnt vmcnt(0)
	v_lshlrev_b32_e32 v7, 16, v7
	s_branch .LBB33_2522
.LBB33_2518:
	s_mov_b64 s[14:15], -1
                                        ; implicit-def: $vgpr7
	s_branch .LBB33_2523
.LBB33_2519:
	s_or_saveexec_b64 s[10:11], s[10:11]
	v_mov_b32_e32 v7, s13
	s_xor_b64 exec, exec, s[10:11]
	s_cbranch_execz .LBB33_2500
.LBB33_2520:
	v_cmp_ne_u16_e32 vcc, 0, v13
	s_andn2_b64 s[2:3], s[2:3], exec
	s_and_b64 s[14:15], vcc, exec
	v_mov_b32_e32 v7, 0
	s_or_b64 s[2:3], s[2:3], s[14:15]
	s_or_b64 exec, exec, s[10:11]
	s_and_saveexec_b64 s[10:11], s[2:3]
	s_cbranch_execnz .LBB33_2501
	s_branch .LBB33_2502
.LBB33_2521:
	s_mov_b64 s[0:1], -1
                                        ; implicit-def: $vgpr7
.LBB33_2522:
	s_mov_b64 s[14:15], 0
.LBB33_2523:
	s_mov_b64 s[2:3], 0
	s_and_b64 vcc, exec, s[14:15]
	s_cbranch_vccz .LBB33_2525
; %bb.2524:
	v_mov_b32_e32 v7, 11
	v_cmp_ne_u16_sdwa s[0:1], v6, v7 src0_sel:BYTE_0 src1_sel:DWORD
	s_mov_b64 s[2:3], -1
                                        ; implicit-def: $vgpr7
.LBB33_2525:
	s_and_b64 vcc, exec, s[0:1]
	s_cbranch_vccnz .LBB33_2589
; %bb.2526:
	s_andn2_b64 vcc, exec, s[2:3]
	s_cbranch_vccnz .LBB33_2528
.LBB33_2527:
	global_load_ubyte v7, v[0:1], off
	s_mov_b64 s[10:11], -1
	s_waitcnt vmcnt(0)
	v_cmp_ne_u16_e32 vcc, 0, v7
	v_cndmask_b32_e64 v7, 0, 1.0, vcc
.LBB33_2528:
	s_mov_b64 s[0:1], 0
.LBB33_2529:
	s_and_b64 vcc, exec, s[0:1]
	s_cbranch_vccz .LBB33_2578
; %bb.2530:
	v_mov_b32_e32 v7, 5
	v_cmp_lt_i16_sdwa s[0:1], v6, v7 src0_sel:BYTE_0 src1_sel:DWORD
	s_and_b64 vcc, exec, s[0:1]
	s_cbranch_vccnz .LBB33_2535
; %bb.2531:
	v_mov_b32_e32 v7, 8
	v_cmp_lt_i16_sdwa s[0:1], v6, v7 src0_sel:BYTE_0 src1_sel:DWORD
	s_and_b64 vcc, exec, s[0:1]
	s_cbranch_vccnz .LBB33_2536
	;; [unrolled: 5-line block ×3, first 2 shown]
; %bb.2533:
	v_cmp_gt_i16_sdwa s[0:1], v6, v7 src0_sel:BYTE_0 src1_sel:DWORD
	s_and_b64 vcc, exec, s[0:1]
	s_cbranch_vccz .LBB33_2538
; %bb.2534:
	global_load_dwordx2 v[14:15], v[0:1], off
	s_mov_b64 s[0:1], 0
	s_waitcnt vmcnt(0)
	v_cvt_f32_f64_e32 v7, v[14:15]
	s_branch .LBB33_2539
.LBB33_2535:
	s_mov_b64 s[0:1], -1
                                        ; implicit-def: $vgpr7
	s_branch .LBB33_2557
.LBB33_2536:
	s_mov_b64 s[0:1], -1
                                        ; implicit-def: $vgpr7
	s_branch .LBB33_2545
.LBB33_2537:
	s_mov_b64 s[0:1], -1
                                        ; implicit-def: $vgpr7
	s_branch .LBB33_2542
.LBB33_2538:
	s_mov_b64 s[0:1], -1
                                        ; implicit-def: $vgpr7
.LBB33_2539:
	s_andn2_b64 vcc, exec, s[0:1]
	s_cbranch_vccnz .LBB33_2541
; %bb.2540:
	global_load_dword v7, v[0:1], off
.LBB33_2541:
	s_mov_b64 s[0:1], 0
.LBB33_2542:
	s_andn2_b64 vcc, exec, s[0:1]
	s_cbranch_vccnz .LBB33_2544
; %bb.2543:
	global_load_dword v7, v[0:1], off
	s_waitcnt vmcnt(0)
	v_cvt_f32_f16_e32 v7, v7
.LBB33_2544:
	s_mov_b64 s[0:1], 0
.LBB33_2545:
	s_andn2_b64 vcc, exec, s[0:1]
	s_cbranch_vccnz .LBB33_2556
; %bb.2546:
	s_waitcnt vmcnt(0)
	v_mov_b32_e32 v7, 6
	v_cmp_lt_i16_sdwa s[0:1], v6, v7 src0_sel:BYTE_0 src1_sel:DWORD
	s_and_b64 vcc, exec, s[0:1]
	s_cbranch_vccnz .LBB33_2549
; %bb.2547:
	v_cmp_gt_i16_sdwa s[0:1], v6, v7 src0_sel:BYTE_0 src1_sel:DWORD
	s_and_b64 vcc, exec, s[0:1]
	s_cbranch_vccz .LBB33_2550
; %bb.2548:
	global_load_dwordx2 v[14:15], v[0:1], off
	s_mov_b64 s[0:1], 0
	s_waitcnt vmcnt(0)
	v_cvt_f32_f64_e32 v7, v[14:15]
	s_branch .LBB33_2551
.LBB33_2549:
	s_mov_b64 s[0:1], -1
                                        ; implicit-def: $vgpr7
	s_branch .LBB33_2554
.LBB33_2550:
	s_mov_b64 s[0:1], -1
                                        ; implicit-def: $vgpr7
.LBB33_2551:
	s_andn2_b64 vcc, exec, s[0:1]
	s_cbranch_vccnz .LBB33_2553
; %bb.2552:
	global_load_dword v7, v[0:1], off
.LBB33_2553:
	s_mov_b64 s[0:1], 0
.LBB33_2554:
	s_andn2_b64 vcc, exec, s[0:1]
	s_cbranch_vccnz .LBB33_2556
; %bb.2555:
	global_load_ushort v7, v[0:1], off
	s_waitcnt vmcnt(0)
	v_cvt_f32_f16_e32 v7, v7
.LBB33_2556:
	s_mov_b64 s[0:1], 0
.LBB33_2557:
	s_andn2_b64 vcc, exec, s[0:1]
	s_cbranch_vccnz .LBB33_2577
; %bb.2558:
	s_waitcnt vmcnt(0)
	v_mov_b32_e32 v7, 2
	v_cmp_lt_i16_sdwa s[0:1], v6, v7 src0_sel:BYTE_0 src1_sel:DWORD
	s_and_b64 vcc, exec, s[0:1]
	s_cbranch_vccnz .LBB33_2562
; %bb.2559:
	v_mov_b32_e32 v7, 3
	v_cmp_lt_i16_sdwa s[0:1], v6, v7 src0_sel:BYTE_0 src1_sel:DWORD
	s_and_b64 vcc, exec, s[0:1]
	s_cbranch_vccnz .LBB33_2563
; %bb.2560:
	v_cmp_gt_i16_sdwa s[0:1], v6, v7 src0_sel:BYTE_0 src1_sel:DWORD
	s_and_b64 vcc, exec, s[0:1]
	s_cbranch_vccz .LBB33_2564
; %bb.2561:
	global_load_dwordx2 v[14:15], v[0:1], off
	s_mov_b64 s[0:1], 0
	s_waitcnt vmcnt(0)
	v_xor_b32_e32 v13, v14, v15
	v_ffbh_i32_e32 v7, v15
	v_ashrrev_i32_e32 v13, 31, v13
	v_add_u32_e32 v7, -1, v7
	v_add_u32_e32 v13, 32, v13
	v_min_u32_e32 v7, v7, v13
	v_lshlrev_b64 v[14:15], v7, v[14:15]
	v_min_u32_e32 v13, 1, v14
	v_or_b32_e32 v13, v15, v13
	v_cvt_f32_i32_e32 v13, v13
	v_sub_u32_e32 v7, 32, v7
	v_ldexp_f32 v7, v13, v7
	s_branch .LBB33_2565
.LBB33_2562:
	s_mov_b64 s[0:1], -1
                                        ; implicit-def: $vgpr7
	s_branch .LBB33_2571
.LBB33_2563:
	s_mov_b64 s[0:1], -1
                                        ; implicit-def: $vgpr7
	s_branch .LBB33_2568
.LBB33_2564:
	s_mov_b64 s[0:1], -1
                                        ; implicit-def: $vgpr7
.LBB33_2565:
	s_andn2_b64 vcc, exec, s[0:1]
	s_cbranch_vccnz .LBB33_2567
; %bb.2566:
	global_load_dword v7, v[0:1], off
	s_waitcnt vmcnt(0)
	v_cvt_f32_i32_e32 v7, v7
.LBB33_2567:
	s_mov_b64 s[0:1], 0
.LBB33_2568:
	s_andn2_b64 vcc, exec, s[0:1]
	s_cbranch_vccnz .LBB33_2570
; %bb.2569:
	global_load_sshort v7, v[0:1], off
	s_waitcnt vmcnt(0)
	v_cvt_f32_i32_e32 v7, v7
.LBB33_2570:
	s_mov_b64 s[0:1], 0
.LBB33_2571:
	s_andn2_b64 vcc, exec, s[0:1]
	s_cbranch_vccnz .LBB33_2577
; %bb.2572:
	v_mov_b32_e32 v7, 0
	v_cmp_gt_i16_sdwa s[0:1], v6, v7 src0_sel:BYTE_0 src1_sel:DWORD
	s_and_b64 vcc, exec, s[0:1]
	s_cbranch_vccz .LBB33_2574
; %bb.2573:
	global_load_sbyte v6, v[0:1], off
	s_mov_b64 s[0:1], 0
	s_waitcnt vmcnt(0)
	v_cvt_f32_i32_e32 v7, v6
	s_branch .LBB33_2575
.LBB33_2574:
	s_mov_b64 s[0:1], -1
                                        ; implicit-def: $vgpr7
.LBB33_2575:
	s_andn2_b64 vcc, exec, s[0:1]
	s_cbranch_vccnz .LBB33_2577
; %bb.2576:
	global_load_ubyte v0, v[0:1], off
	s_waitcnt vmcnt(0)
	v_cvt_f32_ubyte0_e32 v7, v0
.LBB33_2577:
	s_mov_b64 s[10:11], -1
.LBB33_2578:
	s_andn2_b64 vcc, exec, s[10:11]
	s_cbranch_vccnz .LBB33_3032
; %bb.2579:
	s_waitcnt vmcnt(0)
	v_mul_f32_e32 v0, v2, v3
	v_cmp_lt_f32_e32 vcc, 0, v2
	v_mul_lo_u32 v5, s12, v5
	v_cndmask_b32_e32 v2, v0, v2, vcc
	v_ashrrev_i32_e32 v1, 31, v5
	v_mov_b32_e32 v3, s9
	v_add_co_u32_e32 v0, vcc, s8, v5
	v_addc_co_u32_e32 v1, vcc, v3, v1, vcc
	v_mov_b32_e32 v3, 11
	v_cmp_lt_i16_sdwa s[0:1], v4, v3 src0_sel:BYTE_0 src1_sel:DWORD
	s_and_b64 vcc, exec, s[0:1]
	s_cbranch_vccnz .LBB33_2586
; %bb.2580:
	v_mov_b32_e32 v3, 25
	v_cmp_gt_i16_sdwa s[0:1], v4, v3 src0_sel:BYTE_0 src1_sel:DWORD
	s_mov_b64 s[14:15], -1
	s_mov_b64 s[2:3], 0
	s_and_b64 vcc, exec, s[0:1]
	s_mov_b64 s[10:11], 0
	s_mov_b64 s[0:1], 0
	s_cbranch_vccz .LBB33_2618
; %bb.2581:
	v_mov_b32_e32 v3, 28
	v_cmp_gt_i16_sdwa s[0:1], v4, v3 src0_sel:BYTE_0 src1_sel:DWORD
	s_and_b64 vcc, exec, s[0:1]
	s_cbranch_vccz .LBB33_2587
; %bb.2582:
	v_mov_b32_e32 v3, 43
	v_cmp_gt_i16_sdwa s[0:1], v4, v3 src0_sel:BYTE_0 src1_sel:DWORD
	s_and_b64 vcc, exec, s[0:1]
	;; [unrolled: 5-line block ×3, first 2 shown]
	s_cbranch_vccz .LBB33_2590
; %bb.2584:
	v_mov_b32_e32 v3, 46
	v_cmp_eq_u16_sdwa s[10:11], v4, v3 src0_sel:BYTE_0 src1_sel:DWORD
	s_mov_b64 s[0:1], -1
	s_mov_b64 s[14:15], 0
	s_and_b64 vcc, exec, s[10:11]
	s_mov_b64 s[10:11], 0
	s_cbranch_vccz .LBB33_2591
; %bb.2585:
	v_bfe_u32 v3, v2, 16, 1
	s_movk_i32 s0, 0x7fff
	v_add3_u32 v3, v2, v3, s0
	v_lshrrev_b32_e32 v3, 16, v3
	v_mov_b32_e32 v6, 0x7fc0
	v_cmp_o_f32_e32 vcc, v2, v2
	v_cndmask_b32_e32 v3, v6, v3, vcc
	global_store_dword v[0:1], v3, off
	s_mov_b64 s[0:1], 0
	s_mov_b64 s[10:11], -1
	s_branch .LBB33_2591
.LBB33_2586:
	s_mov_b64 s[0:1], -1
	s_mov_b64 s[10:11], 0
	s_branch .LBB33_2662
.LBB33_2587:
	s_mov_b64 s[0:1], 0
	s_branch .LBB33_2601
.LBB33_2588:
	s_mov_b64 s[0:1], 0
	s_branch .LBB33_2597
.LBB33_2589:
	s_trap 2
	s_or_b64 s[18:19], s[18:19], exec
                                        ; implicit-def: $vgpr7
	s_cbranch_execz .LBB33_2527
	s_branch .LBB33_2528
.LBB33_2590:
	s_mov_b64 s[0:1], 0
.LBB33_2591:
	s_and_b64 vcc, exec, s[14:15]
	s_cbranch_vccz .LBB33_2596
; %bb.2592:
	v_mov_b32_e32 v3, 44
	v_cmp_eq_u16_sdwa s[14:15], v4, v3 src0_sel:BYTE_0 src1_sel:DWORD
	s_mov_b64 s[0:1], -1
	s_and_b64 vcc, exec, s[14:15]
	s_cbranch_vccz .LBB33_2596
; %bb.2593:
	v_bfe_u32 v3, v2, 23, 8
	s_movk_i32 s0, 0xff
	v_cmp_ne_u32_e32 vcc, s0, v3
	v_mov_b32_e32 v6, 0xff
	s_and_saveexec_b64 s[10:11], vcc
; %bb.2594:
	s_mov_b32 s0, 0x3fffff
	v_and_b32_e32 v13, 0x400000, v2
	v_and_or_b32 v3, v2, s0, v3
	v_cmp_ne_u32_e32 vcc, 0, v13
	v_cmp_ne_u32_e64 s[0:1], 0, v3
	s_and_b64 s[0:1], vcc, s[0:1]
	v_lshrrev_b32_e32 v6, 23, v2
	v_cndmask_b32_e64 v3, 0, 1, s[0:1]
	v_add_u32_e32 v6, v6, v3
; %bb.2595:
	s_or_b64 exec, exec, s[10:11]
	s_mov_b64 s[0:1], 0
	s_mov_b64 s[10:11], -1
	global_store_byte v[0:1], v6, off
.LBB33_2596:
	s_mov_b64 s[14:15], 0
.LBB33_2597:
	s_and_b64 vcc, exec, s[14:15]
	s_cbranch_vccz .LBB33_2600
; %bb.2598:
	v_mov_b32_e32 v3, 29
	v_cmp_eq_u16_sdwa s[14:15], v4, v3 src0_sel:BYTE_0 src1_sel:DWORD
	s_mov_b64 s[0:1], -1
	s_and_b64 vcc, exec, s[14:15]
	s_cbranch_vccz .LBB33_2600
; %bb.2599:
	v_trunc_f32_e32 v3, v2
	v_mul_f32_e32 v6, 0x2f800000, v3
	v_floor_f32_e32 v6, v6
	v_fmac_f32_e32 v3, 0xcf800000, v6
	v_cvt_u32_f32_e32 v15, v6
	v_cvt_u32_f32_e32 v14, v3
	s_mov_b64 s[0:1], 0
	s_mov_b64 s[10:11], -1
	s_mov_b64 s[14:15], 0
	global_store_dwordx2 v[0:1], v[14:15], off
	s_branch .LBB33_2601
.LBB33_2600:
	s_mov_b64 s[14:15], 0
.LBB33_2601:
	s_and_b64 vcc, exec, s[14:15]
	s_cbranch_vccz .LBB33_2617
; %bb.2602:
	v_mov_b32_e32 v3, 27
	v_cmp_lt_i16_sdwa s[14:15], v4, v3 src0_sel:BYTE_0 src1_sel:DWORD
	s_mov_b64 s[10:11], -1
	s_and_b64 vcc, exec, s[14:15]
	s_cbranch_vccnz .LBB33_2608
; %bb.2603:
	v_cmp_gt_i16_sdwa s[14:15], v4, v3 src0_sel:BYTE_0 src1_sel:DWORD
	v_cvt_u32_f32_e32 v3, v2
	s_and_b64 vcc, exec, s[14:15]
	s_cbranch_vccz .LBB33_2605
; %bb.2604:
	s_mov_b64 s[10:11], 0
	global_store_dword v[0:1], v3, off
.LBB33_2605:
	s_andn2_b64 vcc, exec, s[10:11]
	s_cbranch_vccnz .LBB33_2607
; %bb.2606:
	global_store_short v[0:1], v3, off
.LBB33_2607:
	s_mov_b64 s[10:11], 0
.LBB33_2608:
	s_andn2_b64 vcc, exec, s[10:11]
	s_cbranch_vccnz .LBB33_2616
; %bb.2609:
	v_and_b32_e32 v3, 0x7fffffff, v2
	s_mov_b32 s10, 0x43800000
	v_cmp_gt_u32_e32 vcc, s10, v3
	v_mov_b32_e32 v6, 0x80
	s_and_saveexec_b64 s[10:11], vcc
	s_cbranch_execz .LBB33_2615
; %bb.2610:
	s_mov_b32 s13, 0x3bffffff
	v_cmp_lt_u32_e32 vcc, s13, v3
	s_mov_b64 s[14:15], 0
                                        ; implicit-def: $vgpr3
	s_and_saveexec_b64 s[16:17], vcc
	s_xor_b64 s[16:17], exec, s[16:17]
	s_cbranch_execz .LBB33_2711
; %bb.2611:
	v_bfe_u32 v3, v2, 20, 1
	s_mov_b32 s13, 0x487ffff
	v_add3_u32 v3, v2, v3, s13
	s_mov_b64 s[14:15], exec
	v_lshrrev_b32_e32 v3, 20, v3
	s_or_saveexec_b64 s[16:17], s[16:17]
                                        ; implicit-def: $sgpr13
	s_xor_b64 exec, exec, s[16:17]
	s_cbranch_execnz .LBB33_2712
.LBB33_2612:
	s_or_b64 exec, exec, s[16:17]
	v_mov_b32_e32 v6, s13
	s_and_saveexec_b64 s[16:17], s[14:15]
.LBB33_2613:
	v_lshrrev_b32_e32 v6, 24, v2
	s_movk_i32 s13, 0x80
	v_and_or_b32 v6, v6, s13, v3
.LBB33_2614:
	s_or_b64 exec, exec, s[16:17]
.LBB33_2615:
	s_or_b64 exec, exec, s[10:11]
	global_store_byte v[0:1], v6, off
.LBB33_2616:
	s_mov_b64 s[10:11], -1
.LBB33_2617:
	s_mov_b64 s[14:15], 0
.LBB33_2618:
	s_and_b64 vcc, exec, s[14:15]
	s_cbranch_vccz .LBB33_2658
; %bb.2619:
	v_mov_b32_e32 v3, 22
	v_cmp_gt_i16_sdwa s[14:15], v4, v3 src0_sel:BYTE_0 src1_sel:DWORD
	s_mov_b64 s[2:3], -1
	s_and_b64 vcc, exec, s[14:15]
	s_cbranch_vccz .LBB33_2651
; %bb.2620:
	v_mov_b32_e32 v3, 24
	v_cmp_lt_i16_sdwa s[10:11], v4, v3 src0_sel:BYTE_0 src1_sel:DWORD
	s_and_b64 vcc, exec, s[10:11]
	s_cbranch_vccnz .LBB33_2640
; %bb.2621:
	v_cmp_gt_i16_sdwa s[10:11], v4, v3 src0_sel:BYTE_0 src1_sel:DWORD
	s_and_b64 vcc, exec, s[10:11]
	s_cbranch_vccz .LBB33_2629
; %bb.2622:
	v_and_b32_e32 v3, 0x7fffffff, v2
	s_mov_b32 s2, 0x47800000
	v_cmp_gt_u32_e32 vcc, s2, v3
	v_mov_b32_e32 v6, 0x80
	s_and_saveexec_b64 s[2:3], vcc
	s_cbranch_execz .LBB33_2628
; %bb.2623:
	s_mov_b32 s10, 0x37ffffff
	v_cmp_lt_u32_e32 vcc, s10, v3
	s_mov_b64 s[10:11], 0
                                        ; implicit-def: $vgpr3
	s_and_saveexec_b64 s[14:15], vcc
	s_xor_b64 s[14:15], exec, s[14:15]
	s_cbranch_execz .LBB33_2715
; %bb.2624:
	v_bfe_u32 v3, v2, 21, 1
	s_mov_b32 s13, 0x88fffff
	v_add3_u32 v3, v2, v3, s13
	s_mov_b64 s[10:11], exec
	v_lshrrev_b32_e32 v3, 21, v3
	s_or_saveexec_b64 s[14:15], s[14:15]
                                        ; implicit-def: $sgpr13
	s_xor_b64 exec, exec, s[14:15]
	s_cbranch_execnz .LBB33_2716
.LBB33_2625:
	s_or_b64 exec, exec, s[14:15]
	v_mov_b32_e32 v6, s13
	s_and_saveexec_b64 s[14:15], s[10:11]
.LBB33_2626:
	v_lshrrev_b32_e32 v6, 24, v2
	s_movk_i32 s10, 0x80
	v_and_or_b32 v6, v6, s10, v3
.LBB33_2627:
	s_or_b64 exec, exec, s[14:15]
.LBB33_2628:
	s_or_b64 exec, exec, s[2:3]
	s_mov_b64 s[2:3], 0
	global_store_byte v[0:1], v6, off
.LBB33_2629:
	s_and_b64 vcc, exec, s[2:3]
	s_cbranch_vccz .LBB33_2639
; %bb.2630:
	v_and_b32_e32 v6, 0x7fffffff, v2
	s_mov_b32 s2, 0x43f00000
	v_cmp_gt_u32_e32 vcc, s2, v6
                                        ; implicit-def: $vgpr3
	s_and_saveexec_b64 s[2:3], vcc
	s_xor_b64 s[2:3], exec, s[2:3]
	s_cbranch_execz .LBB33_2636
; %bb.2631:
	s_mov_b32 s10, 0x3c7fffff
	v_cmp_lt_u32_e32 vcc, s10, v6
                                        ; implicit-def: $vgpr3
	s_and_saveexec_b64 s[10:11], vcc
	s_xor_b64 s[10:11], exec, s[10:11]
; %bb.2632:
	v_bfe_u32 v3, v2, 20, 1
	s_mov_b32 s13, 0x407ffff
	v_add3_u32 v3, v2, v3, s13
	v_lshrrev_b32_e32 v6, 20, v3
	v_and_b32_e32 v3, 0xff00000, v3
	s_mov_b32 s13, 0x7f00000
	v_mov_b32_e32 v13, 0x7e
	v_cmp_ne_u32_e32 vcc, s13, v3
	v_cndmask_b32_e32 v3, v13, v6, vcc
; %bb.2633:
	s_andn2_saveexec_b64 s[10:11], s[10:11]
; %bb.2634:
	s_mov_b32 s13, 0x46800000
	v_add_f32_e64 v3, |v2|, s13
; %bb.2635:
	s_or_b64 exec, exec, s[10:11]
                                        ; implicit-def: $vgpr6
.LBB33_2636:
	s_andn2_saveexec_b64 s[2:3], s[2:3]
; %bb.2637:
	s_mov_b32 s10, 0x7f800000
	v_mov_b32_e32 v3, 0x7e
	v_mov_b32_e32 v13, 0x7f
	v_cmp_lt_u32_e32 vcc, s10, v6
	v_cndmask_b32_e32 v3, v3, v13, vcc
; %bb.2638:
	s_or_b64 exec, exec, s[2:3]
	v_lshrrev_b32_e32 v6, 24, v2
	s_movk_i32 s2, 0x80
	v_and_or_b32 v3, v6, s2, v3
	global_store_byte v[0:1], v3, off
.LBB33_2639:
	s_mov_b64 s[2:3], 0
.LBB33_2640:
	s_andn2_b64 vcc, exec, s[2:3]
	s_cbranch_vccnz .LBB33_2650
; %bb.2641:
	v_and_b32_e32 v6, 0x7fffffff, v2
	s_mov_b32 s2, 0x47800000
	v_cmp_gt_u32_e32 vcc, s2, v6
                                        ; implicit-def: $vgpr3
	s_and_saveexec_b64 s[2:3], vcc
	s_xor_b64 s[2:3], exec, s[2:3]
	s_cbranch_execz .LBB33_2647
; %bb.2642:
	s_mov_b32 s10, 0x387fffff
	v_cmp_lt_u32_e32 vcc, s10, v6
                                        ; implicit-def: $vgpr3
	s_and_saveexec_b64 s[10:11], vcc
	s_xor_b64 s[10:11], exec, s[10:11]
; %bb.2643:
	v_bfe_u32 v3, v2, 21, 1
	s_mov_b32 s13, 0x80fffff
	v_add3_u32 v3, v2, v3, s13
	v_lshrrev_b32_e32 v3, 21, v3
; %bb.2644:
	s_andn2_saveexec_b64 s[10:11], s[10:11]
; %bb.2645:
	s_mov_b32 s13, 0x43000000
	v_add_f32_e64 v3, |v2|, s13
; %bb.2646:
	s_or_b64 exec, exec, s[10:11]
                                        ; implicit-def: $vgpr6
.LBB33_2647:
	s_andn2_saveexec_b64 s[2:3], s[2:3]
; %bb.2648:
	s_mov_b32 s10, 0x7f800000
	v_mov_b32_e32 v3, 0x7c
	v_mov_b32_e32 v13, 0x7f
	v_cmp_lt_u32_e32 vcc, s10, v6
	v_cndmask_b32_e32 v3, v3, v13, vcc
; %bb.2649:
	s_or_b64 exec, exec, s[2:3]
	v_lshrrev_b32_e32 v6, 24, v2
	s_movk_i32 s2, 0x80
	v_and_or_b32 v3, v6, s2, v3
	global_store_byte v[0:1], v3, off
.LBB33_2650:
	s_mov_b64 s[2:3], 0
	s_mov_b64 s[10:11], -1
.LBB33_2651:
	s_andn2_b64 vcc, exec, s[2:3]
	s_mov_b64 s[2:3], 0
	s_cbranch_vccnz .LBB33_2658
; %bb.2652:
	v_mov_b32_e32 v3, 14
	v_cmp_gt_i16_sdwa s[2:3], v4, v3 src0_sel:BYTE_0 src1_sel:DWORD
	s_mov_b64 s[14:15], -1
	s_and_b64 vcc, exec, s[2:3]
	s_cbranch_vccz .LBB33_2656
; %bb.2653:
	v_mov_b32_e32 v3, 15
	v_cmp_eq_u16_sdwa s[2:3], v4, v3 src0_sel:BYTE_0 src1_sel:DWORD
	s_mov_b64 s[0:1], -1
	s_and_b64 vcc, exec, s[2:3]
	s_cbranch_vccz .LBB33_2655
; %bb.2654:
	v_bfe_u32 v3, v2, 16, 1
	s_movk_i32 s0, 0x7fff
	v_add3_u32 v3, v2, v3, s0
	v_lshrrev_b32_e32 v3, 16, v3
	v_mov_b32_e32 v6, 0x7fc0
	v_cmp_o_f32_e32 vcc, v2, v2
	v_cndmask_b32_e32 v3, v6, v3, vcc
	global_store_short v[0:1], v3, off
	s_mov_b64 s[0:1], 0
	s_mov_b64 s[10:11], -1
.LBB33_2655:
	s_mov_b64 s[14:15], 0
.LBB33_2656:
	s_mov_b64 s[2:3], 0
	s_and_b64 vcc, exec, s[14:15]
	s_cbranch_vccz .LBB33_2658
; %bb.2657:
	v_mov_b32_e32 v3, 11
	v_cmp_ne_u16_sdwa s[0:1], v4, v3 src0_sel:BYTE_0 src1_sel:DWORD
	s_mov_b64 s[2:3], -1
.LBB33_2658:
	s_and_b64 vcc, exec, s[0:1]
	s_cbranch_vccnz .LBB33_2714
; %bb.2659:
	s_andn2_b64 vcc, exec, s[2:3]
	s_cbranch_vccnz .LBB33_2661
.LBB33_2660:
	v_cmp_neq_f32_e32 vcc, 0, v2
	v_cndmask_b32_e64 v3, 0, 1, vcc
	s_mov_b64 s[10:11], -1
	global_store_byte v[0:1], v3, off
.LBB33_2661:
	s_mov_b64 s[0:1], 0
.LBB33_2662:
	s_and_b64 vcc, exec, s[0:1]
	s_cbranch_vccz .LBB33_2701
; %bb.2663:
	v_mov_b32_e32 v3, 5
	v_cmp_lt_i16_sdwa s[2:3], v4, v3 src0_sel:BYTE_0 src1_sel:DWORD
	s_mov_b64 s[0:1], -1
	s_and_b64 vcc, exec, s[2:3]
	s_cbranch_vccnz .LBB33_2684
; %bb.2664:
	v_mov_b32_e32 v3, 8
	v_cmp_lt_i16_sdwa s[2:3], v4, v3 src0_sel:BYTE_0 src1_sel:DWORD
	s_and_b64 vcc, exec, s[2:3]
	s_cbranch_vccnz .LBB33_2674
; %bb.2665:
	v_mov_b32_e32 v3, 9
	v_cmp_lt_i16_sdwa s[2:3], v4, v3 src0_sel:BYTE_0 src1_sel:DWORD
	s_and_b64 vcc, exec, s[2:3]
	s_cbranch_vccnz .LBB33_2671
; %bb.2666:
	v_cmp_gt_i16_sdwa s[2:3], v4, v3 src0_sel:BYTE_0 src1_sel:DWORD
	s_and_b64 vcc, exec, s[2:3]
	s_cbranch_vccz .LBB33_2668
; %bb.2667:
	v_mov_b32_e32 v16, 0
	v_cvt_f64_f32_e32 v[14:15], v2
	v_mov_b32_e32 v17, v16
	global_store_dwordx4 v[0:1], v[14:17], off
	s_mov_b64 s[0:1], 0
.LBB33_2668:
	s_andn2_b64 vcc, exec, s[0:1]
	s_cbranch_vccnz .LBB33_2670
; %bb.2669:
	v_mov_b32_e32 v3, 0
	global_store_dwordx2 v[0:1], v[2:3], off
.LBB33_2670:
	s_mov_b64 s[0:1], 0
.LBB33_2671:
	s_andn2_b64 vcc, exec, s[0:1]
	s_cbranch_vccnz .LBB33_2673
; %bb.2672:
	v_cvt_f16_f32_e32 v3, v2
	global_store_dword v[0:1], v3, off
.LBB33_2673:
	s_mov_b64 s[0:1], 0
.LBB33_2674:
	s_andn2_b64 vcc, exec, s[0:1]
	s_cbranch_vccnz .LBB33_2683
; %bb.2675:
	v_mov_b32_e32 v3, 6
	v_cmp_lt_i16_sdwa s[2:3], v4, v3 src0_sel:BYTE_0 src1_sel:DWORD
	s_mov_b64 s[0:1], -1
	s_and_b64 vcc, exec, s[2:3]
	s_cbranch_vccnz .LBB33_2681
; %bb.2676:
	v_cmp_gt_i16_sdwa s[2:3], v4, v3 src0_sel:BYTE_0 src1_sel:DWORD
	s_and_b64 vcc, exec, s[2:3]
	s_cbranch_vccz .LBB33_2678
; %bb.2677:
	v_cvt_f64_f32_e32 v[14:15], v2
	global_store_dwordx2 v[0:1], v[14:15], off
	s_mov_b64 s[0:1], 0
.LBB33_2678:
	s_andn2_b64 vcc, exec, s[0:1]
	s_cbranch_vccnz .LBB33_2680
; %bb.2679:
	global_store_dword v[0:1], v2, off
.LBB33_2680:
	s_mov_b64 s[0:1], 0
.LBB33_2681:
	s_andn2_b64 vcc, exec, s[0:1]
	s_cbranch_vccnz .LBB33_2683
; %bb.2682:
	v_cvt_f16_f32_e32 v3, v2
	global_store_short v[0:1], v3, off
.LBB33_2683:
	s_mov_b64 s[0:1], 0
.LBB33_2684:
	s_andn2_b64 vcc, exec, s[0:1]
	s_cbranch_vccnz .LBB33_2700
; %bb.2685:
	v_mov_b32_e32 v3, 2
	v_cmp_lt_i16_sdwa s[2:3], v4, v3 src0_sel:BYTE_0 src1_sel:DWORD
	s_mov_b64 s[0:1], -1
	s_and_b64 vcc, exec, s[2:3]
	s_cbranch_vccnz .LBB33_2695
; %bb.2686:
	v_mov_b32_e32 v3, 3
	v_cmp_lt_i16_sdwa s[2:3], v4, v3 src0_sel:BYTE_0 src1_sel:DWORD
	s_and_b64 vcc, exec, s[2:3]
	s_cbranch_vccnz .LBB33_2692
; %bb.2687:
	v_cmp_gt_i16_sdwa s[2:3], v4, v3 src0_sel:BYTE_0 src1_sel:DWORD
	s_and_b64 vcc, exec, s[2:3]
	s_cbranch_vccz .LBB33_2689
; %bb.2688:
	v_trunc_f32_e32 v3, v2
	s_mov_b32 s0, 0x2f800000
	v_mul_f32_e64 v6, |v3|, s0
	v_floor_f32_e32 v6, v6
	s_mov_b32 s0, 0xcf800000
	v_cvt_u32_f32_e32 v13, v6
	v_fma_f32 v6, v6, s0, |v3|
	v_cvt_u32_f32_e32 v6, v6
	v_ashrrev_i32_e32 v3, 31, v3
	v_xor_b32_e32 v13, v13, v3
	s_mov_b64 s[0:1], 0
	v_xor_b32_e32 v6, v6, v3
	v_sub_co_u32_e32 v14, vcc, v6, v3
	v_subb_co_u32_e32 v15, vcc, v13, v3, vcc
	global_store_dwordx2 v[0:1], v[14:15], off
.LBB33_2689:
	s_andn2_b64 vcc, exec, s[0:1]
	s_cbranch_vccnz .LBB33_2691
; %bb.2690:
	v_cvt_i32_f32_e32 v3, v2
	global_store_dword v[0:1], v3, off
.LBB33_2691:
	s_mov_b64 s[0:1], 0
.LBB33_2692:
	s_andn2_b64 vcc, exec, s[0:1]
	s_cbranch_vccnz .LBB33_2694
; %bb.2693:
	v_cvt_i32_f32_e32 v3, v2
	global_store_short v[0:1], v3, off
.LBB33_2694:
	s_mov_b64 s[0:1], 0
.LBB33_2695:
	s_andn2_b64 vcc, exec, s[0:1]
	s_cbranch_vccnz .LBB33_2700
; %bb.2696:
	v_mov_b32_e32 v3, 0
	v_cmp_gt_i16_sdwa s[2:3], v4, v3 src0_sel:BYTE_0 src1_sel:DWORD
	s_mov_b64 s[0:1], -1
	s_and_b64 vcc, exec, s[2:3]
	s_cbranch_vccz .LBB33_2698
; %bb.2697:
	v_cvt_i32_f32_e32 v3, v2
	s_mov_b64 s[0:1], 0
	global_store_byte v[0:1], v3, off
.LBB33_2698:
	s_andn2_b64 vcc, exec, s[0:1]
	s_cbranch_vccnz .LBB33_2700
; %bb.2699:
	v_trunc_f32_e32 v2, v2
	s_mov_b32 s0, 0x2f800000
	v_mul_f32_e64 v3, |v2|, s0
	v_floor_f32_e32 v3, v3
	s_mov_b32 s0, 0xcf800000
	v_fma_f32 v3, v3, s0, |v2|
	v_cvt_u32_f32_e32 v3, v3
	v_ashrrev_i32_e32 v2, 31, v2
	v_xor_b32_e32 v3, v3, v2
	v_sub_u32_e32 v2, v3, v2
	global_store_byte v[0:1], v2, off
.LBB33_2700:
	s_mov_b64 s[10:11], -1
.LBB33_2701:
	s_andn2_b64 vcc, exec, s[10:11]
	s_cbranch_vccnz .LBB33_3032
; %bb.2702:
	s_lshl_b32 s16, s12, 7
	v_mul_f32_e32 v0, v8, v9
	v_cmp_lt_f32_e32 vcc, 0, v8
	v_add_u32_e32 v5, s16, v5
	v_cndmask_b32_e32 v2, v0, v8, vcc
	v_ashrrev_i32_e32 v1, 31, v5
	v_mov_b32_e32 v3, s9
	v_add_co_u32_e32 v0, vcc, s8, v5
	v_addc_co_u32_e32 v1, vcc, v3, v1, vcc
	v_mov_b32_e32 v3, 11
	v_cmp_lt_i16_sdwa s[0:1], v4, v3 src0_sel:BYTE_0 src1_sel:DWORD
	s_and_b64 vcc, exec, s[0:1]
	s_cbranch_vccnz .LBB33_2709
; %bb.2703:
	v_mov_b32_e32 v3, 25
	v_cmp_gt_i16_sdwa s[0:1], v4, v3 src0_sel:BYTE_0 src1_sel:DWORD
	s_mov_b64 s[12:13], -1
	s_mov_b64 s[2:3], 0
	s_and_b64 vcc, exec, s[0:1]
	s_mov_b64 s[10:11], 0
	s_mov_b64 s[0:1], 0
	s_cbranch_vccz .LBB33_2745
; %bb.2704:
	v_mov_b32_e32 v3, 28
	v_cmp_gt_i16_sdwa s[0:1], v4, v3 src0_sel:BYTE_0 src1_sel:DWORD
	s_and_b64 vcc, exec, s[0:1]
	s_cbranch_vccz .LBB33_2710
; %bb.2705:
	v_mov_b32_e32 v3, 43
	v_cmp_gt_i16_sdwa s[0:1], v4, v3 src0_sel:BYTE_0 src1_sel:DWORD
	s_and_b64 vcc, exec, s[0:1]
	;; [unrolled: 5-line block ×3, first 2 shown]
	s_cbranch_vccz .LBB33_2717
; %bb.2707:
	v_mov_b32_e32 v3, 46
	v_cmp_eq_u16_sdwa s[10:11], v4, v3 src0_sel:BYTE_0 src1_sel:DWORD
	s_mov_b64 s[0:1], -1
	s_mov_b64 s[12:13], 0
	s_and_b64 vcc, exec, s[10:11]
	s_mov_b64 s[10:11], 0
	s_cbranch_vccz .LBB33_2718
; %bb.2708:
	v_bfe_u32 v3, v2, 16, 1
	s_movk_i32 s0, 0x7fff
	v_add3_u32 v3, v2, v3, s0
	v_lshrrev_b32_e32 v3, 16, v3
	v_mov_b32_e32 v6, 0x7fc0
	v_cmp_o_f32_e32 vcc, v2, v2
	v_cndmask_b32_e32 v3, v6, v3, vcc
	global_store_dword v[0:1], v3, off
	s_mov_b64 s[0:1], 0
	s_mov_b64 s[10:11], -1
	s_branch .LBB33_2718
.LBB33_2709:
	s_mov_b64 s[0:1], -1
	s_mov_b64 s[10:11], 0
	s_branch .LBB33_2789
.LBB33_2710:
	s_mov_b64 s[0:1], 0
	s_branch .LBB33_2728
.LBB33_2711:
	s_or_saveexec_b64 s[16:17], s[16:17]
                                        ; implicit-def: $sgpr13
	s_xor_b64 exec, exec, s[16:17]
	s_cbranch_execz .LBB33_2612
.LBB33_2712:
	s_mov_b32 s13, 0x46000000
	v_add_f32_e64 v3, |v2|, s13
	v_and_b32_e32 v3, 0xff, v3
	v_cmp_ne_u32_e32 vcc, 0, v3
	s_andn2_b64 s[14:15], s[14:15], exec
	s_and_b64 s[20:21], vcc, exec
	s_mov_b32 s13, 0
	s_or_b64 s[14:15], s[14:15], s[20:21]
	s_or_b64 exec, exec, s[16:17]
	v_mov_b32_e32 v6, s13
	s_and_saveexec_b64 s[16:17], s[14:15]
	s_cbranch_execnz .LBB33_2613
	s_branch .LBB33_2614
.LBB33_2713:
	s_mov_b64 s[0:1], 0
	s_branch .LBB33_2724
.LBB33_2714:
	s_trap 2
	s_or_b64 s[18:19], s[18:19], exec
	s_cbranch_execz .LBB33_2660
	s_branch .LBB33_2661
.LBB33_2715:
	s_or_saveexec_b64 s[14:15], s[14:15]
                                        ; implicit-def: $sgpr13
	s_xor_b64 exec, exec, s[14:15]
	s_cbranch_execz .LBB33_2625
.LBB33_2716:
	s_mov_b32 s13, 0x42800000
	v_add_f32_e64 v3, |v2|, s13
	v_and_b32_e32 v3, 0xff, v3
	v_cmp_ne_u32_e32 vcc, 0, v3
	s_andn2_b64 s[10:11], s[10:11], exec
	s_and_b64 s[16:17], vcc, exec
	s_mov_b32 s13, 0
	s_or_b64 s[10:11], s[10:11], s[16:17]
	s_or_b64 exec, exec, s[14:15]
	v_mov_b32_e32 v6, s13
	s_and_saveexec_b64 s[14:15], s[10:11]
	s_cbranch_execnz .LBB33_2626
	s_branch .LBB33_2627
.LBB33_2717:
	s_mov_b64 s[0:1], 0
.LBB33_2718:
	s_and_b64 vcc, exec, s[12:13]
	s_cbranch_vccz .LBB33_2723
; %bb.2719:
	v_mov_b32_e32 v3, 44
	v_cmp_eq_u16_sdwa s[12:13], v4, v3 src0_sel:BYTE_0 src1_sel:DWORD
	s_mov_b64 s[0:1], -1
	s_and_b64 vcc, exec, s[12:13]
	s_cbranch_vccz .LBB33_2723
; %bb.2720:
	v_bfe_u32 v3, v2, 23, 8
	s_movk_i32 s0, 0xff
	v_cmp_ne_u32_e32 vcc, s0, v3
	v_mov_b32_e32 v6, 0xff
	s_and_saveexec_b64 s[10:11], vcc
; %bb.2721:
	s_mov_b32 s0, 0x3fffff
	v_and_b32_e32 v8, 0x400000, v2
	v_and_or_b32 v3, v2, s0, v3
	v_cmp_ne_u32_e32 vcc, 0, v8
	v_cmp_ne_u32_e64 s[0:1], 0, v3
	s_and_b64 s[0:1], vcc, s[0:1]
	v_lshrrev_b32_e32 v6, 23, v2
	v_cndmask_b32_e64 v3, 0, 1, s[0:1]
	v_add_u32_e32 v6, v6, v3
; %bb.2722:
	s_or_b64 exec, exec, s[10:11]
	s_mov_b64 s[0:1], 0
	s_mov_b64 s[10:11], -1
	global_store_byte v[0:1], v6, off
.LBB33_2723:
	s_mov_b64 s[12:13], 0
.LBB33_2724:
	s_and_b64 vcc, exec, s[12:13]
	s_cbranch_vccz .LBB33_2727
; %bb.2725:
	v_mov_b32_e32 v3, 29
	v_cmp_eq_u16_sdwa s[12:13], v4, v3 src0_sel:BYTE_0 src1_sel:DWORD
	s_mov_b64 s[0:1], -1
	s_and_b64 vcc, exec, s[12:13]
	s_cbranch_vccz .LBB33_2727
; %bb.2726:
	v_trunc_f32_e32 v3, v2
	v_mul_f32_e32 v6, 0x2f800000, v3
	v_floor_f32_e32 v6, v6
	v_fmac_f32_e32 v3, 0xcf800000, v6
	v_cvt_u32_f32_e32 v9, v6
	v_cvt_u32_f32_e32 v8, v3
	s_mov_b64 s[0:1], 0
	s_mov_b64 s[10:11], -1
	s_mov_b64 s[12:13], 0
	global_store_dwordx2 v[0:1], v[8:9], off
	s_branch .LBB33_2728
.LBB33_2727:
	s_mov_b64 s[12:13], 0
.LBB33_2728:
	s_and_b64 vcc, exec, s[12:13]
	s_cbranch_vccz .LBB33_2744
; %bb.2729:
	v_mov_b32_e32 v3, 27
	v_cmp_lt_i16_sdwa s[12:13], v4, v3 src0_sel:BYTE_0 src1_sel:DWORD
	s_mov_b64 s[10:11], -1
	s_and_b64 vcc, exec, s[12:13]
	s_cbranch_vccnz .LBB33_2735
; %bb.2730:
	v_cmp_gt_i16_sdwa s[12:13], v4, v3 src0_sel:BYTE_0 src1_sel:DWORD
	v_cvt_u32_f32_e32 v3, v2
	s_and_b64 vcc, exec, s[12:13]
	s_cbranch_vccz .LBB33_2732
; %bb.2731:
	s_mov_b64 s[10:11], 0
	global_store_dword v[0:1], v3, off
.LBB33_2732:
	s_andn2_b64 vcc, exec, s[10:11]
	s_cbranch_vccnz .LBB33_2734
; %bb.2733:
	global_store_short v[0:1], v3, off
.LBB33_2734:
	s_mov_b64 s[10:11], 0
.LBB33_2735:
	s_andn2_b64 vcc, exec, s[10:11]
	s_cbranch_vccnz .LBB33_2743
; %bb.2736:
	v_and_b32_e32 v3, 0x7fffffff, v2
	s_mov_b32 s10, 0x43800000
	v_cmp_gt_u32_e32 vcc, s10, v3
	v_mov_b32_e32 v6, 0x80
	s_and_saveexec_b64 s[10:11], vcc
	s_cbranch_execz .LBB33_2742
; %bb.2737:
	s_mov_b32 s12, 0x3bffffff
	v_cmp_lt_u32_e32 vcc, s12, v3
	s_mov_b64 s[12:13], 0
                                        ; implicit-def: $vgpr3
	s_and_saveexec_b64 s[14:15], vcc
	s_xor_b64 s[14:15], exec, s[14:15]
	s_cbranch_execz .LBB33_2838
; %bb.2738:
	v_bfe_u32 v3, v2, 20, 1
	s_mov_b32 s17, 0x487ffff
	v_add3_u32 v3, v2, v3, s17
	s_mov_b64 s[12:13], exec
	v_lshrrev_b32_e32 v3, 20, v3
	s_or_saveexec_b64 s[14:15], s[14:15]
                                        ; implicit-def: $sgpr17
	s_xor_b64 exec, exec, s[14:15]
	s_cbranch_execnz .LBB33_2839
.LBB33_2739:
	s_or_b64 exec, exec, s[14:15]
	v_mov_b32_e32 v6, s17
	s_and_saveexec_b64 s[14:15], s[12:13]
.LBB33_2740:
	v_lshrrev_b32_e32 v6, 24, v2
	s_movk_i32 s12, 0x80
	v_and_or_b32 v6, v6, s12, v3
.LBB33_2741:
	s_or_b64 exec, exec, s[14:15]
.LBB33_2742:
	s_or_b64 exec, exec, s[10:11]
	global_store_byte v[0:1], v6, off
.LBB33_2743:
	s_mov_b64 s[10:11], -1
.LBB33_2744:
	s_mov_b64 s[12:13], 0
.LBB33_2745:
	s_and_b64 vcc, exec, s[12:13]
	s_cbranch_vccz .LBB33_2785
; %bb.2746:
	v_mov_b32_e32 v3, 22
	v_cmp_gt_i16_sdwa s[12:13], v4, v3 src0_sel:BYTE_0 src1_sel:DWORD
	s_mov_b64 s[2:3], -1
	s_and_b64 vcc, exec, s[12:13]
	s_cbranch_vccz .LBB33_2778
; %bb.2747:
	v_mov_b32_e32 v3, 24
	v_cmp_lt_i16_sdwa s[10:11], v4, v3 src0_sel:BYTE_0 src1_sel:DWORD
	s_and_b64 vcc, exec, s[10:11]
	s_cbranch_vccnz .LBB33_2767
; %bb.2748:
	v_cmp_gt_i16_sdwa s[10:11], v4, v3 src0_sel:BYTE_0 src1_sel:DWORD
	s_and_b64 vcc, exec, s[10:11]
	s_cbranch_vccz .LBB33_2756
; %bb.2749:
	v_and_b32_e32 v3, 0x7fffffff, v2
	s_mov_b32 s2, 0x47800000
	v_cmp_gt_u32_e32 vcc, s2, v3
	v_mov_b32_e32 v6, 0x80
	s_and_saveexec_b64 s[2:3], vcc
	s_cbranch_execz .LBB33_2755
; %bb.2750:
	s_mov_b32 s10, 0x37ffffff
	v_cmp_lt_u32_e32 vcc, s10, v3
	s_mov_b64 s[10:11], 0
                                        ; implicit-def: $vgpr3
	s_and_saveexec_b64 s[12:13], vcc
	s_xor_b64 s[12:13], exec, s[12:13]
	s_cbranch_execz .LBB33_2842
; %bb.2751:
	v_bfe_u32 v3, v2, 21, 1
	s_mov_b32 s14, 0x88fffff
	v_add3_u32 v3, v2, v3, s14
	s_mov_b64 s[10:11], exec
	v_lshrrev_b32_e32 v3, 21, v3
	s_or_saveexec_b64 s[12:13], s[12:13]
                                        ; implicit-def: $sgpr14
	s_xor_b64 exec, exec, s[12:13]
	s_cbranch_execnz .LBB33_2843
.LBB33_2752:
	s_or_b64 exec, exec, s[12:13]
	v_mov_b32_e32 v6, s14
	s_and_saveexec_b64 s[12:13], s[10:11]
.LBB33_2753:
	v_lshrrev_b32_e32 v6, 24, v2
	s_movk_i32 s10, 0x80
	v_and_or_b32 v6, v6, s10, v3
.LBB33_2754:
	s_or_b64 exec, exec, s[12:13]
.LBB33_2755:
	s_or_b64 exec, exec, s[2:3]
	s_mov_b64 s[2:3], 0
	global_store_byte v[0:1], v6, off
.LBB33_2756:
	s_and_b64 vcc, exec, s[2:3]
	s_cbranch_vccz .LBB33_2766
; %bb.2757:
	v_and_b32_e32 v6, 0x7fffffff, v2
	s_mov_b32 s2, 0x43f00000
	v_cmp_gt_u32_e32 vcc, s2, v6
                                        ; implicit-def: $vgpr3
	s_and_saveexec_b64 s[2:3], vcc
	s_xor_b64 s[2:3], exec, s[2:3]
	s_cbranch_execz .LBB33_2763
; %bb.2758:
	s_mov_b32 s10, 0x3c7fffff
	v_cmp_lt_u32_e32 vcc, s10, v6
                                        ; implicit-def: $vgpr3
	s_and_saveexec_b64 s[10:11], vcc
	s_xor_b64 s[10:11], exec, s[10:11]
; %bb.2759:
	v_bfe_u32 v3, v2, 20, 1
	s_mov_b32 s12, 0x407ffff
	v_add3_u32 v3, v2, v3, s12
	v_lshrrev_b32_e32 v6, 20, v3
	v_and_b32_e32 v3, 0xff00000, v3
	s_mov_b32 s12, 0x7f00000
	v_mov_b32_e32 v8, 0x7e
	v_cmp_ne_u32_e32 vcc, s12, v3
	v_cndmask_b32_e32 v3, v8, v6, vcc
; %bb.2760:
	s_andn2_saveexec_b64 s[10:11], s[10:11]
; %bb.2761:
	s_mov_b32 s12, 0x46800000
	v_add_f32_e64 v3, |v2|, s12
; %bb.2762:
	s_or_b64 exec, exec, s[10:11]
                                        ; implicit-def: $vgpr6
.LBB33_2763:
	s_andn2_saveexec_b64 s[2:3], s[2:3]
; %bb.2764:
	s_mov_b32 s10, 0x7f800000
	v_mov_b32_e32 v3, 0x7e
	v_mov_b32_e32 v8, 0x7f
	v_cmp_lt_u32_e32 vcc, s10, v6
	v_cndmask_b32_e32 v3, v3, v8, vcc
; %bb.2765:
	s_or_b64 exec, exec, s[2:3]
	v_lshrrev_b32_e32 v6, 24, v2
	s_movk_i32 s2, 0x80
	v_and_or_b32 v3, v6, s2, v3
	global_store_byte v[0:1], v3, off
.LBB33_2766:
	s_mov_b64 s[2:3], 0
.LBB33_2767:
	s_andn2_b64 vcc, exec, s[2:3]
	s_cbranch_vccnz .LBB33_2777
; %bb.2768:
	v_and_b32_e32 v6, 0x7fffffff, v2
	s_mov_b32 s2, 0x47800000
	v_cmp_gt_u32_e32 vcc, s2, v6
                                        ; implicit-def: $vgpr3
	s_and_saveexec_b64 s[2:3], vcc
	s_xor_b64 s[2:3], exec, s[2:3]
	s_cbranch_execz .LBB33_2774
; %bb.2769:
	s_mov_b32 s10, 0x387fffff
	v_cmp_lt_u32_e32 vcc, s10, v6
                                        ; implicit-def: $vgpr3
	s_and_saveexec_b64 s[10:11], vcc
	s_xor_b64 s[10:11], exec, s[10:11]
; %bb.2770:
	v_bfe_u32 v3, v2, 21, 1
	s_mov_b32 s12, 0x80fffff
	v_add3_u32 v3, v2, v3, s12
	v_lshrrev_b32_e32 v3, 21, v3
; %bb.2771:
	s_andn2_saveexec_b64 s[10:11], s[10:11]
; %bb.2772:
	s_mov_b32 s12, 0x43000000
	v_add_f32_e64 v3, |v2|, s12
; %bb.2773:
	s_or_b64 exec, exec, s[10:11]
                                        ; implicit-def: $vgpr6
.LBB33_2774:
	s_andn2_saveexec_b64 s[2:3], s[2:3]
; %bb.2775:
	s_mov_b32 s10, 0x7f800000
	v_mov_b32_e32 v3, 0x7c
	v_mov_b32_e32 v8, 0x7f
	v_cmp_lt_u32_e32 vcc, s10, v6
	v_cndmask_b32_e32 v3, v3, v8, vcc
; %bb.2776:
	s_or_b64 exec, exec, s[2:3]
	v_lshrrev_b32_e32 v6, 24, v2
	s_movk_i32 s2, 0x80
	v_and_or_b32 v3, v6, s2, v3
	global_store_byte v[0:1], v3, off
.LBB33_2777:
	s_mov_b64 s[2:3], 0
	s_mov_b64 s[10:11], -1
.LBB33_2778:
	s_andn2_b64 vcc, exec, s[2:3]
	s_mov_b64 s[2:3], 0
	s_cbranch_vccnz .LBB33_2785
; %bb.2779:
	v_mov_b32_e32 v3, 14
	v_cmp_gt_i16_sdwa s[2:3], v4, v3 src0_sel:BYTE_0 src1_sel:DWORD
	s_mov_b64 s[12:13], -1
	s_and_b64 vcc, exec, s[2:3]
	s_cbranch_vccz .LBB33_2783
; %bb.2780:
	v_mov_b32_e32 v3, 15
	v_cmp_eq_u16_sdwa s[2:3], v4, v3 src0_sel:BYTE_0 src1_sel:DWORD
	s_mov_b64 s[0:1], -1
	s_and_b64 vcc, exec, s[2:3]
	s_cbranch_vccz .LBB33_2782
; %bb.2781:
	v_bfe_u32 v3, v2, 16, 1
	s_movk_i32 s0, 0x7fff
	v_add3_u32 v3, v2, v3, s0
	v_lshrrev_b32_e32 v3, 16, v3
	v_mov_b32_e32 v6, 0x7fc0
	v_cmp_o_f32_e32 vcc, v2, v2
	v_cndmask_b32_e32 v3, v6, v3, vcc
	global_store_short v[0:1], v3, off
	s_mov_b64 s[0:1], 0
	s_mov_b64 s[10:11], -1
.LBB33_2782:
	s_mov_b64 s[12:13], 0
.LBB33_2783:
	s_mov_b64 s[2:3], 0
	s_and_b64 vcc, exec, s[12:13]
	s_cbranch_vccz .LBB33_2785
; %bb.2784:
	v_mov_b32_e32 v3, 11
	v_cmp_ne_u16_sdwa s[0:1], v4, v3 src0_sel:BYTE_0 src1_sel:DWORD
	s_mov_b64 s[2:3], -1
.LBB33_2785:
	s_and_b64 vcc, exec, s[0:1]
	s_cbranch_vccnz .LBB33_2841
; %bb.2786:
	s_andn2_b64 vcc, exec, s[2:3]
	s_cbranch_vccnz .LBB33_2788
.LBB33_2787:
	v_cmp_neq_f32_e32 vcc, 0, v2
	v_cndmask_b32_e64 v3, 0, 1, vcc
	s_mov_b64 s[10:11], -1
	global_store_byte v[0:1], v3, off
.LBB33_2788:
	s_mov_b64 s[0:1], 0
.LBB33_2789:
	s_and_b64 vcc, exec, s[0:1]
	s_cbranch_vccz .LBB33_2828
; %bb.2790:
	v_mov_b32_e32 v3, 5
	v_cmp_lt_i16_sdwa s[2:3], v4, v3 src0_sel:BYTE_0 src1_sel:DWORD
	s_mov_b64 s[0:1], -1
	s_and_b64 vcc, exec, s[2:3]
	s_cbranch_vccnz .LBB33_2811
; %bb.2791:
	v_mov_b32_e32 v3, 8
	v_cmp_lt_i16_sdwa s[2:3], v4, v3 src0_sel:BYTE_0 src1_sel:DWORD
	s_and_b64 vcc, exec, s[2:3]
	s_cbranch_vccnz .LBB33_2801
; %bb.2792:
	v_mov_b32_e32 v3, 9
	v_cmp_lt_i16_sdwa s[2:3], v4, v3 src0_sel:BYTE_0 src1_sel:DWORD
	s_and_b64 vcc, exec, s[2:3]
	s_cbranch_vccnz .LBB33_2798
; %bb.2793:
	v_cmp_gt_i16_sdwa s[2:3], v4, v3 src0_sel:BYTE_0 src1_sel:DWORD
	s_and_b64 vcc, exec, s[2:3]
	s_cbranch_vccz .LBB33_2795
; %bb.2794:
	v_mov_b32_e32 v16, 0
	v_cvt_f64_f32_e32 v[14:15], v2
	v_mov_b32_e32 v17, v16
	global_store_dwordx4 v[0:1], v[14:17], off
	s_mov_b64 s[0:1], 0
.LBB33_2795:
	s_andn2_b64 vcc, exec, s[0:1]
	s_cbranch_vccnz .LBB33_2797
; %bb.2796:
	v_mov_b32_e32 v3, 0
	global_store_dwordx2 v[0:1], v[2:3], off
.LBB33_2797:
	s_mov_b64 s[0:1], 0
.LBB33_2798:
	s_andn2_b64 vcc, exec, s[0:1]
	s_cbranch_vccnz .LBB33_2800
; %bb.2799:
	v_cvt_f16_f32_e32 v3, v2
	global_store_dword v[0:1], v3, off
.LBB33_2800:
	s_mov_b64 s[0:1], 0
.LBB33_2801:
	s_andn2_b64 vcc, exec, s[0:1]
	s_cbranch_vccnz .LBB33_2810
; %bb.2802:
	v_mov_b32_e32 v3, 6
	v_cmp_lt_i16_sdwa s[2:3], v4, v3 src0_sel:BYTE_0 src1_sel:DWORD
	s_mov_b64 s[0:1], -1
	s_and_b64 vcc, exec, s[2:3]
	s_cbranch_vccnz .LBB33_2808
; %bb.2803:
	v_cmp_gt_i16_sdwa s[2:3], v4, v3 src0_sel:BYTE_0 src1_sel:DWORD
	s_and_b64 vcc, exec, s[2:3]
	s_cbranch_vccz .LBB33_2805
; %bb.2804:
	v_cvt_f64_f32_e32 v[8:9], v2
	global_store_dwordx2 v[0:1], v[8:9], off
	s_mov_b64 s[0:1], 0
.LBB33_2805:
	s_andn2_b64 vcc, exec, s[0:1]
	s_cbranch_vccnz .LBB33_2807
; %bb.2806:
	global_store_dword v[0:1], v2, off
.LBB33_2807:
	s_mov_b64 s[0:1], 0
.LBB33_2808:
	s_andn2_b64 vcc, exec, s[0:1]
	s_cbranch_vccnz .LBB33_2810
; %bb.2809:
	v_cvt_f16_f32_e32 v3, v2
	global_store_short v[0:1], v3, off
.LBB33_2810:
	s_mov_b64 s[0:1], 0
.LBB33_2811:
	s_andn2_b64 vcc, exec, s[0:1]
	s_cbranch_vccnz .LBB33_2827
; %bb.2812:
	v_mov_b32_e32 v3, 2
	v_cmp_lt_i16_sdwa s[2:3], v4, v3 src0_sel:BYTE_0 src1_sel:DWORD
	s_mov_b64 s[0:1], -1
	s_and_b64 vcc, exec, s[2:3]
	s_cbranch_vccnz .LBB33_2822
; %bb.2813:
	v_mov_b32_e32 v3, 3
	v_cmp_lt_i16_sdwa s[2:3], v4, v3 src0_sel:BYTE_0 src1_sel:DWORD
	s_and_b64 vcc, exec, s[2:3]
	s_cbranch_vccnz .LBB33_2819
; %bb.2814:
	v_cmp_gt_i16_sdwa s[2:3], v4, v3 src0_sel:BYTE_0 src1_sel:DWORD
	s_and_b64 vcc, exec, s[2:3]
	s_cbranch_vccz .LBB33_2816
; %bb.2815:
	v_trunc_f32_e32 v3, v2
	s_mov_b32 s0, 0x2f800000
	v_mul_f32_e64 v6, |v3|, s0
	v_floor_f32_e32 v6, v6
	s_mov_b32 s0, 0xcf800000
	v_cvt_u32_f32_e32 v8, v6
	v_fma_f32 v6, v6, s0, |v3|
	v_cvt_u32_f32_e32 v6, v6
	v_ashrrev_i32_e32 v3, 31, v3
	v_xor_b32_e32 v9, v8, v3
	s_mov_b64 s[0:1], 0
	v_xor_b32_e32 v6, v6, v3
	v_sub_co_u32_e32 v8, vcc, v6, v3
	v_subb_co_u32_e32 v9, vcc, v9, v3, vcc
	global_store_dwordx2 v[0:1], v[8:9], off
.LBB33_2816:
	s_andn2_b64 vcc, exec, s[0:1]
	s_cbranch_vccnz .LBB33_2818
; %bb.2817:
	v_cvt_i32_f32_e32 v3, v2
	global_store_dword v[0:1], v3, off
.LBB33_2818:
	s_mov_b64 s[0:1], 0
.LBB33_2819:
	s_andn2_b64 vcc, exec, s[0:1]
	s_cbranch_vccnz .LBB33_2821
; %bb.2820:
	v_cvt_i32_f32_e32 v3, v2
	global_store_short v[0:1], v3, off
.LBB33_2821:
	s_mov_b64 s[0:1], 0
.LBB33_2822:
	s_andn2_b64 vcc, exec, s[0:1]
	s_cbranch_vccnz .LBB33_2827
; %bb.2823:
	v_mov_b32_e32 v3, 0
	v_cmp_gt_i16_sdwa s[2:3], v4, v3 src0_sel:BYTE_0 src1_sel:DWORD
	s_mov_b64 s[0:1], -1
	s_and_b64 vcc, exec, s[2:3]
	s_cbranch_vccz .LBB33_2825
; %bb.2824:
	v_cvt_i32_f32_e32 v3, v2
	s_mov_b64 s[0:1], 0
	global_store_byte v[0:1], v3, off
.LBB33_2825:
	s_andn2_b64 vcc, exec, s[0:1]
	s_cbranch_vccnz .LBB33_2827
; %bb.2826:
	v_trunc_f32_e32 v2, v2
	s_mov_b32 s0, 0x2f800000
	v_mul_f32_e64 v3, |v2|, s0
	v_floor_f32_e32 v3, v3
	s_mov_b32 s0, 0xcf800000
	v_fma_f32 v3, v3, s0, |v2|
	v_cvt_u32_f32_e32 v3, v3
	v_ashrrev_i32_e32 v2, 31, v2
	v_xor_b32_e32 v3, v3, v2
	v_sub_u32_e32 v2, v3, v2
	global_store_byte v[0:1], v2, off
.LBB33_2827:
	s_mov_b64 s[10:11], -1
.LBB33_2828:
	s_andn2_b64 vcc, exec, s[10:11]
	s_cbranch_vccnz .LBB33_3032
; %bb.2829:
	v_mul_f32_e32 v0, v10, v11
	v_cmp_lt_f32_e32 vcc, 0, v10
	v_add_u32_e32 v5, s16, v5
	v_cndmask_b32_e32 v2, v0, v10, vcc
	v_ashrrev_i32_e32 v1, 31, v5
	v_mov_b32_e32 v3, s9
	v_add_co_u32_e32 v0, vcc, s8, v5
	v_addc_co_u32_e32 v1, vcc, v3, v1, vcc
	v_mov_b32_e32 v3, 11
	v_cmp_lt_i16_sdwa s[0:1], v4, v3 src0_sel:BYTE_0 src1_sel:DWORD
	s_and_b64 vcc, exec, s[0:1]
	s_cbranch_vccnz .LBB33_2836
; %bb.2830:
	v_mov_b32_e32 v3, 25
	v_cmp_gt_i16_sdwa s[0:1], v4, v3 src0_sel:BYTE_0 src1_sel:DWORD
	s_mov_b64 s[12:13], -1
	s_mov_b64 s[2:3], 0
	s_and_b64 vcc, exec, s[0:1]
	s_mov_b64 s[10:11], 0
	s_mov_b64 s[0:1], 0
	s_cbranch_vccz .LBB33_2872
; %bb.2831:
	v_mov_b32_e32 v3, 28
	v_cmp_gt_i16_sdwa s[0:1], v4, v3 src0_sel:BYTE_0 src1_sel:DWORD
	s_and_b64 vcc, exec, s[0:1]
	s_cbranch_vccz .LBB33_2837
; %bb.2832:
	v_mov_b32_e32 v3, 43
	v_cmp_gt_i16_sdwa s[0:1], v4, v3 src0_sel:BYTE_0 src1_sel:DWORD
	s_and_b64 vcc, exec, s[0:1]
	s_cbranch_vccz .LBB33_2840
; %bb.2833:
	v_mov_b32_e32 v3, 45
	v_cmp_gt_i16_sdwa s[0:1], v4, v3 src0_sel:BYTE_0 src1_sel:DWORD
	s_and_b64 vcc, exec, s[0:1]
	s_cbranch_vccz .LBB33_2844
; %bb.2834:
	v_mov_b32_e32 v3, 46
	v_cmp_eq_u16_sdwa s[10:11], v4, v3 src0_sel:BYTE_0 src1_sel:DWORD
	s_mov_b64 s[0:1], -1
	s_mov_b64 s[12:13], 0
	s_and_b64 vcc, exec, s[10:11]
	s_mov_b64 s[10:11], 0
	s_cbranch_vccz .LBB33_2845
; %bb.2835:
	v_bfe_u32 v3, v2, 16, 1
	s_movk_i32 s0, 0x7fff
	v_add3_u32 v3, v2, v3, s0
	v_lshrrev_b32_e32 v3, 16, v3
	v_mov_b32_e32 v6, 0x7fc0
	v_cmp_o_f32_e32 vcc, v2, v2
	v_cndmask_b32_e32 v3, v6, v3, vcc
	global_store_dword v[0:1], v3, off
	s_mov_b64 s[0:1], 0
	s_mov_b64 s[10:11], -1
	s_branch .LBB33_2845
.LBB33_2836:
	s_mov_b64 s[0:1], -1
	s_mov_b64 s[10:11], 0
	s_branch .LBB33_2916
.LBB33_2837:
	s_mov_b64 s[0:1], 0
	s_branch .LBB33_2855
.LBB33_2838:
	s_or_saveexec_b64 s[14:15], s[14:15]
                                        ; implicit-def: $sgpr17
	s_xor_b64 exec, exec, s[14:15]
	s_cbranch_execz .LBB33_2739
.LBB33_2839:
	s_mov_b32 s17, 0x46000000
	v_add_f32_e64 v3, |v2|, s17
	v_and_b32_e32 v3, 0xff, v3
	v_cmp_ne_u32_e32 vcc, 0, v3
	s_andn2_b64 s[12:13], s[12:13], exec
	s_and_b64 s[20:21], vcc, exec
	s_mov_b32 s17, 0
	s_or_b64 s[12:13], s[12:13], s[20:21]
	s_or_b64 exec, exec, s[14:15]
	v_mov_b32_e32 v6, s17
	s_and_saveexec_b64 s[14:15], s[12:13]
	s_cbranch_execnz .LBB33_2740
	s_branch .LBB33_2741
.LBB33_2840:
	s_mov_b64 s[0:1], 0
	s_branch .LBB33_2851
.LBB33_2841:
	s_trap 2
	s_or_b64 s[18:19], s[18:19], exec
	s_cbranch_execz .LBB33_2787
	s_branch .LBB33_2788
.LBB33_2842:
	s_or_saveexec_b64 s[12:13], s[12:13]
                                        ; implicit-def: $sgpr14
	s_xor_b64 exec, exec, s[12:13]
	s_cbranch_execz .LBB33_2752
.LBB33_2843:
	s_mov_b32 s14, 0x42800000
	v_add_f32_e64 v3, |v2|, s14
	v_and_b32_e32 v3, 0xff, v3
	v_cmp_ne_u32_e32 vcc, 0, v3
	s_andn2_b64 s[10:11], s[10:11], exec
	s_and_b64 s[20:21], vcc, exec
	s_mov_b32 s14, 0
	s_or_b64 s[10:11], s[10:11], s[20:21]
	s_or_b64 exec, exec, s[12:13]
	v_mov_b32_e32 v6, s14
	s_and_saveexec_b64 s[12:13], s[10:11]
	s_cbranch_execnz .LBB33_2753
	s_branch .LBB33_2754
.LBB33_2844:
	s_mov_b64 s[0:1], 0
.LBB33_2845:
	s_and_b64 vcc, exec, s[12:13]
	s_cbranch_vccz .LBB33_2850
; %bb.2846:
	v_mov_b32_e32 v3, 44
	v_cmp_eq_u16_sdwa s[12:13], v4, v3 src0_sel:BYTE_0 src1_sel:DWORD
	s_mov_b64 s[0:1], -1
	s_and_b64 vcc, exec, s[12:13]
	s_cbranch_vccz .LBB33_2850
; %bb.2847:
	v_bfe_u32 v3, v2, 23, 8
	s_movk_i32 s0, 0xff
	v_cmp_ne_u32_e32 vcc, s0, v3
	v_mov_b32_e32 v6, 0xff
	s_and_saveexec_b64 s[10:11], vcc
; %bb.2848:
	s_mov_b32 s0, 0x3fffff
	v_and_b32_e32 v8, 0x400000, v2
	v_and_or_b32 v3, v2, s0, v3
	v_cmp_ne_u32_e32 vcc, 0, v8
	v_cmp_ne_u32_e64 s[0:1], 0, v3
	s_and_b64 s[0:1], vcc, s[0:1]
	v_lshrrev_b32_e32 v6, 23, v2
	v_cndmask_b32_e64 v3, 0, 1, s[0:1]
	v_add_u32_e32 v6, v6, v3
; %bb.2849:
	s_or_b64 exec, exec, s[10:11]
	s_mov_b64 s[0:1], 0
	s_mov_b64 s[10:11], -1
	global_store_byte v[0:1], v6, off
.LBB33_2850:
	s_mov_b64 s[12:13], 0
.LBB33_2851:
	s_and_b64 vcc, exec, s[12:13]
	s_cbranch_vccz .LBB33_2854
; %bb.2852:
	v_mov_b32_e32 v3, 29
	v_cmp_eq_u16_sdwa s[12:13], v4, v3 src0_sel:BYTE_0 src1_sel:DWORD
	s_mov_b64 s[0:1], -1
	s_and_b64 vcc, exec, s[12:13]
	s_cbranch_vccz .LBB33_2854
; %bb.2853:
	v_trunc_f32_e32 v3, v2
	v_mul_f32_e32 v6, 0x2f800000, v3
	v_floor_f32_e32 v6, v6
	v_fmac_f32_e32 v3, 0xcf800000, v6
	v_cvt_u32_f32_e32 v9, v6
	v_cvt_u32_f32_e32 v8, v3
	s_mov_b64 s[0:1], 0
	s_mov_b64 s[10:11], -1
	s_mov_b64 s[12:13], 0
	global_store_dwordx2 v[0:1], v[8:9], off
	s_branch .LBB33_2855
.LBB33_2854:
	s_mov_b64 s[12:13], 0
.LBB33_2855:
	s_and_b64 vcc, exec, s[12:13]
	s_cbranch_vccz .LBB33_2871
; %bb.2856:
	v_mov_b32_e32 v3, 27
	v_cmp_lt_i16_sdwa s[12:13], v4, v3 src0_sel:BYTE_0 src1_sel:DWORD
	s_mov_b64 s[10:11], -1
	s_and_b64 vcc, exec, s[12:13]
	s_cbranch_vccnz .LBB33_2862
; %bb.2857:
	v_cmp_gt_i16_sdwa s[12:13], v4, v3 src0_sel:BYTE_0 src1_sel:DWORD
	v_cvt_u32_f32_e32 v3, v2
	s_and_b64 vcc, exec, s[12:13]
	s_cbranch_vccz .LBB33_2859
; %bb.2858:
	s_mov_b64 s[10:11], 0
	global_store_dword v[0:1], v3, off
.LBB33_2859:
	s_andn2_b64 vcc, exec, s[10:11]
	s_cbranch_vccnz .LBB33_2861
; %bb.2860:
	global_store_short v[0:1], v3, off
.LBB33_2861:
	s_mov_b64 s[10:11], 0
.LBB33_2862:
	s_andn2_b64 vcc, exec, s[10:11]
	s_cbranch_vccnz .LBB33_2870
; %bb.2863:
	v_and_b32_e32 v3, 0x7fffffff, v2
	s_mov_b32 s10, 0x43800000
	v_cmp_gt_u32_e32 vcc, s10, v3
	v_mov_b32_e32 v6, 0x80
	s_and_saveexec_b64 s[10:11], vcc
	s_cbranch_execz .LBB33_2869
; %bb.2864:
	s_mov_b32 s12, 0x3bffffff
	v_cmp_lt_u32_e32 vcc, s12, v3
	s_mov_b64 s[12:13], 0
                                        ; implicit-def: $vgpr3
	s_and_saveexec_b64 s[14:15], vcc
	s_xor_b64 s[14:15], exec, s[14:15]
	s_cbranch_execz .LBB33_3078
; %bb.2865:
	v_bfe_u32 v3, v2, 20, 1
	s_mov_b32 s17, 0x487ffff
	v_add3_u32 v3, v2, v3, s17
	s_mov_b64 s[12:13], exec
	v_lshrrev_b32_e32 v3, 20, v3
	s_or_saveexec_b64 s[14:15], s[14:15]
                                        ; implicit-def: $sgpr17
	s_xor_b64 exec, exec, s[14:15]
	s_cbranch_execnz .LBB33_3079
.LBB33_2866:
	s_or_b64 exec, exec, s[14:15]
	v_mov_b32_e32 v6, s17
	s_and_saveexec_b64 s[14:15], s[12:13]
.LBB33_2867:
	v_lshrrev_b32_e32 v6, 24, v2
	s_movk_i32 s12, 0x80
	v_and_or_b32 v6, v6, s12, v3
.LBB33_2868:
	s_or_b64 exec, exec, s[14:15]
.LBB33_2869:
	s_or_b64 exec, exec, s[10:11]
	global_store_byte v[0:1], v6, off
.LBB33_2870:
	s_mov_b64 s[10:11], -1
.LBB33_2871:
	s_mov_b64 s[12:13], 0
.LBB33_2872:
	s_and_b64 vcc, exec, s[12:13]
	s_cbranch_vccz .LBB33_2912
; %bb.2873:
	v_mov_b32_e32 v3, 22
	v_cmp_gt_i16_sdwa s[12:13], v4, v3 src0_sel:BYTE_0 src1_sel:DWORD
	s_mov_b64 s[2:3], -1
	s_and_b64 vcc, exec, s[12:13]
	s_cbranch_vccz .LBB33_2905
; %bb.2874:
	v_mov_b32_e32 v3, 24
	v_cmp_lt_i16_sdwa s[10:11], v4, v3 src0_sel:BYTE_0 src1_sel:DWORD
	s_and_b64 vcc, exec, s[10:11]
	s_cbranch_vccnz .LBB33_2894
; %bb.2875:
	v_cmp_gt_i16_sdwa s[10:11], v4, v3 src0_sel:BYTE_0 src1_sel:DWORD
	s_and_b64 vcc, exec, s[10:11]
	s_cbranch_vccz .LBB33_2883
; %bb.2876:
	v_and_b32_e32 v3, 0x7fffffff, v2
	s_mov_b32 s2, 0x47800000
	v_cmp_gt_u32_e32 vcc, s2, v3
	v_mov_b32_e32 v6, 0x80
	s_and_saveexec_b64 s[2:3], vcc
	s_cbranch_execz .LBB33_2882
; %bb.2877:
	s_mov_b32 s10, 0x37ffffff
	v_cmp_lt_u32_e32 vcc, s10, v3
	s_mov_b64 s[10:11], 0
                                        ; implicit-def: $vgpr3
	s_and_saveexec_b64 s[12:13], vcc
	s_xor_b64 s[12:13], exec, s[12:13]
	s_cbranch_execz .LBB33_3081
; %bb.2878:
	v_bfe_u32 v3, v2, 21, 1
	s_mov_b32 s14, 0x88fffff
	v_add3_u32 v3, v2, v3, s14
	s_mov_b64 s[10:11], exec
	v_lshrrev_b32_e32 v3, 21, v3
	s_or_saveexec_b64 s[12:13], s[12:13]
                                        ; implicit-def: $sgpr14
	s_xor_b64 exec, exec, s[12:13]
	s_cbranch_execnz .LBB33_3082
.LBB33_2879:
	s_or_b64 exec, exec, s[12:13]
	v_mov_b32_e32 v6, s14
	s_and_saveexec_b64 s[12:13], s[10:11]
.LBB33_2880:
	v_lshrrev_b32_e32 v6, 24, v2
	s_movk_i32 s10, 0x80
	v_and_or_b32 v6, v6, s10, v3
.LBB33_2881:
	s_or_b64 exec, exec, s[12:13]
.LBB33_2882:
	s_or_b64 exec, exec, s[2:3]
	s_mov_b64 s[2:3], 0
	global_store_byte v[0:1], v6, off
.LBB33_2883:
	s_and_b64 vcc, exec, s[2:3]
	s_cbranch_vccz .LBB33_2893
; %bb.2884:
	v_and_b32_e32 v6, 0x7fffffff, v2
	s_mov_b32 s2, 0x43f00000
	v_cmp_gt_u32_e32 vcc, s2, v6
                                        ; implicit-def: $vgpr3
	s_and_saveexec_b64 s[2:3], vcc
	s_xor_b64 s[2:3], exec, s[2:3]
	s_cbranch_execz .LBB33_2890
; %bb.2885:
	s_mov_b32 s10, 0x3c7fffff
	v_cmp_lt_u32_e32 vcc, s10, v6
                                        ; implicit-def: $vgpr3
	s_and_saveexec_b64 s[10:11], vcc
	s_xor_b64 s[10:11], exec, s[10:11]
; %bb.2886:
	v_bfe_u32 v3, v2, 20, 1
	s_mov_b32 s12, 0x407ffff
	v_add3_u32 v3, v2, v3, s12
	v_lshrrev_b32_e32 v6, 20, v3
	v_and_b32_e32 v3, 0xff00000, v3
	s_mov_b32 s12, 0x7f00000
	v_mov_b32_e32 v8, 0x7e
	v_cmp_ne_u32_e32 vcc, s12, v3
	v_cndmask_b32_e32 v3, v8, v6, vcc
; %bb.2887:
	s_andn2_saveexec_b64 s[10:11], s[10:11]
; %bb.2888:
	s_mov_b32 s12, 0x46800000
	v_add_f32_e64 v3, |v2|, s12
; %bb.2889:
	s_or_b64 exec, exec, s[10:11]
                                        ; implicit-def: $vgpr6
.LBB33_2890:
	s_andn2_saveexec_b64 s[2:3], s[2:3]
; %bb.2891:
	s_mov_b32 s10, 0x7f800000
	v_mov_b32_e32 v3, 0x7e
	v_mov_b32_e32 v8, 0x7f
	v_cmp_lt_u32_e32 vcc, s10, v6
	v_cndmask_b32_e32 v3, v3, v8, vcc
; %bb.2892:
	s_or_b64 exec, exec, s[2:3]
	v_lshrrev_b32_e32 v6, 24, v2
	s_movk_i32 s2, 0x80
	v_and_or_b32 v3, v6, s2, v3
	global_store_byte v[0:1], v3, off
.LBB33_2893:
	s_mov_b64 s[2:3], 0
.LBB33_2894:
	s_andn2_b64 vcc, exec, s[2:3]
	s_cbranch_vccnz .LBB33_2904
; %bb.2895:
	v_and_b32_e32 v6, 0x7fffffff, v2
	s_mov_b32 s2, 0x47800000
	v_cmp_gt_u32_e32 vcc, s2, v6
                                        ; implicit-def: $vgpr3
	s_and_saveexec_b64 s[2:3], vcc
	s_xor_b64 s[2:3], exec, s[2:3]
	s_cbranch_execz .LBB33_2901
; %bb.2896:
	s_mov_b32 s10, 0x387fffff
	v_cmp_lt_u32_e32 vcc, s10, v6
                                        ; implicit-def: $vgpr3
	s_and_saveexec_b64 s[10:11], vcc
	s_xor_b64 s[10:11], exec, s[10:11]
; %bb.2897:
	v_bfe_u32 v3, v2, 21, 1
	s_mov_b32 s12, 0x80fffff
	v_add3_u32 v3, v2, v3, s12
	v_lshrrev_b32_e32 v3, 21, v3
; %bb.2898:
	s_andn2_saveexec_b64 s[10:11], s[10:11]
; %bb.2899:
	s_mov_b32 s12, 0x43000000
	v_add_f32_e64 v3, |v2|, s12
; %bb.2900:
	s_or_b64 exec, exec, s[10:11]
                                        ; implicit-def: $vgpr6
.LBB33_2901:
	s_andn2_saveexec_b64 s[2:3], s[2:3]
; %bb.2902:
	s_mov_b32 s10, 0x7f800000
	v_mov_b32_e32 v3, 0x7c
	v_mov_b32_e32 v8, 0x7f
	v_cmp_lt_u32_e32 vcc, s10, v6
	v_cndmask_b32_e32 v3, v3, v8, vcc
; %bb.2903:
	s_or_b64 exec, exec, s[2:3]
	v_lshrrev_b32_e32 v6, 24, v2
	s_movk_i32 s2, 0x80
	v_and_or_b32 v3, v6, s2, v3
	global_store_byte v[0:1], v3, off
.LBB33_2904:
	s_mov_b64 s[2:3], 0
	s_mov_b64 s[10:11], -1
.LBB33_2905:
	s_andn2_b64 vcc, exec, s[2:3]
	s_mov_b64 s[2:3], 0
	s_cbranch_vccnz .LBB33_2912
; %bb.2906:
	v_mov_b32_e32 v3, 14
	v_cmp_gt_i16_sdwa s[2:3], v4, v3 src0_sel:BYTE_0 src1_sel:DWORD
	s_mov_b64 s[12:13], -1
	s_and_b64 vcc, exec, s[2:3]
	s_cbranch_vccz .LBB33_2910
; %bb.2907:
	v_mov_b32_e32 v3, 15
	v_cmp_eq_u16_sdwa s[2:3], v4, v3 src0_sel:BYTE_0 src1_sel:DWORD
	s_mov_b64 s[0:1], -1
	s_and_b64 vcc, exec, s[2:3]
	s_cbranch_vccz .LBB33_2909
; %bb.2908:
	v_bfe_u32 v3, v2, 16, 1
	s_movk_i32 s0, 0x7fff
	v_add3_u32 v3, v2, v3, s0
	v_lshrrev_b32_e32 v3, 16, v3
	v_mov_b32_e32 v6, 0x7fc0
	v_cmp_o_f32_e32 vcc, v2, v2
	v_cndmask_b32_e32 v3, v6, v3, vcc
	global_store_short v[0:1], v3, off
	s_mov_b64 s[0:1], 0
	s_mov_b64 s[10:11], -1
.LBB33_2909:
	s_mov_b64 s[12:13], 0
.LBB33_2910:
	s_mov_b64 s[2:3], 0
	s_and_b64 vcc, exec, s[12:13]
	s_cbranch_vccz .LBB33_2912
; %bb.2911:
	v_mov_b32_e32 v3, 11
	v_cmp_ne_u16_sdwa s[0:1], v4, v3 src0_sel:BYTE_0 src1_sel:DWORD
	s_mov_b64 s[2:3], -1
.LBB33_2912:
	s_and_b64 vcc, exec, s[0:1]
	s_cbranch_vccnz .LBB33_3080
; %bb.2913:
	s_andn2_b64 vcc, exec, s[2:3]
	s_cbranch_vccnz .LBB33_2915
.LBB33_2914:
	v_cmp_neq_f32_e32 vcc, 0, v2
	v_cndmask_b32_e64 v3, 0, 1, vcc
	s_mov_b64 s[10:11], -1
	global_store_byte v[0:1], v3, off
.LBB33_2915:
	s_mov_b64 s[0:1], 0
.LBB33_2916:
	s_and_b64 vcc, exec, s[0:1]
	s_cbranch_vccz .LBB33_2955
; %bb.2917:
	v_mov_b32_e32 v3, 5
	v_cmp_lt_i16_sdwa s[2:3], v4, v3 src0_sel:BYTE_0 src1_sel:DWORD
	s_mov_b64 s[0:1], -1
	s_and_b64 vcc, exec, s[2:3]
	s_cbranch_vccnz .LBB33_2938
; %bb.2918:
	v_mov_b32_e32 v3, 8
	v_cmp_lt_i16_sdwa s[2:3], v4, v3 src0_sel:BYTE_0 src1_sel:DWORD
	s_and_b64 vcc, exec, s[2:3]
	s_cbranch_vccnz .LBB33_2928
; %bb.2919:
	v_mov_b32_e32 v3, 9
	v_cmp_lt_i16_sdwa s[2:3], v4, v3 src0_sel:BYTE_0 src1_sel:DWORD
	s_and_b64 vcc, exec, s[2:3]
	s_cbranch_vccnz .LBB33_2925
; %bb.2920:
	v_cmp_gt_i16_sdwa s[2:3], v4, v3 src0_sel:BYTE_0 src1_sel:DWORD
	s_and_b64 vcc, exec, s[2:3]
	s_cbranch_vccz .LBB33_2922
; %bb.2921:
	v_mov_b32_e32 v10, 0
	v_cvt_f64_f32_e32 v[8:9], v2
	v_mov_b32_e32 v11, v10
	global_store_dwordx4 v[0:1], v[8:11], off
	s_mov_b64 s[0:1], 0
.LBB33_2922:
	s_andn2_b64 vcc, exec, s[0:1]
	s_cbranch_vccnz .LBB33_2924
; %bb.2923:
	v_mov_b32_e32 v3, 0
	global_store_dwordx2 v[0:1], v[2:3], off
.LBB33_2924:
	s_mov_b64 s[0:1], 0
.LBB33_2925:
	s_andn2_b64 vcc, exec, s[0:1]
	s_cbranch_vccnz .LBB33_2927
; %bb.2926:
	v_cvt_f16_f32_e32 v3, v2
	global_store_dword v[0:1], v3, off
.LBB33_2927:
	s_mov_b64 s[0:1], 0
.LBB33_2928:
	s_andn2_b64 vcc, exec, s[0:1]
	s_cbranch_vccnz .LBB33_2937
; %bb.2929:
	v_mov_b32_e32 v3, 6
	v_cmp_lt_i16_sdwa s[2:3], v4, v3 src0_sel:BYTE_0 src1_sel:DWORD
	s_mov_b64 s[0:1], -1
	s_and_b64 vcc, exec, s[2:3]
	s_cbranch_vccnz .LBB33_2935
; %bb.2930:
	v_cmp_gt_i16_sdwa s[2:3], v4, v3 src0_sel:BYTE_0 src1_sel:DWORD
	s_and_b64 vcc, exec, s[2:3]
	s_cbranch_vccz .LBB33_2932
; %bb.2931:
	v_cvt_f64_f32_e32 v[8:9], v2
	global_store_dwordx2 v[0:1], v[8:9], off
	s_mov_b64 s[0:1], 0
.LBB33_2932:
	s_andn2_b64 vcc, exec, s[0:1]
	s_cbranch_vccnz .LBB33_2934
; %bb.2933:
	global_store_dword v[0:1], v2, off
.LBB33_2934:
	s_mov_b64 s[0:1], 0
.LBB33_2935:
	s_andn2_b64 vcc, exec, s[0:1]
	s_cbranch_vccnz .LBB33_2937
; %bb.2936:
	v_cvt_f16_f32_e32 v3, v2
	global_store_short v[0:1], v3, off
.LBB33_2937:
	s_mov_b64 s[0:1], 0
.LBB33_2938:
	s_andn2_b64 vcc, exec, s[0:1]
	s_cbranch_vccnz .LBB33_2954
; %bb.2939:
	v_mov_b32_e32 v3, 2
	v_cmp_lt_i16_sdwa s[2:3], v4, v3 src0_sel:BYTE_0 src1_sel:DWORD
	s_mov_b64 s[0:1], -1
	s_and_b64 vcc, exec, s[2:3]
	s_cbranch_vccnz .LBB33_2949
; %bb.2940:
	v_mov_b32_e32 v3, 3
	v_cmp_lt_i16_sdwa s[2:3], v4, v3 src0_sel:BYTE_0 src1_sel:DWORD
	s_and_b64 vcc, exec, s[2:3]
	s_cbranch_vccnz .LBB33_2946
; %bb.2941:
	v_cmp_gt_i16_sdwa s[2:3], v4, v3 src0_sel:BYTE_0 src1_sel:DWORD
	s_and_b64 vcc, exec, s[2:3]
	s_cbranch_vccz .LBB33_2943
; %bb.2942:
	v_trunc_f32_e32 v3, v2
	s_mov_b32 s0, 0x2f800000
	v_mul_f32_e64 v6, |v3|, s0
	v_floor_f32_e32 v6, v6
	s_mov_b32 s0, 0xcf800000
	v_cvt_u32_f32_e32 v8, v6
	v_fma_f32 v6, v6, s0, |v3|
	v_cvt_u32_f32_e32 v6, v6
	v_ashrrev_i32_e32 v3, 31, v3
	v_xor_b32_e32 v9, v8, v3
	s_mov_b64 s[0:1], 0
	v_xor_b32_e32 v6, v6, v3
	v_sub_co_u32_e32 v8, vcc, v6, v3
	v_subb_co_u32_e32 v9, vcc, v9, v3, vcc
	global_store_dwordx2 v[0:1], v[8:9], off
.LBB33_2943:
	s_andn2_b64 vcc, exec, s[0:1]
	s_cbranch_vccnz .LBB33_2945
; %bb.2944:
	v_cvt_i32_f32_e32 v3, v2
	global_store_dword v[0:1], v3, off
.LBB33_2945:
	s_mov_b64 s[0:1], 0
.LBB33_2946:
	s_andn2_b64 vcc, exec, s[0:1]
	s_cbranch_vccnz .LBB33_2948
; %bb.2947:
	v_cvt_i32_f32_e32 v3, v2
	global_store_short v[0:1], v3, off
.LBB33_2948:
	s_mov_b64 s[0:1], 0
.LBB33_2949:
	s_andn2_b64 vcc, exec, s[0:1]
	s_cbranch_vccnz .LBB33_2954
; %bb.2950:
	v_mov_b32_e32 v3, 0
	v_cmp_gt_i16_sdwa s[2:3], v4, v3 src0_sel:BYTE_0 src1_sel:DWORD
	s_mov_b64 s[0:1], -1
	s_and_b64 vcc, exec, s[2:3]
	s_cbranch_vccz .LBB33_2952
; %bb.2951:
	v_cvt_i32_f32_e32 v3, v2
	s_mov_b64 s[0:1], 0
	global_store_byte v[0:1], v3, off
.LBB33_2952:
	s_andn2_b64 vcc, exec, s[0:1]
	s_cbranch_vccnz .LBB33_2954
; %bb.2953:
	v_trunc_f32_e32 v2, v2
	s_mov_b32 s0, 0x2f800000
	v_mul_f32_e64 v3, |v2|, s0
	v_floor_f32_e32 v3, v3
	s_mov_b32 s0, 0xcf800000
	v_fma_f32 v3, v3, s0, |v2|
	v_cvt_u32_f32_e32 v3, v3
	v_ashrrev_i32_e32 v2, 31, v2
	v_xor_b32_e32 v3, v3, v2
	v_sub_u32_e32 v2, v3, v2
	global_store_byte v[0:1], v2, off
.LBB33_2954:
	s_mov_b64 s[10:11], -1
.LBB33_2955:
	s_andn2_b64 vcc, exec, s[10:11]
	s_cbranch_vccnz .LBB33_3032
; %bb.2956:
	v_mul_f32_e32 v0, v12, v7
	v_cmp_lt_f32_e32 vcc, 0, v12
	v_cndmask_b32_e32 v2, v0, v12, vcc
	v_add_u32_e32 v0, s16, v5
	v_ashrrev_i32_e32 v1, 31, v0
	v_mov_b32_e32 v3, s9
	v_add_co_u32_e32 v0, vcc, s8, v0
	v_addc_co_u32_e32 v1, vcc, v3, v1, vcc
	v_and_b32_e32 v8, 0xff, v4
	v_cmp_gt_i16_e32 vcc, 11, v8
	s_cbranch_vccnz .LBB33_3077
; %bb.2957:
	v_cmp_lt_i16_e32 vcc, 25, v8
	s_mov_b64 s[8:9], -1
	s_mov_b64 s[2:3], 0
	s_mov_b64 s[0:1], 0
	s_cbranch_vccz .LBB33_2990
; %bb.2958:
	v_cmp_lt_i16_e32 vcc, 28, v8
	s_cbranch_vccz .LBB33_2974
; %bb.2959:
	v_cmp_lt_i16_e32 vcc, 43, v8
	;; [unrolled: 3-line block ×3, first 2 shown]
	s_cbranch_vccz .LBB33_2964
; %bb.2961:
	v_cmp_eq_u16_e32 vcc, 46, v8
	s_mov_b64 s[0:1], -1
	s_cbranch_vccz .LBB33_2963
; %bb.2962:
	v_bfe_u32 v3, v2, 16, 1
	s_movk_i32 s0, 0x7fff
	v_add3_u32 v3, v2, v3, s0
	v_lshrrev_b32_e32 v3, 16, v3
	v_mov_b32_e32 v4, 0x7fc0
	v_cmp_o_f32_e32 vcc, v2, v2
	v_cndmask_b32_e32 v3, v4, v3, vcc
	global_store_dword v[0:1], v3, off
	s_mov_b64 s[0:1], 0
.LBB33_2963:
	s_mov_b64 s[8:9], 0
.LBB33_2964:
	s_and_b64 vcc, exec, s[8:9]
	s_cbranch_vccz .LBB33_2969
; %bb.2965:
	v_cmp_eq_u16_e32 vcc, 44, v8
	s_mov_b64 s[0:1], -1
	s_cbranch_vccz .LBB33_2969
; %bb.2966:
	v_bfe_u32 v3, v2, 23, 8
	s_movk_i32 s0, 0xff
	v_cmp_ne_u32_e32 vcc, s0, v3
	v_mov_b32_e32 v4, 0xff
	s_and_saveexec_b64 s[8:9], vcc
; %bb.2967:
	s_mov_b32 s0, 0x3fffff
	v_and_b32_e32 v5, 0x400000, v2
	v_and_or_b32 v3, v2, s0, v3
	v_cmp_ne_u32_e32 vcc, 0, v5
	v_cmp_ne_u32_e64 s[0:1], 0, v3
	s_and_b64 s[0:1], vcc, s[0:1]
	v_lshrrev_b32_e32 v4, 23, v2
	v_cndmask_b32_e64 v3, 0, 1, s[0:1]
	v_add_u32_e32 v4, v4, v3
; %bb.2968:
	s_or_b64 exec, exec, s[8:9]
	s_mov_b64 s[0:1], 0
	global_store_byte v[0:1], v4, off
.LBB33_2969:
	s_mov_b64 s[8:9], 0
.LBB33_2970:
	s_and_b64 vcc, exec, s[8:9]
	s_cbranch_vccz .LBB33_2973
; %bb.2971:
	v_cmp_eq_u16_e32 vcc, 29, v8
	s_mov_b64 s[0:1], -1
	s_cbranch_vccz .LBB33_2973
; %bb.2972:
	v_trunc_f32_e32 v3, v2
	v_mul_f32_e32 v4, 0x2f800000, v3
	v_floor_f32_e32 v4, v4
	v_fmac_f32_e32 v3, 0xcf800000, v4
	v_cvt_u32_f32_e32 v5, v4
	v_cvt_u32_f32_e32 v4, v3
	s_mov_b64 s[0:1], 0
	global_store_dwordx2 v[0:1], v[4:5], off
.LBB33_2973:
	s_mov_b64 s[8:9], 0
.LBB33_2974:
	s_and_b64 vcc, exec, s[8:9]
	s_cbranch_vccz .LBB33_2989
; %bb.2975:
	v_cmp_gt_i16_e32 vcc, 27, v8
	s_mov_b64 s[8:9], -1
	s_cbranch_vccnz .LBB33_2981
; %bb.2976:
	v_cvt_u32_f32_e32 v3, v2
	v_cmp_lt_i16_e32 vcc, 27, v8
	s_cbranch_vccz .LBB33_2978
; %bb.2977:
	global_store_dword v[0:1], v3, off
	s_mov_b64 s[8:9], 0
.LBB33_2978:
	s_andn2_b64 vcc, exec, s[8:9]
	s_cbranch_vccnz .LBB33_2980
; %bb.2979:
	global_store_short v[0:1], v3, off
.LBB33_2980:
	s_mov_b64 s[8:9], 0
.LBB33_2981:
	s_andn2_b64 vcc, exec, s[8:9]
	s_cbranch_vccnz .LBB33_2989
; %bb.2982:
	v_and_b32_e32 v3, 0x7fffffff, v2
	s_mov_b32 s8, 0x43800000
	v_cmp_gt_u32_e32 vcc, s8, v3
	v_mov_b32_e32 v4, 0x80
	s_and_saveexec_b64 s[8:9], vcc
	s_cbranch_execz .LBB33_2988
; %bb.2983:
	s_mov_b32 s10, 0x3bffffff
	v_cmp_lt_u32_e32 vcc, s10, v3
	s_mov_b64 s[10:11], 0
                                        ; implicit-def: $vgpr3
	s_and_saveexec_b64 s[12:13], vcc
	s_xor_b64 s[12:13], exec, s[12:13]
	s_cbranch_execz .LBB33_3083
; %bb.2984:
	v_bfe_u32 v3, v2, 20, 1
	s_mov_b32 s14, 0x487ffff
	v_add3_u32 v3, v2, v3, s14
	s_mov_b64 s[10:11], exec
	v_lshrrev_b32_e32 v3, 20, v3
	s_or_saveexec_b64 s[12:13], s[12:13]
                                        ; implicit-def: $sgpr14
	s_xor_b64 exec, exec, s[12:13]
	s_cbranch_execnz .LBB33_3084
.LBB33_2985:
	s_or_b64 exec, exec, s[12:13]
	v_mov_b32_e32 v4, s14
	s_and_saveexec_b64 s[12:13], s[10:11]
.LBB33_2986:
	v_lshrrev_b32_e32 v4, 24, v2
	s_movk_i32 s10, 0x80
	v_and_or_b32 v4, v4, s10, v3
.LBB33_2987:
	s_or_b64 exec, exec, s[12:13]
.LBB33_2988:
	s_or_b64 exec, exec, s[8:9]
	global_store_byte v[0:1], v4, off
.LBB33_2989:
	s_mov_b64 s[8:9], 0
.LBB33_2990:
	s_and_b64 vcc, exec, s[8:9]
	s_cbranch_vccz .LBB33_3030
; %bb.2991:
	v_cmp_lt_i16_e32 vcc, 22, v8
	s_mov_b64 s[2:3], -1
	s_cbranch_vccz .LBB33_3023
; %bb.2992:
	v_cmp_gt_i16_e32 vcc, 24, v8
	s_cbranch_vccnz .LBB33_3012
; %bb.2993:
	v_cmp_lt_i16_e32 vcc, 24, v8
	s_cbranch_vccz .LBB33_3001
; %bb.2994:
	v_and_b32_e32 v3, 0x7fffffff, v2
	s_mov_b32 s2, 0x47800000
	v_cmp_gt_u32_e32 vcc, s2, v3
	v_mov_b32_e32 v4, 0x80
	s_and_saveexec_b64 s[2:3], vcc
	s_cbranch_execz .LBB33_3000
; %bb.2995:
	s_mov_b32 s8, 0x37ffffff
	v_cmp_lt_u32_e32 vcc, s8, v3
	s_mov_b64 s[8:9], 0
                                        ; implicit-def: $vgpr3
	s_and_saveexec_b64 s[10:11], vcc
	s_xor_b64 s[10:11], exec, s[10:11]
	s_cbranch_execz .LBB33_3086
; %bb.2996:
	v_bfe_u32 v3, v2, 21, 1
	s_mov_b32 s12, 0x88fffff
	v_add3_u32 v3, v2, v3, s12
	s_mov_b64 s[8:9], exec
	v_lshrrev_b32_e32 v3, 21, v3
	s_or_saveexec_b64 s[10:11], s[10:11]
                                        ; implicit-def: $sgpr12
	s_xor_b64 exec, exec, s[10:11]
	s_cbranch_execnz .LBB33_3087
.LBB33_2997:
	s_or_b64 exec, exec, s[10:11]
	v_mov_b32_e32 v4, s12
	s_and_saveexec_b64 s[10:11], s[8:9]
.LBB33_2998:
	v_lshrrev_b32_e32 v4, 24, v2
	s_movk_i32 s8, 0x80
	v_and_or_b32 v4, v4, s8, v3
.LBB33_2999:
	s_or_b64 exec, exec, s[10:11]
.LBB33_3000:
	s_or_b64 exec, exec, s[2:3]
	s_mov_b64 s[2:3], 0
	global_store_byte v[0:1], v4, off
.LBB33_3001:
	s_and_b64 vcc, exec, s[2:3]
	s_cbranch_vccz .LBB33_3011
; %bb.3002:
	v_and_b32_e32 v4, 0x7fffffff, v2
	s_mov_b32 s2, 0x43f00000
	v_cmp_gt_u32_e32 vcc, s2, v4
                                        ; implicit-def: $vgpr3
	s_and_saveexec_b64 s[2:3], vcc
	s_xor_b64 s[2:3], exec, s[2:3]
	s_cbranch_execz .LBB33_3008
; %bb.3003:
	s_mov_b32 s8, 0x3c7fffff
	v_cmp_lt_u32_e32 vcc, s8, v4
                                        ; implicit-def: $vgpr3
	s_and_saveexec_b64 s[8:9], vcc
	s_xor_b64 s[8:9], exec, s[8:9]
; %bb.3004:
	v_bfe_u32 v3, v2, 20, 1
	s_mov_b32 s10, 0x407ffff
	v_add3_u32 v3, v2, v3, s10
	v_lshrrev_b32_e32 v4, 20, v3
	v_and_b32_e32 v3, 0xff00000, v3
	s_mov_b32 s10, 0x7f00000
	v_mov_b32_e32 v5, 0x7e
	v_cmp_ne_u32_e32 vcc, s10, v3
	v_cndmask_b32_e32 v3, v5, v4, vcc
; %bb.3005:
	s_andn2_saveexec_b64 s[8:9], s[8:9]
; %bb.3006:
	s_mov_b32 s10, 0x46800000
	v_add_f32_e64 v3, |v2|, s10
; %bb.3007:
	s_or_b64 exec, exec, s[8:9]
                                        ; implicit-def: $vgpr4
.LBB33_3008:
	s_andn2_saveexec_b64 s[2:3], s[2:3]
; %bb.3009:
	s_mov_b32 s8, 0x7f800000
	v_mov_b32_e32 v3, 0x7e
	v_mov_b32_e32 v5, 0x7f
	v_cmp_lt_u32_e32 vcc, s8, v4
	v_cndmask_b32_e32 v3, v3, v5, vcc
; %bb.3010:
	s_or_b64 exec, exec, s[2:3]
	v_lshrrev_b32_e32 v4, 24, v2
	s_movk_i32 s2, 0x80
	v_and_or_b32 v3, v4, s2, v3
	global_store_byte v[0:1], v3, off
.LBB33_3011:
	s_mov_b64 s[2:3], 0
.LBB33_3012:
	s_andn2_b64 vcc, exec, s[2:3]
	s_cbranch_vccnz .LBB33_3022
; %bb.3013:
	v_and_b32_e32 v4, 0x7fffffff, v2
	s_mov_b32 s2, 0x47800000
	v_cmp_gt_u32_e32 vcc, s2, v4
                                        ; implicit-def: $vgpr3
	s_and_saveexec_b64 s[2:3], vcc
	s_xor_b64 s[2:3], exec, s[2:3]
	s_cbranch_execz .LBB33_3019
; %bb.3014:
	s_mov_b32 s8, 0x387fffff
	v_cmp_lt_u32_e32 vcc, s8, v4
                                        ; implicit-def: $vgpr3
	s_and_saveexec_b64 s[8:9], vcc
	s_xor_b64 s[8:9], exec, s[8:9]
; %bb.3015:
	v_bfe_u32 v3, v2, 21, 1
	s_mov_b32 s10, 0x80fffff
	v_add3_u32 v3, v2, v3, s10
	v_lshrrev_b32_e32 v3, 21, v3
; %bb.3016:
	s_andn2_saveexec_b64 s[8:9], s[8:9]
; %bb.3017:
	s_mov_b32 s10, 0x43000000
	v_add_f32_e64 v3, |v2|, s10
; %bb.3018:
	s_or_b64 exec, exec, s[8:9]
                                        ; implicit-def: $vgpr4
.LBB33_3019:
	s_andn2_saveexec_b64 s[2:3], s[2:3]
; %bb.3020:
	s_mov_b32 s8, 0x7f800000
	v_mov_b32_e32 v3, 0x7c
	v_mov_b32_e32 v5, 0x7f
	v_cmp_lt_u32_e32 vcc, s8, v4
	v_cndmask_b32_e32 v3, v3, v5, vcc
; %bb.3021:
	s_or_b64 exec, exec, s[2:3]
	v_lshrrev_b32_e32 v4, 24, v2
	s_movk_i32 s2, 0x80
	v_and_or_b32 v3, v4, s2, v3
	global_store_byte v[0:1], v3, off
.LBB33_3022:
	s_mov_b64 s[2:3], 0
.LBB33_3023:
	s_andn2_b64 vcc, exec, s[2:3]
	s_mov_b64 s[2:3], 0
	s_cbranch_vccnz .LBB33_3030
; %bb.3024:
	v_cmp_lt_i16_e32 vcc, 14, v8
	s_mov_b64 s[8:9], -1
	s_cbranch_vccz .LBB33_3028
; %bb.3025:
	v_cmp_eq_u16_e32 vcc, 15, v8
	s_mov_b64 s[0:1], -1
	s_cbranch_vccz .LBB33_3027
; %bb.3026:
	v_bfe_u32 v3, v2, 16, 1
	s_movk_i32 s0, 0x7fff
	v_add3_u32 v3, v2, v3, s0
	v_lshrrev_b32_e32 v3, 16, v3
	v_mov_b32_e32 v4, 0x7fc0
	v_cmp_o_f32_e32 vcc, v2, v2
	v_cndmask_b32_e32 v3, v4, v3, vcc
	global_store_short v[0:1], v3, off
	s_mov_b64 s[0:1], 0
.LBB33_3027:
	s_mov_b64 s[8:9], 0
.LBB33_3028:
	s_and_b64 vcc, exec, s[8:9]
	s_cbranch_vccz .LBB33_3030
; %bb.3029:
	v_cmp_ne_u16_e64 s[0:1], 11, v8
	s_mov_b64 s[2:3], -1
.LBB33_3030:
	s_and_b64 vcc, exec, s[0:1]
	s_cbranch_vccnz .LBB33_3085
.LBB33_3031:
	s_mov_b64 s[0:1], 0
	s_branch .LBB33_3033
.LBB33_3032:
	s_mov_b64 s[0:1], 0
	s_mov_b64 s[2:3], 0
                                        ; implicit-def: $vgpr8
                                        ; implicit-def: $vgpr0_vgpr1
                                        ; implicit-def: $vgpr2
.LBB33_3033:
	s_and_b64 s[16:17], s[2:3], exec
	s_andn2_b64 s[2:3], s[6:7], exec
	s_and_b64 s[6:7], s[18:19], exec
	s_and_b64 s[0:1], s[0:1], exec
	s_or_b64 s[6:7], s[2:3], s[6:7]
.LBB33_3034:
	s_or_b64 exec, exec, s[4:5]
	s_and_saveexec_b64 s[2:3], s[6:7]
	s_cbranch_execz .LBB33_3037
; %bb.3035:
	; divergent unreachable
	s_or_b64 exec, exec, s[2:3]
	s_and_saveexec_b64 s[2:3], s[16:17]
	s_xor_b64 s[2:3], exec, s[2:3]
	s_cbranch_execnz .LBB33_3038
.LBB33_3036:
	s_or_b64 exec, exec, s[2:3]
	s_and_saveexec_b64 s[2:3], s[0:1]
	s_cbranch_execnz .LBB33_3039
	s_branch .LBB33_3076
.LBB33_3037:
	s_or_b64 exec, exec, s[2:3]
	s_and_saveexec_b64 s[2:3], s[16:17]
	s_xor_b64 s[2:3], exec, s[2:3]
	s_cbranch_execz .LBB33_3036
.LBB33_3038:
	s_waitcnt vmcnt(0)
	v_cmp_neq_f32_e32 vcc, 0, v2
	v_cndmask_b32_e64 v3, 0, 1, vcc
	global_store_byte v[0:1], v3, off
	s_or_b64 exec, exec, s[2:3]
	s_and_saveexec_b64 s[2:3], s[0:1]
	s_cbranch_execz .LBB33_3076
.LBB33_3039:
	s_waitcnt vmcnt(0)
	v_cmp_gt_i16_e32 vcc, 5, v8
	s_mov_b64 s[0:1], -1
	s_cbranch_vccnz .LBB33_3060
; %bb.3040:
	v_cmp_gt_i16_e32 vcc, 8, v8
	s_cbranch_vccnz .LBB33_3050
; %bb.3041:
	v_cmp_gt_i16_e32 vcc, 9, v8
	s_cbranch_vccnz .LBB33_3047
; %bb.3042:
	v_cmp_lt_i16_e32 vcc, 9, v8
	s_cbranch_vccz .LBB33_3044
; %bb.3043:
	v_mov_b32_e32 v6, 0
	v_cvt_f64_f32_e32 v[4:5], v2
	v_mov_b32_e32 v7, v6
	global_store_dwordx4 v[0:1], v[4:7], off
	s_mov_b64 s[0:1], 0
.LBB33_3044:
	s_andn2_b64 vcc, exec, s[0:1]
	s_cbranch_vccnz .LBB33_3046
; %bb.3045:
	v_mov_b32_e32 v3, 0
	global_store_dwordx2 v[0:1], v[2:3], off
.LBB33_3046:
	s_mov_b64 s[0:1], 0
.LBB33_3047:
	s_andn2_b64 vcc, exec, s[0:1]
	s_cbranch_vccnz .LBB33_3049
; %bb.3048:
	v_cvt_f16_f32_e32 v3, v2
	global_store_dword v[0:1], v3, off
.LBB33_3049:
	s_mov_b64 s[0:1], 0
.LBB33_3050:
	s_andn2_b64 vcc, exec, s[0:1]
	s_cbranch_vccnz .LBB33_3059
; %bb.3051:
	v_cmp_gt_i16_e32 vcc, 6, v8
	s_mov_b64 s[0:1], -1
	s_cbranch_vccnz .LBB33_3057
; %bb.3052:
	v_cmp_lt_i16_e32 vcc, 6, v8
	s_cbranch_vccz .LBB33_3054
; %bb.3053:
	v_cvt_f64_f32_e32 v[4:5], v2
	global_store_dwordx2 v[0:1], v[4:5], off
	s_mov_b64 s[0:1], 0
.LBB33_3054:
	s_andn2_b64 vcc, exec, s[0:1]
	s_cbranch_vccnz .LBB33_3056
; %bb.3055:
	global_store_dword v[0:1], v2, off
.LBB33_3056:
	s_mov_b64 s[0:1], 0
.LBB33_3057:
	s_andn2_b64 vcc, exec, s[0:1]
	s_cbranch_vccnz .LBB33_3059
; %bb.3058:
	v_cvt_f16_f32_e32 v3, v2
	global_store_short v[0:1], v3, off
.LBB33_3059:
	s_mov_b64 s[0:1], 0
.LBB33_3060:
	s_andn2_b64 vcc, exec, s[0:1]
	s_cbranch_vccnz .LBB33_3076
; %bb.3061:
	v_cmp_gt_i16_e32 vcc, 2, v8
	s_mov_b64 s[0:1], -1
	s_cbranch_vccnz .LBB33_3071
; %bb.3062:
	v_cmp_gt_i16_e32 vcc, 3, v8
	s_cbranch_vccnz .LBB33_3068
; %bb.3063:
	v_cmp_lt_i16_e32 vcc, 3, v8
	s_cbranch_vccz .LBB33_3065
; %bb.3064:
	v_trunc_f32_e32 v3, v2
	s_mov_b32 s0, 0x2f800000
	v_mul_f32_e64 v4, |v3|, s0
	v_floor_f32_e32 v4, v4
	s_mov_b32 s0, 0xcf800000
	v_cvt_u32_f32_e32 v5, v4
	v_fma_f32 v4, v4, s0, |v3|
	v_cvt_u32_f32_e32 v4, v4
	v_ashrrev_i32_e32 v3, 31, v3
	v_xor_b32_e32 v5, v5, v3
	s_mov_b64 s[0:1], 0
	v_xor_b32_e32 v4, v4, v3
	v_sub_co_u32_e32 v4, vcc, v4, v3
	v_subb_co_u32_e32 v5, vcc, v5, v3, vcc
	global_store_dwordx2 v[0:1], v[4:5], off
.LBB33_3065:
	s_andn2_b64 vcc, exec, s[0:1]
	s_cbranch_vccnz .LBB33_3067
; %bb.3066:
	v_cvt_i32_f32_e32 v3, v2
	global_store_dword v[0:1], v3, off
.LBB33_3067:
	s_mov_b64 s[0:1], 0
.LBB33_3068:
	s_andn2_b64 vcc, exec, s[0:1]
	s_cbranch_vccnz .LBB33_3070
; %bb.3069:
	v_cvt_i32_f32_e32 v3, v2
	global_store_short v[0:1], v3, off
.LBB33_3070:
	s_mov_b64 s[0:1], 0
.LBB33_3071:
	s_andn2_b64 vcc, exec, s[0:1]
	s_cbranch_vccnz .LBB33_3076
; %bb.3072:
	v_cmp_lt_i16_e32 vcc, 0, v8
	s_mov_b64 s[0:1], -1
	s_cbranch_vccz .LBB33_3074
; %bb.3073:
	v_cvt_i32_f32_e32 v3, v2
	s_mov_b64 s[0:1], 0
	global_store_byte v[0:1], v3, off
.LBB33_3074:
	s_andn2_b64 vcc, exec, s[0:1]
	s_cbranch_vccnz .LBB33_3076
; %bb.3075:
	v_trunc_f32_e32 v2, v2
	s_mov_b32 s0, 0x2f800000
	v_mul_f32_e64 v3, |v2|, s0
	v_floor_f32_e32 v3, v3
	s_mov_b32 s0, 0xcf800000
	v_fma_f32 v3, v3, s0, |v2|
	v_cvt_u32_f32_e32 v3, v3
	v_ashrrev_i32_e32 v2, 31, v2
	v_xor_b32_e32 v3, v3, v2
	v_sub_u32_e32 v2, v3, v2
	global_store_byte v[0:1], v2, off
	s_endpgm
.LBB33_3076:
	s_endpgm
.LBB33_3077:
	s_mov_b64 s[2:3], 0
	s_mov_b64 s[0:1], -1
	s_branch .LBB33_3033
.LBB33_3078:
	s_or_saveexec_b64 s[14:15], s[14:15]
                                        ; implicit-def: $sgpr17
	s_xor_b64 exec, exec, s[14:15]
	s_cbranch_execz .LBB33_2866
.LBB33_3079:
	s_mov_b32 s17, 0x46000000
	v_add_f32_e64 v3, |v2|, s17
	v_and_b32_e32 v3, 0xff, v3
	v_cmp_ne_u32_e32 vcc, 0, v3
	s_andn2_b64 s[12:13], s[12:13], exec
	s_and_b64 s[20:21], vcc, exec
	s_mov_b32 s17, 0
	s_or_b64 s[12:13], s[12:13], s[20:21]
	s_or_b64 exec, exec, s[14:15]
	v_mov_b32_e32 v6, s17
	s_and_saveexec_b64 s[14:15], s[12:13]
	s_cbranch_execnz .LBB33_2867
	s_branch .LBB33_2868
.LBB33_3080:
	s_trap 2
	s_or_b64 s[18:19], s[18:19], exec
	s_cbranch_execz .LBB33_2914
	s_branch .LBB33_2915
.LBB33_3081:
	s_or_saveexec_b64 s[12:13], s[12:13]
                                        ; implicit-def: $sgpr14
	s_xor_b64 exec, exec, s[12:13]
	s_cbranch_execz .LBB33_2879
.LBB33_3082:
	s_mov_b32 s14, 0x42800000
	v_add_f32_e64 v3, |v2|, s14
	v_and_b32_e32 v3, 0xff, v3
	v_cmp_ne_u32_e32 vcc, 0, v3
	s_andn2_b64 s[10:11], s[10:11], exec
	s_and_b64 s[20:21], vcc, exec
	s_mov_b32 s14, 0
	s_or_b64 s[10:11], s[10:11], s[20:21]
	s_or_b64 exec, exec, s[12:13]
	v_mov_b32_e32 v6, s14
	s_and_saveexec_b64 s[12:13], s[10:11]
	s_cbranch_execnz .LBB33_2880
	s_branch .LBB33_2881
.LBB33_3083:
	s_or_saveexec_b64 s[12:13], s[12:13]
                                        ; implicit-def: $sgpr14
	s_xor_b64 exec, exec, s[12:13]
	s_cbranch_execz .LBB33_2985
.LBB33_3084:
	s_mov_b32 s14, 0x46000000
	v_add_f32_e64 v3, |v2|, s14
	v_and_b32_e32 v3, 0xff, v3
	v_cmp_ne_u32_e32 vcc, 0, v3
	s_andn2_b64 s[10:11], s[10:11], exec
	s_and_b64 s[16:17], vcc, exec
	s_mov_b32 s14, 0
	s_or_b64 s[10:11], s[10:11], s[16:17]
	s_or_b64 exec, exec, s[12:13]
	v_mov_b32_e32 v4, s14
	s_and_saveexec_b64 s[12:13], s[10:11]
	s_cbranch_execnz .LBB33_2986
	s_branch .LBB33_2987
.LBB33_3085:
	s_mov_b64 s[2:3], 0
	s_or_b64 s[18:19], s[18:19], exec
	s_trap 2
	s_branch .LBB33_3031
.LBB33_3086:
	s_or_saveexec_b64 s[10:11], s[10:11]
                                        ; implicit-def: $sgpr12
	s_xor_b64 exec, exec, s[10:11]
	s_cbranch_execz .LBB33_2997
.LBB33_3087:
	s_mov_b32 s12, 0x42800000
	v_add_f32_e64 v3, |v2|, s12
	v_and_b32_e32 v3, 0xff, v3
	v_cmp_ne_u32_e32 vcc, 0, v3
	s_andn2_b64 s[8:9], s[8:9], exec
	s_and_b64 s[14:15], vcc, exec
	s_mov_b32 s12, 0
	s_or_b64 s[8:9], s[8:9], s[14:15]
	s_or_b64 exec, exec, s[10:11]
	v_mov_b32_e32 v4, s12
	s_and_saveexec_b64 s[10:11], s[8:9]
	s_cbranch_execnz .LBB33_2998
	s_branch .LBB33_2999
	.section	.rodata,"a",@progbits
	.p2align	6, 0x0
	.amdhsa_kernel _ZN2at6native32elementwise_kernel_manual_unrollILi128ELi4EZNS0_15gpu_kernel_implIZZZNS0_12prelu_kernelERNS_14TensorIteratorEENKUlvE_clEvENKUlvE0_clEvEUlffE_EEvRNS_18TensorIteratorBaseERKT_EUlibE_EEviT1_
		.amdhsa_group_segment_fixed_size 0
		.amdhsa_private_segment_fixed_size 0
		.amdhsa_kernarg_size 48
		.amdhsa_user_sgpr_count 6
		.amdhsa_user_sgpr_private_segment_buffer 1
		.amdhsa_user_sgpr_dispatch_ptr 0
		.amdhsa_user_sgpr_queue_ptr 0
		.amdhsa_user_sgpr_kernarg_segment_ptr 1
		.amdhsa_user_sgpr_dispatch_id 0
		.amdhsa_user_sgpr_flat_scratch_init 0
		.amdhsa_user_sgpr_kernarg_preload_length 0
		.amdhsa_user_sgpr_kernarg_preload_offset 0
		.amdhsa_user_sgpr_private_segment_size 0
		.amdhsa_uses_dynamic_stack 0
		.amdhsa_system_sgpr_private_segment_wavefront_offset 0
		.amdhsa_system_sgpr_workgroup_id_x 1
		.amdhsa_system_sgpr_workgroup_id_y 0
		.amdhsa_system_sgpr_workgroup_id_z 0
		.amdhsa_system_sgpr_workgroup_info 0
		.amdhsa_system_vgpr_workitem_id 0
		.amdhsa_next_free_vgpr 19
		.amdhsa_next_free_sgpr 54
		.amdhsa_accum_offset 20
		.amdhsa_reserve_vcc 1
		.amdhsa_reserve_flat_scratch 0
		.amdhsa_float_round_mode_32 0
		.amdhsa_float_round_mode_16_64 0
		.amdhsa_float_denorm_mode_32 3
		.amdhsa_float_denorm_mode_16_64 3
		.amdhsa_dx10_clamp 1
		.amdhsa_ieee_mode 1
		.amdhsa_fp16_overflow 0
		.amdhsa_tg_split 0
		.amdhsa_exception_fp_ieee_invalid_op 0
		.amdhsa_exception_fp_denorm_src 0
		.amdhsa_exception_fp_ieee_div_zero 0
		.amdhsa_exception_fp_ieee_overflow 0
		.amdhsa_exception_fp_ieee_underflow 0
		.amdhsa_exception_fp_ieee_inexact 0
		.amdhsa_exception_int_div_zero 0
	.end_amdhsa_kernel
	.section	.text._ZN2at6native32elementwise_kernel_manual_unrollILi128ELi4EZNS0_15gpu_kernel_implIZZZNS0_12prelu_kernelERNS_14TensorIteratorEENKUlvE_clEvENKUlvE0_clEvEUlffE_EEvRNS_18TensorIteratorBaseERKT_EUlibE_EEviT1_,"axG",@progbits,_ZN2at6native32elementwise_kernel_manual_unrollILi128ELi4EZNS0_15gpu_kernel_implIZZZNS0_12prelu_kernelERNS_14TensorIteratorEENKUlvE_clEvENKUlvE0_clEvEUlffE_EEvRNS_18TensorIteratorBaseERKT_EUlibE_EEviT1_,comdat
.Lfunc_end33:
	.size	_ZN2at6native32elementwise_kernel_manual_unrollILi128ELi4EZNS0_15gpu_kernel_implIZZZNS0_12prelu_kernelERNS_14TensorIteratorEENKUlvE_clEvENKUlvE0_clEvEUlffE_EEvRNS_18TensorIteratorBaseERKT_EUlibE_EEviT1_, .Lfunc_end33-_ZN2at6native32elementwise_kernel_manual_unrollILi128ELi4EZNS0_15gpu_kernel_implIZZZNS0_12prelu_kernelERNS_14TensorIteratorEENKUlvE_clEvENKUlvE0_clEvEUlffE_EEvRNS_18TensorIteratorBaseERKT_EUlibE_EEviT1_
                                        ; -- End function
	.section	.AMDGPU.csdata,"",@progbits
; Kernel info:
; codeLenInByte = 53772
; NumSgprs: 58
; NumVgprs: 19
; NumAgprs: 0
; TotalNumVgprs: 19
; ScratchSize: 0
; MemoryBound: 1
; FloatMode: 240
; IeeeMode: 1
; LDSByteSize: 0 bytes/workgroup (compile time only)
; SGPRBlocks: 7
; VGPRBlocks: 2
; NumSGPRsForWavesPerEU: 58
; NumVGPRsForWavesPerEU: 19
; AccumOffset: 20
; Occupancy: 8
; WaveLimiterHint : 0
; COMPUTE_PGM_RSRC2:SCRATCH_EN: 0
; COMPUTE_PGM_RSRC2:USER_SGPR: 6
; COMPUTE_PGM_RSRC2:TRAP_HANDLER: 0
; COMPUTE_PGM_RSRC2:TGID_X_EN: 1
; COMPUTE_PGM_RSRC2:TGID_Y_EN: 0
; COMPUTE_PGM_RSRC2:TGID_Z_EN: 0
; COMPUTE_PGM_RSRC2:TIDIG_COMP_CNT: 0
; COMPUTE_PGM_RSRC3_GFX90A:ACCUM_OFFSET: 4
; COMPUTE_PGM_RSRC3_GFX90A:TG_SPLIT: 0
	.section	.text._ZN2at6native32elementwise_kernel_manual_unrollILi128ELi4EZNS0_12_GLOBAL__N_142type_specialized_broadcast_kernel_launcherILi0EE5applyIZZZNS0_12prelu_kernelERNS_14TensorIteratorEENKUlvE_clEvENKUlvE0_clEvEUlffE_St5arrayIPcLm3EESB_IN3c1010ScalarTypeELm3EE16OffsetCalculatorILi3EjLb0EEEEvlT_T0_T1_T2_EUlibE_EEviSL_,"axG",@progbits,_ZN2at6native32elementwise_kernel_manual_unrollILi128ELi4EZNS0_12_GLOBAL__N_142type_specialized_broadcast_kernel_launcherILi0EE5applyIZZZNS0_12prelu_kernelERNS_14TensorIteratorEENKUlvE_clEvENKUlvE0_clEvEUlffE_St5arrayIPcLm3EESB_IN3c1010ScalarTypeELm3EE16OffsetCalculatorILi3EjLb0EEEEvlT_T0_T1_T2_EUlibE_EEviSL_,comdat
	.globl	_ZN2at6native32elementwise_kernel_manual_unrollILi128ELi4EZNS0_12_GLOBAL__N_142type_specialized_broadcast_kernel_launcherILi0EE5applyIZZZNS0_12prelu_kernelERNS_14TensorIteratorEENKUlvE_clEvENKUlvE0_clEvEUlffE_St5arrayIPcLm3EESB_IN3c1010ScalarTypeELm3EE16OffsetCalculatorILi3EjLb0EEEEvlT_T0_T1_T2_EUlibE_EEviSL_ ; -- Begin function _ZN2at6native32elementwise_kernel_manual_unrollILi128ELi4EZNS0_12_GLOBAL__N_142type_specialized_broadcast_kernel_launcherILi0EE5applyIZZZNS0_12prelu_kernelERNS_14TensorIteratorEENKUlvE_clEvENKUlvE0_clEvEUlffE_St5arrayIPcLm3EESB_IN3c1010ScalarTypeELm3EE16OffsetCalculatorILi3EjLb0EEEEvlT_T0_T1_T2_EUlibE_EEviSL_
	.p2align	8
	.type	_ZN2at6native32elementwise_kernel_manual_unrollILi128ELi4EZNS0_12_GLOBAL__N_142type_specialized_broadcast_kernel_launcherILi0EE5applyIZZZNS0_12prelu_kernelERNS_14TensorIteratorEENKUlvE_clEvENKUlvE0_clEvEUlffE_St5arrayIPcLm3EESB_IN3c1010ScalarTypeELm3EE16OffsetCalculatorILi3EjLb0EEEEvlT_T0_T1_T2_EUlibE_EEviSL_,@function
_ZN2at6native32elementwise_kernel_manual_unrollILi128ELi4EZNS0_12_GLOBAL__N_142type_specialized_broadcast_kernel_launcherILi0EE5applyIZZZNS0_12prelu_kernelERNS_14TensorIteratorEENKUlvE_clEvENKUlvE0_clEvEUlffE_St5arrayIPcLm3EESB_IN3c1010ScalarTypeELm3EE16OffsetCalculatorILi3EjLb0EEEEvlT_T0_T1_T2_EUlibE_EEviSL_: ; @_ZN2at6native32elementwise_kernel_manual_unrollILi128ELi4EZNS0_12_GLOBAL__N_142type_specialized_broadcast_kernel_launcherILi0EE5applyIZZZNS0_12prelu_kernelERNS_14TensorIteratorEENKUlvE_clEvENKUlvE0_clEvEUlffE_St5arrayIPcLm3EESB_IN3c1010ScalarTypeELm3EE16OffsetCalculatorILi3EjLb0EEEEvlT_T0_T1_T2_EUlibE_EEviSL_
; %bb.0:
	s_load_dword s36, s[4:5], 0x0
	s_load_dword s33, s[4:5], 0x8
	s_or_b32 s4, s4, 8
	v_lshl_or_b32 v12, s6, 9, v0
	v_or_b32_e32 v24, 0x180, v12
	s_waitcnt lgkmcnt(0)
	v_cmp_le_i32_e32 vcc, s36, v24
	s_add_i32 s34, s33, -1
	s_cmp_gt_u32 s34, 1
	s_cselect_b64 s[6:7], -1, 0
	s_and_saveexec_b64 s[0:1], vcc
	s_xor_b64 s[16:17], exec, s[0:1]
	s_cbranch_execz .LBB34_50
; %bb.1:
	s_load_dwordx4 s[12:15], s[4:5], 0x4
	s_load_dwordx2 s[22:23], s[4:5], 0x14
	s_load_dwordx4 s[8:11], s[4:5], 0xc4
	s_load_dwordx2 s[20:21], s[4:5], 0xd4
	s_load_dwordx2 s[18:19], s[4:5], 0x198
	s_load_dwordx4 s[0:3], s[4:5], 0x188
	s_cmp_lg_u32 s33, 0
	s_cselect_b64 s[26:27], -1, 0
	s_min_u32 s35, s34, 15
	s_cmp_gt_u32 s33, 1
	s_cselect_b64 s[24:25], -1, 0
	v_cmp_gt_i32_e32 vcc, s36, v12
	s_and_saveexec_b64 s[28:29], vcc
	s_cbranch_execnz .LBB34_5
; %bb.2:
	s_or_b64 exec, exec, s[28:29]
	v_cmp_gt_i32_e32 vcc, s36, v12
	s_and_saveexec_b64 s[28:29], vcc
	s_cbranch_execnz .LBB34_16
.LBB34_3:
	s_or_b64 exec, exec, s[28:29]
	v_cmp_gt_i32_e32 vcc, s36, v12
	s_and_saveexec_b64 s[28:29], vcc
	s_cbranch_execnz .LBB34_27
.LBB34_4:
	s_or_b64 exec, exec, s[28:29]
	v_cmp_gt_i32_e32 vcc, s36, v12
	s_and_saveexec_b64 s[28:29], vcc
	s_cbranch_execnz .LBB34_38
	s_branch .LBB34_49
.LBB34_5:
	s_andn2_b64 vcc, exec, s[6:7]
	s_cbranch_vccnz .LBB34_12
; %bb.6:
	s_andn2_b64 vcc, exec, s[26:27]
	v_mov_b32_e32 v2, 0
	v_mov_b32_e32 v4, 0
	;; [unrolled: 1-line block ×3, first 2 shown]
	s_cbranch_vccnz .LBB34_11
; %bb.7:
	s_add_i32 s30, s35, 1
	s_and_b32 s37, s30, 30
	s_add_u32 s30, s4, 0xffffffec
	s_addc_u32 s31, s5, -1
	v_mov_b32_e32 v0, 0
	v_mov_b32_e32 v1, v12
	;; [unrolled: 1-line block ×4, first 2 shown]
.LBB34_8:                               ; =>This Inner Loop Header: Depth=1
	s_mov_b64 s[38:39], s[30:31]
	s_load_dwordx4 s[40:43], s[38:39], 0x18
	s_load_dwordx2 s[48:49], s[38:39], 0x28
	s_load_dwordx2 s[50:51], s[38:39], 0xe8
	s_load_dwordx4 s[44:47], s[38:39], 0xd8
	s_add_u32 s30, s38, 24
	s_waitcnt lgkmcnt(0)
	v_mul_hi_u32 v3, s41, v1
	v_add_u32_e32 v3, v1, v3
	v_lshrrev_b32_e32 v3, s42, v3
	v_mul_lo_u32 v5, v3, s40
	v_mul_hi_u32 v6, s48, v3
	v_sub_u32_e32 v1, v1, v5
	v_add_u32_e32 v5, v3, v6
	v_mul_lo_u32 v6, v1, s44
	v_mul_lo_u32 v7, v1, s45
	;; [unrolled: 1-line block ×3, first 2 shown]
	v_lshrrev_b32_e32 v1, s49, v5
	v_mul_lo_u32 v5, v1, s43
	v_sub_u32_e32 v3, v3, v5
	s_addc_u32 s31, s39, 0
	s_add_i32 s37, s37, -2
	v_mul_lo_u32 v5, v3, s47
	v_mul_lo_u32 v9, v3, s50
	;; [unrolled: 1-line block ×3, first 2 shown]
	s_cmp_lg_u32 s37, 0
	v_add3_u32 v0, v6, v0, v5
	v_add3_u32 v2, v8, v2, v3
	;; [unrolled: 1-line block ×3, first 2 shown]
	s_cbranch_scc1 .LBB34_8
; %bb.9:
	s_bitcmp1_b32 s35, 0
	s_cselect_b64 s[38:39], -1, 0
	s_and_b64 vcc, exec, s[38:39]
	s_cbranch_vccnz .LBB34_11
; %bb.10:
	s_load_dwordx2 s[38:39], s[30:31], 0x18
	s_load_dword s37, s[30:31], 0x20
	s_load_dword s42, s[30:31], 0xe0
	s_load_dwordx2 s[40:41], s[30:31], 0xd8
	s_waitcnt lgkmcnt(0)
	v_mul_hi_u32 v3, s39, v1
	v_add_u32_e32 v3, v1, v3
	v_lshrrev_b32_e32 v3, s37, v3
	v_mul_lo_u32 v3, v3, s38
	v_sub_u32_e32 v3, v1, v3
	v_mad_u64_u32 v[0:1], s[30:31], v3, s40, v[0:1]
	v_mad_u64_u32 v[4:5], s[30:31], v3, s41, v[4:5]
	v_mad_u64_u32 v[2:3], s[30:31], v3, s42, v[2:3]
.LBB34_11:
	s_cbranch_execz .LBB34_13
	s_branch .LBB34_15
.LBB34_12:
                                        ; implicit-def: $vgpr2
                                        ; implicit-def: $vgpr4
                                        ; implicit-def: $vgpr0
.LBB34_13:
	s_waitcnt lgkmcnt(0)
	v_mul_hi_u32 v0, s13, v12
	v_add_u32_e32 v0, v12, v0
	v_lshrrev_b32_e32 v1, s14, v0
	v_mul_lo_u32 v0, v1, s12
	v_sub_u32_e32 v3, v12, v0
	v_mul_lo_u32 v0, v3, s8
	v_mul_lo_u32 v2, v3, s10
	s_andn2_b64 vcc, exec, s[24:25]
	v_mul_lo_u32 v4, v3, s9
	s_cbranch_vccnz .LBB34_15
; %bb.14:
	v_mul_hi_u32 v3, s22, v1
	v_add_u32_e32 v3, v1, v3
	v_lshrrev_b32_e32 v3, s23, v3
	v_mul_lo_u32 v3, v3, s15
	v_sub_u32_e32 v3, v1, v3
	v_mad_u64_u32 v[0:1], s[30:31], v3, s11, v[0:1]
	v_mad_u64_u32 v[4:5], s[30:31], v3, s20, v[4:5]
	;; [unrolled: 1-line block ×3, first 2 shown]
.LBB34_15:
	s_waitcnt lgkmcnt(0)
	global_load_ushort v1, v2, s[18:19]
	global_load_dword v3, v4, s[2:3]
	v_add_u32_e32 v12, 0x80, v12
	s_waitcnt vmcnt(1)
	v_lshlrev_b32_e32 v1, 16, v1
	s_waitcnt vmcnt(0)
	v_mul_f32_e32 v1, v3, v1
	v_cmp_lt_f32_e32 vcc, 0, v3
	v_cndmask_b32_e32 v1, v1, v3, vcc
	global_store_dword v0, v1, s[0:1]
	s_or_b64 exec, exec, s[28:29]
	v_cmp_gt_i32_e32 vcc, s36, v12
	s_and_saveexec_b64 s[28:29], vcc
	s_cbranch_execz .LBB34_3
.LBB34_16:
	s_andn2_b64 vcc, exec, s[6:7]
	s_cbranch_vccnz .LBB34_23
; %bb.17:
	s_andn2_b64 vcc, exec, s[26:27]
	v_mov_b32_e32 v2, 0
	v_mov_b32_e32 v4, 0
	;; [unrolled: 1-line block ×3, first 2 shown]
	s_cbranch_vccnz .LBB34_22
; %bb.18:
	s_add_i32 s30, s35, 1
	s_and_b32 s37, s30, 30
	s_add_u32 s30, s4, 0xffffffec
	s_addc_u32 s31, s5, -1
	v_mov_b32_e32 v0, 0
	v_mov_b32_e32 v1, v12
	;; [unrolled: 1-line block ×4, first 2 shown]
.LBB34_19:                              ; =>This Inner Loop Header: Depth=1
	s_mov_b64 s[38:39], s[30:31]
	s_load_dwordx4 s[40:43], s[38:39], 0x18
	s_load_dwordx2 s[48:49], s[38:39], 0x28
	s_load_dwordx2 s[50:51], s[38:39], 0xe8
	s_load_dwordx4 s[44:47], s[38:39], 0xd8
	s_add_u32 s30, s38, 24
	s_waitcnt lgkmcnt(0)
	v_mul_hi_u32 v3, s41, v1
	v_add_u32_e32 v3, v1, v3
	v_lshrrev_b32_e32 v3, s42, v3
	v_mul_lo_u32 v5, v3, s40
	v_mul_hi_u32 v6, s48, v3
	v_sub_u32_e32 v1, v1, v5
	v_add_u32_e32 v5, v3, v6
	v_mul_lo_u32 v6, v1, s44
	v_mul_lo_u32 v7, v1, s45
	;; [unrolled: 1-line block ×3, first 2 shown]
	v_lshrrev_b32_e32 v1, s49, v5
	v_mul_lo_u32 v5, v1, s43
	v_sub_u32_e32 v3, v3, v5
	s_addc_u32 s31, s39, 0
	s_add_i32 s37, s37, -2
	v_mul_lo_u32 v5, v3, s47
	v_mul_lo_u32 v9, v3, s50
	;; [unrolled: 1-line block ×3, first 2 shown]
	s_cmp_eq_u32 s37, 0
	v_add3_u32 v0, v6, v0, v5
	v_add3_u32 v2, v8, v2, v3
	;; [unrolled: 1-line block ×3, first 2 shown]
	s_cbranch_scc0 .LBB34_19
; %bb.20:
	s_bitcmp1_b32 s35, 0
	s_cselect_b64 s[38:39], -1, 0
	s_and_b64 vcc, exec, s[38:39]
	s_cbranch_vccnz .LBB34_22
; %bb.21:
	s_load_dwordx2 s[38:39], s[30:31], 0x18
	s_load_dword s37, s[30:31], 0x20
	s_load_dword s42, s[30:31], 0xe0
	s_load_dwordx2 s[40:41], s[30:31], 0xd8
	s_waitcnt lgkmcnt(0)
	v_mul_hi_u32 v3, s39, v1
	v_add_u32_e32 v3, v1, v3
	v_lshrrev_b32_e32 v3, s37, v3
	v_mul_lo_u32 v3, v3, s38
	v_sub_u32_e32 v3, v1, v3
	v_mad_u64_u32 v[0:1], s[30:31], v3, s40, v[0:1]
	v_mad_u64_u32 v[4:5], s[30:31], v3, s41, v[4:5]
	;; [unrolled: 1-line block ×3, first 2 shown]
.LBB34_22:
	s_cbranch_execz .LBB34_24
	s_branch .LBB34_26
.LBB34_23:
                                        ; implicit-def: $vgpr2
                                        ; implicit-def: $vgpr4
                                        ; implicit-def: $vgpr0
.LBB34_24:
	s_waitcnt lgkmcnt(0)
	v_mul_hi_u32 v0, s13, v12
	v_add_u32_e32 v0, v12, v0
	v_lshrrev_b32_e32 v1, s14, v0
	v_mul_lo_u32 v0, v1, s12
	v_sub_u32_e32 v3, v12, v0
	v_mul_lo_u32 v0, v3, s8
	v_mul_lo_u32 v2, v3, s10
	s_andn2_b64 vcc, exec, s[24:25]
	v_mul_lo_u32 v4, v3, s9
	s_cbranch_vccnz .LBB34_26
; %bb.25:
	v_mul_hi_u32 v3, s22, v1
	v_add_u32_e32 v3, v1, v3
	v_lshrrev_b32_e32 v3, s23, v3
	v_mul_lo_u32 v3, v3, s15
	v_sub_u32_e32 v3, v1, v3
	v_mad_u64_u32 v[0:1], s[30:31], v3, s11, v[0:1]
	v_mad_u64_u32 v[4:5], s[30:31], v3, s20, v[4:5]
	;; [unrolled: 1-line block ×3, first 2 shown]
.LBB34_26:
	s_waitcnt lgkmcnt(0)
	global_load_ushort v1, v2, s[18:19]
	global_load_dword v3, v4, s[2:3]
	v_add_u32_e32 v12, 0x80, v12
	s_waitcnt vmcnt(1)
	v_lshlrev_b32_e32 v1, 16, v1
	s_waitcnt vmcnt(0)
	v_mul_f32_e32 v1, v3, v1
	v_cmp_lt_f32_e32 vcc, 0, v3
	v_cndmask_b32_e32 v1, v1, v3, vcc
	global_store_dword v0, v1, s[0:1]
	s_or_b64 exec, exec, s[28:29]
	v_cmp_gt_i32_e32 vcc, s36, v12
	s_and_saveexec_b64 s[28:29], vcc
	s_cbranch_execz .LBB34_4
.LBB34_27:
	s_andn2_b64 vcc, exec, s[6:7]
	s_cbranch_vccnz .LBB34_34
; %bb.28:
	s_andn2_b64 vcc, exec, s[26:27]
	v_mov_b32_e32 v2, 0
	v_mov_b32_e32 v4, 0
	;; [unrolled: 1-line block ×3, first 2 shown]
	s_cbranch_vccnz .LBB34_33
; %bb.29:
	s_add_i32 s30, s35, 1
	s_and_b32 s37, s30, 30
	s_add_u32 s30, s4, 0xffffffec
	s_addc_u32 s31, s5, -1
	v_mov_b32_e32 v0, 0
	v_mov_b32_e32 v1, v12
	;; [unrolled: 1-line block ×4, first 2 shown]
.LBB34_30:                              ; =>This Inner Loop Header: Depth=1
	s_mov_b64 s[38:39], s[30:31]
	s_load_dwordx4 s[40:43], s[38:39], 0x18
	s_load_dwordx2 s[48:49], s[38:39], 0x28
	s_load_dwordx2 s[50:51], s[38:39], 0xe8
	s_load_dwordx4 s[44:47], s[38:39], 0xd8
	s_add_u32 s30, s38, 24
	s_waitcnt lgkmcnt(0)
	v_mul_hi_u32 v3, s41, v1
	v_add_u32_e32 v3, v1, v3
	v_lshrrev_b32_e32 v3, s42, v3
	v_mul_lo_u32 v5, v3, s40
	v_mul_hi_u32 v6, s48, v3
	v_sub_u32_e32 v1, v1, v5
	v_add_u32_e32 v5, v3, v6
	v_mul_lo_u32 v6, v1, s44
	v_mul_lo_u32 v7, v1, s45
	;; [unrolled: 1-line block ×3, first 2 shown]
	v_lshrrev_b32_e32 v1, s49, v5
	v_mul_lo_u32 v5, v1, s43
	v_sub_u32_e32 v3, v3, v5
	s_addc_u32 s31, s39, 0
	s_add_i32 s37, s37, -2
	v_mul_lo_u32 v5, v3, s47
	v_mul_lo_u32 v9, v3, s50
	;; [unrolled: 1-line block ×3, first 2 shown]
	s_cmp_eq_u32 s37, 0
	v_add3_u32 v0, v6, v0, v5
	v_add3_u32 v2, v8, v2, v3
	;; [unrolled: 1-line block ×3, first 2 shown]
	s_cbranch_scc0 .LBB34_30
; %bb.31:
	s_bitcmp1_b32 s35, 0
	s_cselect_b64 s[38:39], -1, 0
	s_and_b64 vcc, exec, s[38:39]
	s_cbranch_vccnz .LBB34_33
; %bb.32:
	s_load_dwordx2 s[38:39], s[30:31], 0x18
	s_load_dword s37, s[30:31], 0x20
	s_load_dword s42, s[30:31], 0xe0
	s_load_dwordx2 s[40:41], s[30:31], 0xd8
	s_waitcnt lgkmcnt(0)
	v_mul_hi_u32 v3, s39, v1
	v_add_u32_e32 v3, v1, v3
	v_lshrrev_b32_e32 v3, s37, v3
	v_mul_lo_u32 v3, v3, s38
	v_sub_u32_e32 v3, v1, v3
	v_mad_u64_u32 v[0:1], s[30:31], v3, s40, v[0:1]
	v_mad_u64_u32 v[4:5], s[30:31], v3, s41, v[4:5]
	;; [unrolled: 1-line block ×3, first 2 shown]
.LBB34_33:
	s_cbranch_execz .LBB34_35
	s_branch .LBB34_37
.LBB34_34:
                                        ; implicit-def: $vgpr2
                                        ; implicit-def: $vgpr4
                                        ; implicit-def: $vgpr0
.LBB34_35:
	s_waitcnt lgkmcnt(0)
	v_mul_hi_u32 v0, s13, v12
	v_add_u32_e32 v0, v12, v0
	v_lshrrev_b32_e32 v1, s14, v0
	v_mul_lo_u32 v0, v1, s12
	v_sub_u32_e32 v3, v12, v0
	v_mul_lo_u32 v0, v3, s8
	v_mul_lo_u32 v2, v3, s10
	s_andn2_b64 vcc, exec, s[24:25]
	v_mul_lo_u32 v4, v3, s9
	s_cbranch_vccnz .LBB34_37
; %bb.36:
	v_mul_hi_u32 v3, s22, v1
	v_add_u32_e32 v3, v1, v3
	v_lshrrev_b32_e32 v3, s23, v3
	v_mul_lo_u32 v3, v3, s15
	v_sub_u32_e32 v3, v1, v3
	v_mad_u64_u32 v[0:1], s[30:31], v3, s11, v[0:1]
	v_mad_u64_u32 v[4:5], s[30:31], v3, s20, v[4:5]
	;; [unrolled: 1-line block ×3, first 2 shown]
.LBB34_37:
	s_waitcnt lgkmcnt(0)
	global_load_ushort v1, v2, s[18:19]
	global_load_dword v3, v4, s[2:3]
	v_add_u32_e32 v12, 0x80, v12
	s_waitcnt vmcnt(1)
	v_lshlrev_b32_e32 v1, 16, v1
	s_waitcnt vmcnt(0)
	v_mul_f32_e32 v1, v3, v1
	v_cmp_lt_f32_e32 vcc, 0, v3
	v_cndmask_b32_e32 v1, v1, v3, vcc
	global_store_dword v0, v1, s[0:1]
	s_or_b64 exec, exec, s[28:29]
	v_cmp_gt_i32_e32 vcc, s36, v12
	s_and_saveexec_b64 s[28:29], vcc
	s_cbranch_execz .LBB34_49
.LBB34_38:
	s_andn2_b64 vcc, exec, s[6:7]
	s_cbranch_vccnz .LBB34_45
; %bb.39:
	s_andn2_b64 vcc, exec, s[26:27]
	v_mov_b32_e32 v2, 0
	v_mov_b32_e32 v4, 0
	;; [unrolled: 1-line block ×3, first 2 shown]
	s_cbranch_vccnz .LBB34_44
; %bb.40:
	s_add_i32 s26, s35, 1
	s_and_b32 s30, s26, 30
	s_add_u32 s26, s4, 0xffffffec
	s_addc_u32 s27, s5, -1
	v_mov_b32_e32 v0, 0
	v_mov_b32_e32 v1, v12
	;; [unrolled: 1-line block ×4, first 2 shown]
.LBB34_41:                              ; =>This Inner Loop Header: Depth=1
	s_mov_b64 s[44:45], s[26:27]
	s_load_dwordx4 s[36:39], s[44:45], 0x18
	s_load_dwordx2 s[46:47], s[44:45], 0x28
	s_load_dwordx2 s[48:49], s[44:45], 0xe8
	s_load_dwordx4 s[40:43], s[44:45], 0xd8
	s_add_u32 s26, s44, 24
	s_waitcnt lgkmcnt(0)
	v_mul_hi_u32 v3, s37, v1
	v_add_u32_e32 v3, v1, v3
	v_lshrrev_b32_e32 v3, s38, v3
	v_mul_lo_u32 v5, v3, s36
	v_mul_hi_u32 v6, s46, v3
	v_sub_u32_e32 v1, v1, v5
	v_add_u32_e32 v5, v3, v6
	v_mul_lo_u32 v6, v1, s40
	v_mul_lo_u32 v7, v1, s41
	;; [unrolled: 1-line block ×3, first 2 shown]
	v_lshrrev_b32_e32 v1, s47, v5
	v_mul_lo_u32 v5, v1, s39
	v_sub_u32_e32 v3, v3, v5
	s_addc_u32 s27, s45, 0
	s_add_i32 s30, s30, -2
	v_mul_lo_u32 v5, v3, s43
	v_mul_lo_u32 v9, v3, s48
	;; [unrolled: 1-line block ×3, first 2 shown]
	s_cmp_eq_u32 s30, 0
	v_add3_u32 v0, v6, v0, v5
	v_add3_u32 v2, v8, v2, v3
	;; [unrolled: 1-line block ×3, first 2 shown]
	s_cbranch_scc0 .LBB34_41
; %bb.42:
	s_bitcmp1_b32 s35, 0
	s_cselect_b64 s[30:31], -1, 0
	s_and_b64 vcc, exec, s[30:31]
	s_cbranch_vccnz .LBB34_44
; %bb.43:
	s_load_dwordx2 s[30:31], s[26:27], 0x18
	s_load_dword s35, s[26:27], 0x20
	s_load_dword s38, s[26:27], 0xe0
	s_load_dwordx2 s[36:37], s[26:27], 0xd8
	s_waitcnt lgkmcnt(0)
	v_mul_hi_u32 v3, s31, v1
	v_add_u32_e32 v3, v1, v3
	v_lshrrev_b32_e32 v3, s35, v3
	v_mul_lo_u32 v3, v3, s30
	v_sub_u32_e32 v3, v1, v3
	v_mad_u64_u32 v[0:1], s[26:27], v3, s36, v[0:1]
	v_mad_u64_u32 v[4:5], s[26:27], v3, s37, v[4:5]
	;; [unrolled: 1-line block ×3, first 2 shown]
.LBB34_44:
	s_cbranch_execz .LBB34_46
	s_branch .LBB34_48
.LBB34_45:
                                        ; implicit-def: $vgpr2
                                        ; implicit-def: $vgpr4
                                        ; implicit-def: $vgpr0
.LBB34_46:
	s_waitcnt lgkmcnt(0)
	v_mul_hi_u32 v0, s13, v12
	v_add_u32_e32 v0, v12, v0
	v_lshrrev_b32_e32 v1, s14, v0
	v_mul_lo_u32 v0, v1, s12
	v_sub_u32_e32 v3, v12, v0
	v_mul_lo_u32 v0, v3, s8
	v_mul_lo_u32 v2, v3, s10
	s_andn2_b64 vcc, exec, s[24:25]
	v_mul_lo_u32 v4, v3, s9
	s_cbranch_vccnz .LBB34_48
; %bb.47:
	v_mul_hi_u32 v3, s22, v1
	v_add_u32_e32 v3, v1, v3
	v_lshrrev_b32_e32 v3, s23, v3
	v_mul_lo_u32 v3, v3, s15
	v_sub_u32_e32 v3, v1, v3
	v_mad_u64_u32 v[0:1], s[8:9], v3, s11, v[0:1]
	v_mad_u64_u32 v[4:5], s[8:9], v3, s20, v[4:5]
	v_mad_u64_u32 v[2:3], s[8:9], v3, s21, v[2:3]
.LBB34_48:
	s_waitcnt lgkmcnt(0)
	global_load_ushort v1, v2, s[18:19]
	global_load_dword v3, v4, s[2:3]
	s_waitcnt vmcnt(1)
	v_lshlrev_b32_e32 v1, 16, v1
	s_waitcnt vmcnt(0)
	v_mul_f32_e32 v1, v3, v1
	v_cmp_lt_f32_e32 vcc, 0, v3
	v_cndmask_b32_e32 v1, v1, v3, vcc
	global_store_dword v0, v1, s[0:1]
.LBB34_49:
	s_or_b64 exec, exec, s[28:29]
                                        ; implicit-def: $vgpr24
                                        ; implicit-def: $vgpr12
.LBB34_50:
	s_waitcnt lgkmcnt(0)
	s_andn2_saveexec_b64 s[0:1], s[16:17]
	s_cbranch_execz .LBB34_57
; %bb.51:
	v_cndmask_b32_e64 v0, 0, 1, s[6:7]
	v_cmp_ne_u32_e64 s[0:1], 1, v0
	s_andn2_b64 vcc, exec, s[6:7]
	s_cbranch_vccnz .LBB34_58
; %bb.52:
	s_cmp_lg_u32 s33, 0
	v_mov_b32_e32 v2, 0
	v_mov_b32_e32 v4, 0
	v_mov_b32_e32 v0, 0
	s_cbranch_scc0 .LBB34_59
; %bb.53:
	s_min_u32 s6, s34, 15
	s_add_i32 s2, s6, 1
	s_and_b32 s7, s2, 30
	s_add_u32 s2, s4, 0xffffffec
	s_addc_u32 s3, s5, -1
	v_mov_b32_e32 v0, 0
	v_mov_b32_e32 v1, v12
	;; [unrolled: 1-line block ×4, first 2 shown]
.LBB34_54:                              ; =>This Inner Loop Header: Depth=1
	s_mov_b64 s[16:17], s[2:3]
	s_load_dwordx4 s[8:11], s[16:17], 0x18
	s_load_dwordx2 s[18:19], s[16:17], 0x28
	s_load_dwordx2 s[20:21], s[16:17], 0xe8
	s_load_dwordx4 s[12:15], s[16:17], 0xd8
	s_add_u32 s2, s16, 24
	s_waitcnt lgkmcnt(0)
	v_mul_hi_u32 v3, s9, v1
	v_add_u32_e32 v3, v1, v3
	v_lshrrev_b32_e32 v3, s10, v3
	v_mul_lo_u32 v5, v3, s8
	v_mul_hi_u32 v6, s18, v3
	v_sub_u32_e32 v1, v1, v5
	v_add_u32_e32 v5, v3, v6
	v_mul_lo_u32 v6, v1, s12
	v_mul_lo_u32 v7, v1, s13
	;; [unrolled: 1-line block ×3, first 2 shown]
	v_lshrrev_b32_e32 v1, s19, v5
	v_mul_lo_u32 v5, v1, s11
	v_sub_u32_e32 v3, v3, v5
	s_addc_u32 s3, s17, 0
	s_add_i32 s7, s7, -2
	v_mul_lo_u32 v5, v3, s15
	v_mul_lo_u32 v9, v3, s20
	;; [unrolled: 1-line block ×3, first 2 shown]
	s_cmp_lg_u32 s7, 0
	v_add3_u32 v0, v6, v0, v5
	v_add3_u32 v2, v8, v2, v3
	;; [unrolled: 1-line block ×3, first 2 shown]
	s_cbranch_scc1 .LBB34_54
; %bb.55:
	s_bitcmp1_b32 s6, 0
	s_cselect_b64 s[6:7], -1, 0
	s_and_b64 vcc, exec, s[6:7]
	s_cbranch_vccnz .LBB34_59
; %bb.56:
	s_load_dwordx2 s[6:7], s[2:3], 0x18
	s_load_dword s10, s[2:3], 0x20
	s_load_dword s11, s[2:3], 0xe0
	s_load_dwordx2 s[8:9], s[2:3], 0xd8
	s_waitcnt lgkmcnt(0)
	v_mul_hi_u32 v3, s7, v1
	v_add_u32_e32 v3, v1, v3
	v_lshrrev_b32_e32 v3, s10, v3
	v_mul_lo_u32 v3, v3, s6
	v_sub_u32_e32 v3, v1, v3
	v_mad_u64_u32 v[0:1], s[2:3], v3, s8, v[0:1]
	v_mad_u64_u32 v[4:5], s[2:3], v3, s9, v[4:5]
	;; [unrolled: 1-line block ×3, first 2 shown]
	s_cbranch_execz .LBB34_60
	s_branch .LBB34_62
.LBB34_57:
	s_endpgm
.LBB34_58:
                                        ; implicit-def: $vgpr2
                                        ; implicit-def: $vgpr4
                                        ; implicit-def: $vgpr0
	s_branch .LBB34_60
.LBB34_59:
	s_cbranch_execnz .LBB34_62
.LBB34_60:
	s_load_dwordx4 s[8:11], s[4:5], 0x4
	s_load_dwordx4 s[12:15], s[4:5], 0xc4
	s_cmp_lt_u32 s33, 2
	s_waitcnt lgkmcnt(0)
	v_mul_hi_u32 v0, s9, v12
	v_add_u32_e32 v0, v12, v0
	v_lshrrev_b32_e32 v1, s10, v0
	v_mul_lo_u32 v0, v1, s8
	v_sub_u32_e32 v3, v12, v0
	v_mul_lo_u32 v0, v3, s12
	v_mul_lo_u32 v2, v3, s14
	;; [unrolled: 1-line block ×3, first 2 shown]
	s_cbranch_scc1 .LBB34_62
; %bb.61:
	s_load_dwordx4 s[8:11], s[4:5], 0x10
	s_load_dwordx4 s[12:15], s[4:5], 0xd0
	s_waitcnt lgkmcnt(0)
	v_mul_hi_u32 v3, s9, v1
	v_add_u32_e32 v3, v1, v3
	v_lshrrev_b32_e32 v3, s10, v3
	v_mul_lo_u32 v3, v3, s8
	v_sub_u32_e32 v3, v1, v3
	v_mad_u64_u32 v[0:1], s[2:3], v3, s12, v[0:1]
	v_mad_u64_u32 v[4:5], s[2:3], v3, s13, v[4:5]
	;; [unrolled: 1-line block ×3, first 2 shown]
.LBB34_62:
	s_and_b64 vcc, exec, s[0:1]
	v_add_u32_e32 v1, 0x80, v12
	s_cbranch_vccnz .LBB34_68
; %bb.63:
	s_cmp_lg_u32 s33, 0
	v_mov_b32_e32 v10, 0
	v_mov_b32_e32 v8, 0
	;; [unrolled: 1-line block ×3, first 2 shown]
	s_cbranch_scc0 .LBB34_69
; %bb.64:
	s_min_u32 s6, s34, 15
	s_add_i32 s2, s6, 1
	s_and_b32 s7, s2, 30
	s_add_u32 s2, s4, 0xffffffec
	s_addc_u32 s3, s5, -1
	v_mov_b32_e32 v6, 0
	v_mov_b32_e32 v3, v1
	;; [unrolled: 1-line block ×4, first 2 shown]
.LBB34_65:                              ; =>This Inner Loop Header: Depth=1
	s_mov_b64 s[16:17], s[2:3]
	s_load_dwordx4 s[8:11], s[16:17], 0x18
	s_load_dwordx2 s[18:19], s[16:17], 0x28
	s_load_dwordx2 s[20:21], s[16:17], 0xe8
	s_load_dwordx4 s[12:15], s[16:17], 0xd8
	s_add_u32 s2, s16, 24
	s_waitcnt lgkmcnt(0)
	v_mul_hi_u32 v5, s9, v3
	v_add_u32_e32 v5, v3, v5
	v_lshrrev_b32_e32 v5, s10, v5
	v_mul_lo_u32 v7, v5, s8
	v_mul_hi_u32 v9, s18, v5
	v_sub_u32_e32 v3, v3, v7
	v_add_u32_e32 v7, v5, v9
	v_mul_lo_u32 v9, v3, s12
	v_mul_lo_u32 v11, v3, s13
	;; [unrolled: 1-line block ×3, first 2 shown]
	v_lshrrev_b32_e32 v3, s19, v7
	v_mul_lo_u32 v7, v3, s11
	v_sub_u32_e32 v5, v5, v7
	s_addc_u32 s3, s17, 0
	s_add_i32 s7, s7, -2
	v_mul_lo_u32 v7, v5, s15
	v_mul_lo_u32 v14, v5, s20
	;; [unrolled: 1-line block ×3, first 2 shown]
	s_cmp_lg_u32 s7, 0
	v_add3_u32 v6, v9, v6, v7
	v_add3_u32 v10, v13, v10, v5
	;; [unrolled: 1-line block ×3, first 2 shown]
	s_cbranch_scc1 .LBB34_65
; %bb.66:
	s_bitcmp1_b32 s6, 0
	s_cselect_b64 s[6:7], -1, 0
	s_and_b64 vcc, exec, s[6:7]
	s_cbranch_vccnz .LBB34_69
; %bb.67:
	s_load_dwordx2 s[6:7], s[2:3], 0x18
	s_load_dword s10, s[2:3], 0x20
	s_load_dword s11, s[2:3], 0xe0
	s_load_dwordx2 s[8:9], s[2:3], 0xd8
	s_waitcnt lgkmcnt(0)
	v_mul_hi_u32 v5, s7, v3
	v_add_u32_e32 v5, v3, v5
	v_lshrrev_b32_e32 v5, s10, v5
	v_mul_lo_u32 v5, v5, s6
	v_sub_u32_e32 v3, v3, v5
	v_mad_u64_u32 v[6:7], s[2:3], v3, s8, v[6:7]
	v_mad_u64_u32 v[8:9], s[2:3], v3, s9, v[8:9]
	;; [unrolled: 1-line block ×3, first 2 shown]
	s_cbranch_execz .LBB34_70
	s_branch .LBB34_72
.LBB34_68:
                                        ; implicit-def: $vgpr10
                                        ; implicit-def: $vgpr8
                                        ; implicit-def: $vgpr6
	s_branch .LBB34_70
.LBB34_69:
	s_cbranch_execnz .LBB34_72
.LBB34_70:
	s_load_dwordx4 s[8:11], s[4:5], 0x4
	s_load_dwordx4 s[12:15], s[4:5], 0xc4
	s_cmp_lt_u32 s33, 2
	s_waitcnt lgkmcnt(0)
	v_mul_hi_u32 v3, s9, v1
	v_add_u32_e32 v3, v1, v3
	v_lshrrev_b32_e32 v3, s10, v3
	v_mul_lo_u32 v5, v3, s8
	v_sub_u32_e32 v1, v1, v5
	v_mul_lo_u32 v6, v1, s12
	v_mul_lo_u32 v10, v1, s14
	;; [unrolled: 1-line block ×3, first 2 shown]
	s_cbranch_scc1 .LBB34_72
; %bb.71:
	s_load_dwordx4 s[8:11], s[4:5], 0x10
	s_load_dwordx4 s[12:15], s[4:5], 0xd0
	s_waitcnt lgkmcnt(0)
	v_mul_hi_u32 v1, s9, v3
	v_add_u32_e32 v1, v3, v1
	v_lshrrev_b32_e32 v1, s10, v1
	v_mul_lo_u32 v1, v1, s8
	v_sub_u32_e32 v1, v3, v1
	v_mad_u64_u32 v[6:7], s[2:3], v1, s12, v[6:7]
	v_mad_u64_u32 v[8:9], s[2:3], v1, s13, v[8:9]
	;; [unrolled: 1-line block ×3, first 2 shown]
.LBB34_72:
	s_and_b64 vcc, exec, s[0:1]
	v_add_u32_e32 v1, 0x100, v12
	s_cbranch_vccnz .LBB34_78
; %bb.73:
	s_cmp_lg_u32 s33, 0
	v_mov_b32_e32 v14, 0
	v_mov_b32_e32 v16, 0
	;; [unrolled: 1-line block ×3, first 2 shown]
	s_cbranch_scc0 .LBB34_79
; %bb.74:
	s_min_u32 s6, s34, 15
	s_add_i32 s2, s6, 1
	s_and_b32 s7, s2, 30
	s_add_u32 s2, s4, 0xffffffec
	s_addc_u32 s3, s5, -1
	v_mov_b32_e32 v12, 0
	v_mov_b32_e32 v3, v1
	;; [unrolled: 1-line block ×4, first 2 shown]
.LBB34_75:                              ; =>This Inner Loop Header: Depth=1
	s_mov_b64 s[16:17], s[2:3]
	s_load_dwordx4 s[8:11], s[16:17], 0x18
	s_load_dwordx2 s[18:19], s[16:17], 0x28
	s_load_dwordx2 s[20:21], s[16:17], 0xe8
	s_load_dwordx4 s[12:15], s[16:17], 0xd8
	s_add_u32 s2, s16, 24
	s_waitcnt lgkmcnt(0)
	v_mul_hi_u32 v5, s9, v3
	v_add_u32_e32 v5, v3, v5
	v_lshrrev_b32_e32 v5, s10, v5
	v_mul_lo_u32 v7, v5, s8
	v_mul_hi_u32 v9, s18, v5
	v_sub_u32_e32 v3, v3, v7
	v_add_u32_e32 v7, v5, v9
	v_mul_lo_u32 v9, v3, s12
	v_mul_lo_u32 v11, v3, s13
	v_mul_lo_u32 v13, v3, s14
	v_lshrrev_b32_e32 v3, s19, v7
	v_mul_lo_u32 v7, v3, s11
	v_sub_u32_e32 v5, v5, v7
	s_addc_u32 s3, s17, 0
	s_add_i32 s7, s7, -2
	v_mul_lo_u32 v7, v5, s15
	v_mul_lo_u32 v15, v5, s20
	;; [unrolled: 1-line block ×3, first 2 shown]
	s_cmp_lg_u32 s7, 0
	v_add3_u32 v12, v9, v12, v7
	v_add3_u32 v14, v13, v14, v5
	;; [unrolled: 1-line block ×3, first 2 shown]
	s_cbranch_scc1 .LBB34_75
; %bb.76:
	s_bitcmp1_b32 s6, 0
	s_cselect_b64 s[6:7], -1, 0
	s_and_b64 vcc, exec, s[6:7]
	s_cbranch_vccnz .LBB34_79
; %bb.77:
	s_load_dwordx2 s[6:7], s[2:3], 0x18
	s_load_dword s10, s[2:3], 0x20
	s_load_dword s11, s[2:3], 0xe0
	s_load_dwordx2 s[8:9], s[2:3], 0xd8
	s_waitcnt lgkmcnt(0)
	v_mul_hi_u32 v5, s7, v3
	v_add_u32_e32 v5, v3, v5
	v_lshrrev_b32_e32 v5, s10, v5
	v_mul_lo_u32 v5, v5, s6
	v_sub_u32_e32 v3, v3, v5
	v_mad_u64_u32 v[12:13], s[2:3], v3, s8, v[12:13]
	v_mad_u64_u32 v[16:17], s[2:3], v3, s9, v[16:17]
	;; [unrolled: 1-line block ×3, first 2 shown]
	s_cbranch_execz .LBB34_80
	s_branch .LBB34_82
.LBB34_78:
                                        ; implicit-def: $vgpr14
                                        ; implicit-def: $vgpr16
                                        ; implicit-def: $vgpr12
	s_branch .LBB34_80
.LBB34_79:
	s_cbranch_execnz .LBB34_82
.LBB34_80:
	s_load_dwordx4 s[8:11], s[4:5], 0x4
	s_load_dwordx4 s[12:15], s[4:5], 0xc4
	s_cmp_lt_u32 s33, 2
	s_waitcnt lgkmcnt(0)
	v_mul_hi_u32 v3, s9, v1
	v_add_u32_e32 v3, v1, v3
	v_lshrrev_b32_e32 v3, s10, v3
	v_mul_lo_u32 v5, v3, s8
	v_sub_u32_e32 v1, v1, v5
	v_mul_lo_u32 v12, v1, s12
	v_mul_lo_u32 v14, v1, s14
	;; [unrolled: 1-line block ×3, first 2 shown]
	s_cbranch_scc1 .LBB34_82
; %bb.81:
	s_load_dwordx4 s[8:11], s[4:5], 0x10
	s_load_dwordx4 s[12:15], s[4:5], 0xd0
	s_waitcnt lgkmcnt(0)
	v_mul_hi_u32 v1, s9, v3
	v_add_u32_e32 v1, v3, v1
	v_lshrrev_b32_e32 v1, s10, v1
	v_mul_lo_u32 v1, v1, s8
	v_sub_u32_e32 v1, v3, v1
	v_mad_u64_u32 v[12:13], s[2:3], v1, s12, v[12:13]
	v_mad_u64_u32 v[16:17], s[2:3], v1, s13, v[16:17]
	;; [unrolled: 1-line block ×3, first 2 shown]
.LBB34_82:
	s_and_b64 vcc, exec, s[0:1]
	s_cbranch_vccnz .LBB34_88
; %bb.83:
	s_cmp_lg_u32 s33, 0
	v_mov_b32_e32 v20, 0
	v_mov_b32_e32 v22, 0
	;; [unrolled: 1-line block ×3, first 2 shown]
	s_cbranch_scc0 .LBB34_89
; %bb.84:
	s_min_u32 s2, s34, 15
	s_add_i32 s0, s2, 1
	s_and_b32 s3, s0, 30
	s_add_u32 s0, s4, 0xffffffec
	s_addc_u32 s1, s5, -1
	v_mov_b32_e32 v18, 0
	v_mov_b32_e32 v1, v24
	;; [unrolled: 1-line block ×4, first 2 shown]
.LBB34_85:                              ; =>This Inner Loop Header: Depth=1
	s_mov_b64 s[6:7], s[0:1]
	s_load_dwordx4 s[8:11], s[6:7], 0x18
	s_load_dwordx2 s[16:17], s[6:7], 0x28
	s_load_dwordx2 s[18:19], s[6:7], 0xe8
	s_load_dwordx4 s[12:15], s[6:7], 0xd8
	s_add_u32 s0, s6, 24
	s_waitcnt lgkmcnt(0)
	v_mul_hi_u32 v3, s9, v1
	v_add_u32_e32 v3, v1, v3
	v_lshrrev_b32_e32 v3, s10, v3
	v_mul_lo_u32 v5, v3, s8
	v_mul_hi_u32 v7, s16, v3
	v_sub_u32_e32 v1, v1, v5
	v_add_u32_e32 v5, v3, v7
	v_mul_lo_u32 v7, v1, s12
	v_mul_lo_u32 v9, v1, s13
	;; [unrolled: 1-line block ×3, first 2 shown]
	v_lshrrev_b32_e32 v1, s17, v5
	v_mul_lo_u32 v5, v1, s11
	v_sub_u32_e32 v3, v3, v5
	s_addc_u32 s1, s7, 0
	s_add_i32 s3, s3, -2
	v_mul_lo_u32 v5, v3, s15
	v_mul_lo_u32 v13, v3, s18
	v_mul_lo_u32 v3, v3, s19
	s_cmp_lg_u32 s3, 0
	v_add3_u32 v18, v7, v18, v5
	v_add3_u32 v20, v11, v20, v3
	;; [unrolled: 1-line block ×3, first 2 shown]
	s_cbranch_scc1 .LBB34_85
; %bb.86:
	s_bitcmp1_b32 s2, 0
	s_cselect_b64 s[2:3], -1, 0
	s_and_b64 vcc, exec, s[2:3]
	s_cbranch_vccnz .LBB34_89
; %bb.87:
	s_load_dwordx2 s[2:3], s[0:1], 0x18
	s_load_dword s8, s[0:1], 0x20
	s_load_dword s9, s[0:1], 0xe0
	s_load_dwordx2 s[6:7], s[0:1], 0xd8
	s_waitcnt lgkmcnt(0)
	v_mul_hi_u32 v3, s3, v1
	v_add_u32_e32 v3, v1, v3
	v_lshrrev_b32_e32 v3, s8, v3
	v_mul_lo_u32 v3, v3, s2
	v_sub_u32_e32 v1, v1, v3
	v_mad_u64_u32 v[18:19], s[0:1], v1, s6, v[18:19]
	v_mad_u64_u32 v[22:23], s[0:1], v1, s7, v[22:23]
	;; [unrolled: 1-line block ×3, first 2 shown]
	s_cbranch_execz .LBB34_90
	s_branch .LBB34_92
.LBB34_88:
                                        ; implicit-def: $vgpr20
                                        ; implicit-def: $vgpr22
                                        ; implicit-def: $vgpr18
	s_branch .LBB34_90
.LBB34_89:
	s_cbranch_execnz .LBB34_92
.LBB34_90:
	s_load_dwordx4 s[0:3], s[4:5], 0x4
	s_load_dwordx4 s[8:11], s[4:5], 0xc4
	s_cmp_lt_u32 s33, 2
	s_waitcnt lgkmcnt(0)
	v_mul_hi_u32 v1, s1, v24
	v_add_u32_e32 v1, v24, v1
	v_lshrrev_b32_e32 v1, s2, v1
	v_mul_lo_u32 v3, v1, s0
	v_sub_u32_e32 v3, v24, v3
	v_mul_lo_u32 v18, v3, s8
	v_mul_lo_u32 v20, v3, s10
	;; [unrolled: 1-line block ×3, first 2 shown]
	s_cbranch_scc1 .LBB34_92
; %bb.91:
	s_load_dwordx4 s[0:3], s[4:5], 0x10
	s_load_dwordx4 s[8:11], s[4:5], 0xd0
	s_waitcnt lgkmcnt(0)
	v_mul_hi_u32 v3, s1, v1
	v_add_u32_e32 v3, v1, v3
	v_lshrrev_b32_e32 v3, s2, v3
	v_mul_lo_u32 v3, v3, s0
	v_sub_u32_e32 v1, v1, v3
	v_mad_u64_u32 v[18:19], s[0:1], v1, s8, v[18:19]
	v_mad_u64_u32 v[22:23], s[0:1], v1, s9, v[22:23]
	;; [unrolled: 1-line block ×3, first 2 shown]
.LBB34_92:
	s_load_dwordx2 s[6:7], s[4:5], 0x198
	s_load_dwordx4 s[0:3], s[4:5], 0x188
	s_waitcnt lgkmcnt(0)
	global_load_ushort v1, v2, s[6:7]
	global_load_ushort v3, v10, s[6:7]
	;; [unrolled: 1-line block ×4, first 2 shown]
	global_load_dword v9, v4, s[2:3]
	global_load_dword v11, v8, s[2:3]
	;; [unrolled: 1-line block ×4, first 2 shown]
	s_waitcnt vmcnt(7)
	v_lshlrev_b32_e32 v1, 16, v1
	s_waitcnt vmcnt(6)
	v_lshlrev_b32_e32 v2, 16, v3
	;; [unrolled: 2-line block ×4, first 2 shown]
	s_waitcnt vmcnt(3)
	v_mul_f32_e32 v1, v9, v1
	v_cmp_lt_f32_e32 vcc, 0, v9
	s_waitcnt vmcnt(2)
	v_mul_f32_e32 v2, v11, v2
	v_cndmask_b32_e32 v1, v1, v9, vcc
	v_cmp_lt_f32_e32 vcc, 0, v11
	s_waitcnt vmcnt(1)
	v_mul_f32_e32 v3, v13, v3
	v_cndmask_b32_e32 v2, v2, v11, vcc
	;; [unrolled: 4-line block ×3, first 2 shown]
	v_cmp_lt_f32_e32 vcc, 0, v15
	v_cndmask_b32_e32 v4, v4, v15, vcc
	global_store_dword v0, v1, s[0:1]
	global_store_dword v6, v2, s[0:1]
	;; [unrolled: 1-line block ×4, first 2 shown]
	s_endpgm
	.section	.rodata,"a",@progbits
	.p2align	6, 0x0
	.amdhsa_kernel _ZN2at6native32elementwise_kernel_manual_unrollILi128ELi4EZNS0_12_GLOBAL__N_142type_specialized_broadcast_kernel_launcherILi0EE5applyIZZZNS0_12prelu_kernelERNS_14TensorIteratorEENKUlvE_clEvENKUlvE0_clEvEUlffE_St5arrayIPcLm3EESB_IN3c1010ScalarTypeELm3EE16OffsetCalculatorILi3EjLb0EEEEvlT_T0_T1_T2_EUlibE_EEviSL_
		.amdhsa_group_segment_fixed_size 0
		.amdhsa_private_segment_fixed_size 0
		.amdhsa_kernarg_size 432
		.amdhsa_user_sgpr_count 6
		.amdhsa_user_sgpr_private_segment_buffer 1
		.amdhsa_user_sgpr_dispatch_ptr 0
		.amdhsa_user_sgpr_queue_ptr 0
		.amdhsa_user_sgpr_kernarg_segment_ptr 1
		.amdhsa_user_sgpr_dispatch_id 0
		.amdhsa_user_sgpr_flat_scratch_init 0
		.amdhsa_user_sgpr_kernarg_preload_length 0
		.amdhsa_user_sgpr_kernarg_preload_offset 0
		.amdhsa_user_sgpr_private_segment_size 0
		.amdhsa_uses_dynamic_stack 0
		.amdhsa_system_sgpr_private_segment_wavefront_offset 0
		.amdhsa_system_sgpr_workgroup_id_x 1
		.amdhsa_system_sgpr_workgroup_id_y 0
		.amdhsa_system_sgpr_workgroup_id_z 0
		.amdhsa_system_sgpr_workgroup_info 0
		.amdhsa_system_vgpr_workitem_id 0
		.amdhsa_next_free_vgpr 25
		.amdhsa_next_free_sgpr 52
		.amdhsa_accum_offset 28
		.amdhsa_reserve_vcc 1
		.amdhsa_reserve_flat_scratch 0
		.amdhsa_float_round_mode_32 0
		.amdhsa_float_round_mode_16_64 0
		.amdhsa_float_denorm_mode_32 3
		.amdhsa_float_denorm_mode_16_64 3
		.amdhsa_dx10_clamp 1
		.amdhsa_ieee_mode 1
		.amdhsa_fp16_overflow 0
		.amdhsa_tg_split 0
		.amdhsa_exception_fp_ieee_invalid_op 0
		.amdhsa_exception_fp_denorm_src 0
		.amdhsa_exception_fp_ieee_div_zero 0
		.amdhsa_exception_fp_ieee_overflow 0
		.amdhsa_exception_fp_ieee_underflow 0
		.amdhsa_exception_fp_ieee_inexact 0
		.amdhsa_exception_int_div_zero 0
	.end_amdhsa_kernel
	.section	.text._ZN2at6native32elementwise_kernel_manual_unrollILi128ELi4EZNS0_12_GLOBAL__N_142type_specialized_broadcast_kernel_launcherILi0EE5applyIZZZNS0_12prelu_kernelERNS_14TensorIteratorEENKUlvE_clEvENKUlvE0_clEvEUlffE_St5arrayIPcLm3EESB_IN3c1010ScalarTypeELm3EE16OffsetCalculatorILi3EjLb0EEEEvlT_T0_T1_T2_EUlibE_EEviSL_,"axG",@progbits,_ZN2at6native32elementwise_kernel_manual_unrollILi128ELi4EZNS0_12_GLOBAL__N_142type_specialized_broadcast_kernel_launcherILi0EE5applyIZZZNS0_12prelu_kernelERNS_14TensorIteratorEENKUlvE_clEvENKUlvE0_clEvEUlffE_St5arrayIPcLm3EESB_IN3c1010ScalarTypeELm3EE16OffsetCalculatorILi3EjLb0EEEEvlT_T0_T1_T2_EUlibE_EEviSL_,comdat
.Lfunc_end34:
	.size	_ZN2at6native32elementwise_kernel_manual_unrollILi128ELi4EZNS0_12_GLOBAL__N_142type_specialized_broadcast_kernel_launcherILi0EE5applyIZZZNS0_12prelu_kernelERNS_14TensorIteratorEENKUlvE_clEvENKUlvE0_clEvEUlffE_St5arrayIPcLm3EESB_IN3c1010ScalarTypeELm3EE16OffsetCalculatorILi3EjLb0EEEEvlT_T0_T1_T2_EUlibE_EEviSL_, .Lfunc_end34-_ZN2at6native32elementwise_kernel_manual_unrollILi128ELi4EZNS0_12_GLOBAL__N_142type_specialized_broadcast_kernel_launcherILi0EE5applyIZZZNS0_12prelu_kernelERNS_14TensorIteratorEENKUlvE_clEvENKUlvE0_clEvEUlffE_St5arrayIPcLm3EESB_IN3c1010ScalarTypeELm3EE16OffsetCalculatorILi3EjLb0EEEEvlT_T0_T1_T2_EUlibE_EEviSL_
                                        ; -- End function
	.section	.AMDGPU.csdata,"",@progbits
; Kernel info:
; codeLenInByte = 4780
; NumSgprs: 56
; NumVgprs: 25
; NumAgprs: 0
; TotalNumVgprs: 25
; ScratchSize: 0
; MemoryBound: 0
; FloatMode: 240
; IeeeMode: 1
; LDSByteSize: 0 bytes/workgroup (compile time only)
; SGPRBlocks: 6
; VGPRBlocks: 3
; NumSGPRsForWavesPerEU: 56
; NumVGPRsForWavesPerEU: 25
; AccumOffset: 28
; Occupancy: 8
; WaveLimiterHint : 1
; COMPUTE_PGM_RSRC2:SCRATCH_EN: 0
; COMPUTE_PGM_RSRC2:USER_SGPR: 6
; COMPUTE_PGM_RSRC2:TRAP_HANDLER: 0
; COMPUTE_PGM_RSRC2:TGID_X_EN: 1
; COMPUTE_PGM_RSRC2:TGID_Y_EN: 0
; COMPUTE_PGM_RSRC2:TGID_Z_EN: 0
; COMPUTE_PGM_RSRC2:TIDIG_COMP_CNT: 0
; COMPUTE_PGM_RSRC3_GFX90A:ACCUM_OFFSET: 6
; COMPUTE_PGM_RSRC3_GFX90A:TG_SPLIT: 0
	.section	.text._ZN2at6native32elementwise_kernel_manual_unrollILi128ELi4EZNS0_12_GLOBAL__N_142type_specialized_broadcast_kernel_launcherILi1EE5applyIZZZNS0_12prelu_kernelERNS_14TensorIteratorEENKUlvE_clEvENKUlvE0_clEvEUlffE_St5arrayIPcLm3EESB_IN3c1010ScalarTypeELm3EE16OffsetCalculatorILi3EjLb0EEEEvlT_T0_T1_T2_EUlibE_EEviSL_,"axG",@progbits,_ZN2at6native32elementwise_kernel_manual_unrollILi128ELi4EZNS0_12_GLOBAL__N_142type_specialized_broadcast_kernel_launcherILi1EE5applyIZZZNS0_12prelu_kernelERNS_14TensorIteratorEENKUlvE_clEvENKUlvE0_clEvEUlffE_St5arrayIPcLm3EESB_IN3c1010ScalarTypeELm3EE16OffsetCalculatorILi3EjLb0EEEEvlT_T0_T1_T2_EUlibE_EEviSL_,comdat
	.globl	_ZN2at6native32elementwise_kernel_manual_unrollILi128ELi4EZNS0_12_GLOBAL__N_142type_specialized_broadcast_kernel_launcherILi1EE5applyIZZZNS0_12prelu_kernelERNS_14TensorIteratorEENKUlvE_clEvENKUlvE0_clEvEUlffE_St5arrayIPcLm3EESB_IN3c1010ScalarTypeELm3EE16OffsetCalculatorILi3EjLb0EEEEvlT_T0_T1_T2_EUlibE_EEviSL_ ; -- Begin function _ZN2at6native32elementwise_kernel_manual_unrollILi128ELi4EZNS0_12_GLOBAL__N_142type_specialized_broadcast_kernel_launcherILi1EE5applyIZZZNS0_12prelu_kernelERNS_14TensorIteratorEENKUlvE_clEvENKUlvE0_clEvEUlffE_St5arrayIPcLm3EESB_IN3c1010ScalarTypeELm3EE16OffsetCalculatorILi3EjLb0EEEEvlT_T0_T1_T2_EUlibE_EEviSL_
	.p2align	8
	.type	_ZN2at6native32elementwise_kernel_manual_unrollILi128ELi4EZNS0_12_GLOBAL__N_142type_specialized_broadcast_kernel_launcherILi1EE5applyIZZZNS0_12prelu_kernelERNS_14TensorIteratorEENKUlvE_clEvENKUlvE0_clEvEUlffE_St5arrayIPcLm3EESB_IN3c1010ScalarTypeELm3EE16OffsetCalculatorILi3EjLb0EEEEvlT_T0_T1_T2_EUlibE_EEviSL_,@function
_ZN2at6native32elementwise_kernel_manual_unrollILi128ELi4EZNS0_12_GLOBAL__N_142type_specialized_broadcast_kernel_launcherILi1EE5applyIZZZNS0_12prelu_kernelERNS_14TensorIteratorEENKUlvE_clEvENKUlvE0_clEvEUlffE_St5arrayIPcLm3EESB_IN3c1010ScalarTypeELm3EE16OffsetCalculatorILi3EjLb0EEEEvlT_T0_T1_T2_EUlibE_EEviSL_: ; @_ZN2at6native32elementwise_kernel_manual_unrollILi128ELi4EZNS0_12_GLOBAL__N_142type_specialized_broadcast_kernel_launcherILi1EE5applyIZZZNS0_12prelu_kernelERNS_14TensorIteratorEENKUlvE_clEvENKUlvE0_clEvEUlffE_St5arrayIPcLm3EESB_IN3c1010ScalarTypeELm3EE16OffsetCalculatorILi3EjLb0EEEEvlT_T0_T1_T2_EUlibE_EEviSL_
; %bb.0:
	s_load_dword s36, s[4:5], 0x0
	s_load_dword s33, s[4:5], 0x8
	s_or_b32 s4, s4, 8
	v_lshl_or_b32 v12, s6, 9, v0
	v_or_b32_e32 v24, 0x180, v12
	s_waitcnt lgkmcnt(0)
	v_cmp_le_i32_e32 vcc, s36, v24
	s_add_i32 s34, s33, -1
	s_cmp_gt_u32 s34, 1
	s_cselect_b64 s[6:7], -1, 0
	s_and_saveexec_b64 s[0:1], vcc
	s_xor_b64 s[16:17], exec, s[0:1]
	s_cbranch_execz .LBB35_50
; %bb.1:
	s_load_dwordx4 s[12:15], s[4:5], 0x4
	s_load_dwordx2 s[22:23], s[4:5], 0x14
	s_load_dwordx4 s[8:11], s[4:5], 0xc4
	s_load_dwordx2 s[20:21], s[4:5], 0xd4
	s_load_dwordx2 s[18:19], s[4:5], 0x198
	s_load_dwordx4 s[0:3], s[4:5], 0x188
	s_cmp_lg_u32 s33, 0
	s_cselect_b64 s[26:27], -1, 0
	s_min_u32 s35, s34, 15
	s_cmp_gt_u32 s33, 1
	s_cselect_b64 s[24:25], -1, 0
	v_cmp_gt_i32_e32 vcc, s36, v12
	s_and_saveexec_b64 s[28:29], vcc
	s_cbranch_execnz .LBB35_5
; %bb.2:
	s_or_b64 exec, exec, s[28:29]
	v_cmp_gt_i32_e32 vcc, s36, v12
	s_and_saveexec_b64 s[28:29], vcc
	s_cbranch_execnz .LBB35_16
.LBB35_3:
	s_or_b64 exec, exec, s[28:29]
	v_cmp_gt_i32_e32 vcc, s36, v12
	s_and_saveexec_b64 s[28:29], vcc
	s_cbranch_execnz .LBB35_27
.LBB35_4:
	s_or_b64 exec, exec, s[28:29]
	v_cmp_gt_i32_e32 vcc, s36, v12
	s_and_saveexec_b64 s[28:29], vcc
	s_cbranch_execnz .LBB35_38
	s_branch .LBB35_49
.LBB35_5:
	s_andn2_b64 vcc, exec, s[6:7]
	s_cbranch_vccnz .LBB35_12
; %bb.6:
	s_andn2_b64 vcc, exec, s[26:27]
	v_mov_b32_e32 v2, 0
	v_mov_b32_e32 v4, 0
	;; [unrolled: 1-line block ×3, first 2 shown]
	s_cbranch_vccnz .LBB35_11
; %bb.7:
	s_add_i32 s30, s35, 1
	s_and_b32 s37, s30, 30
	s_add_u32 s30, s4, 0xffffffec
	s_addc_u32 s31, s5, -1
	v_mov_b32_e32 v0, 0
	v_mov_b32_e32 v1, v12
	v_mov_b32_e32 v4, 0
	v_mov_b32_e32 v2, 0
.LBB35_8:                               ; =>This Inner Loop Header: Depth=1
	s_mov_b64 s[38:39], s[30:31]
	s_load_dwordx4 s[40:43], s[38:39], 0x18
	s_load_dwordx2 s[48:49], s[38:39], 0x28
	s_load_dwordx2 s[50:51], s[38:39], 0xe8
	s_load_dwordx4 s[44:47], s[38:39], 0xd8
	s_add_u32 s30, s38, 24
	s_waitcnt lgkmcnt(0)
	v_mul_hi_u32 v3, s41, v1
	v_add_u32_e32 v3, v1, v3
	v_lshrrev_b32_e32 v3, s42, v3
	v_mul_lo_u32 v5, v3, s40
	v_mul_hi_u32 v6, s48, v3
	v_sub_u32_e32 v1, v1, v5
	v_add_u32_e32 v5, v3, v6
	v_mul_lo_u32 v6, v1, s44
	v_mul_lo_u32 v7, v1, s45
	;; [unrolled: 1-line block ×3, first 2 shown]
	v_lshrrev_b32_e32 v1, s49, v5
	v_mul_lo_u32 v5, v1, s43
	v_sub_u32_e32 v3, v3, v5
	s_addc_u32 s31, s39, 0
	s_add_i32 s37, s37, -2
	v_mul_lo_u32 v5, v3, s47
	v_mul_lo_u32 v9, v3, s50
	;; [unrolled: 1-line block ×3, first 2 shown]
	s_cmp_lg_u32 s37, 0
	v_add3_u32 v0, v6, v0, v5
	v_add3_u32 v2, v8, v2, v3
	v_add3_u32 v4, v7, v4, v9
	s_cbranch_scc1 .LBB35_8
; %bb.9:
	s_bitcmp1_b32 s35, 0
	s_cselect_b64 s[38:39], -1, 0
	s_and_b64 vcc, exec, s[38:39]
	s_cbranch_vccnz .LBB35_11
; %bb.10:
	s_load_dwordx2 s[38:39], s[30:31], 0x18
	s_load_dword s37, s[30:31], 0x20
	s_load_dword s42, s[30:31], 0xe0
	s_load_dwordx2 s[40:41], s[30:31], 0xd8
	s_waitcnt lgkmcnt(0)
	v_mul_hi_u32 v3, s39, v1
	v_add_u32_e32 v3, v1, v3
	v_lshrrev_b32_e32 v3, s37, v3
	v_mul_lo_u32 v3, v3, s38
	v_sub_u32_e32 v3, v1, v3
	v_mad_u64_u32 v[0:1], s[30:31], v3, s40, v[0:1]
	v_mad_u64_u32 v[4:5], s[30:31], v3, s41, v[4:5]
	v_mad_u64_u32 v[2:3], s[30:31], v3, s42, v[2:3]
.LBB35_11:
	s_cbranch_execz .LBB35_13
	s_branch .LBB35_15
.LBB35_12:
                                        ; implicit-def: $vgpr2
                                        ; implicit-def: $vgpr4
                                        ; implicit-def: $vgpr0
.LBB35_13:
	s_waitcnt lgkmcnt(0)
	v_mul_hi_u32 v0, s13, v12
	v_add_u32_e32 v0, v12, v0
	v_lshrrev_b32_e32 v1, s14, v0
	v_mul_lo_u32 v0, v1, s12
	v_sub_u32_e32 v3, v12, v0
	v_mul_lo_u32 v0, v3, s8
	v_mul_lo_u32 v2, v3, s10
	s_andn2_b64 vcc, exec, s[24:25]
	v_mul_lo_u32 v4, v3, s9
	s_cbranch_vccnz .LBB35_15
; %bb.14:
	v_mul_hi_u32 v3, s22, v1
	v_add_u32_e32 v3, v1, v3
	v_lshrrev_b32_e32 v3, s23, v3
	v_mul_lo_u32 v3, v3, s15
	v_sub_u32_e32 v3, v1, v3
	v_mad_u64_u32 v[0:1], s[30:31], v3, s11, v[0:1]
	v_mad_u64_u32 v[4:5], s[30:31], v3, s20, v[4:5]
	;; [unrolled: 1-line block ×3, first 2 shown]
.LBB35_15:
	s_waitcnt lgkmcnt(0)
	global_load_ushort v1, v4, s[2:3]
	global_load_dword v3, v2, s[18:19]
	v_add_u32_e32 v12, 0x80, v12
	s_waitcnt vmcnt(1)
	v_lshlrev_b32_e32 v1, 16, v1
	s_waitcnt vmcnt(0)
	v_mul_f32_e32 v2, v3, v1
	v_cmp_lt_f32_e32 vcc, 0, v1
	v_cndmask_b32_e32 v1, v2, v1, vcc
	global_store_dword v0, v1, s[0:1]
	s_or_b64 exec, exec, s[28:29]
	v_cmp_gt_i32_e32 vcc, s36, v12
	s_and_saveexec_b64 s[28:29], vcc
	s_cbranch_execz .LBB35_3
.LBB35_16:
	s_andn2_b64 vcc, exec, s[6:7]
	s_cbranch_vccnz .LBB35_23
; %bb.17:
	s_andn2_b64 vcc, exec, s[26:27]
	v_mov_b32_e32 v2, 0
	v_mov_b32_e32 v4, 0
	;; [unrolled: 1-line block ×3, first 2 shown]
	s_cbranch_vccnz .LBB35_22
; %bb.18:
	s_add_i32 s30, s35, 1
	s_and_b32 s37, s30, 30
	s_add_u32 s30, s4, 0xffffffec
	s_addc_u32 s31, s5, -1
	v_mov_b32_e32 v0, 0
	v_mov_b32_e32 v1, v12
	;; [unrolled: 1-line block ×4, first 2 shown]
.LBB35_19:                              ; =>This Inner Loop Header: Depth=1
	s_mov_b64 s[38:39], s[30:31]
	s_load_dwordx4 s[40:43], s[38:39], 0x18
	s_load_dwordx2 s[48:49], s[38:39], 0x28
	s_load_dwordx2 s[50:51], s[38:39], 0xe8
	s_load_dwordx4 s[44:47], s[38:39], 0xd8
	s_add_u32 s30, s38, 24
	s_waitcnt lgkmcnt(0)
	v_mul_hi_u32 v3, s41, v1
	v_add_u32_e32 v3, v1, v3
	v_lshrrev_b32_e32 v3, s42, v3
	v_mul_lo_u32 v5, v3, s40
	v_mul_hi_u32 v6, s48, v3
	v_sub_u32_e32 v1, v1, v5
	v_add_u32_e32 v5, v3, v6
	v_mul_lo_u32 v6, v1, s44
	v_mul_lo_u32 v7, v1, s45
	;; [unrolled: 1-line block ×3, first 2 shown]
	v_lshrrev_b32_e32 v1, s49, v5
	v_mul_lo_u32 v5, v1, s43
	v_sub_u32_e32 v3, v3, v5
	s_addc_u32 s31, s39, 0
	s_add_i32 s37, s37, -2
	v_mul_lo_u32 v5, v3, s47
	v_mul_lo_u32 v9, v3, s50
	;; [unrolled: 1-line block ×3, first 2 shown]
	s_cmp_eq_u32 s37, 0
	v_add3_u32 v0, v6, v0, v5
	v_add3_u32 v2, v8, v2, v3
	;; [unrolled: 1-line block ×3, first 2 shown]
	s_cbranch_scc0 .LBB35_19
; %bb.20:
	s_bitcmp1_b32 s35, 0
	s_cselect_b64 s[38:39], -1, 0
	s_and_b64 vcc, exec, s[38:39]
	s_cbranch_vccnz .LBB35_22
; %bb.21:
	s_load_dwordx2 s[38:39], s[30:31], 0x18
	s_load_dword s37, s[30:31], 0x20
	s_load_dword s42, s[30:31], 0xe0
	s_load_dwordx2 s[40:41], s[30:31], 0xd8
	s_waitcnt lgkmcnt(0)
	v_mul_hi_u32 v3, s39, v1
	v_add_u32_e32 v3, v1, v3
	v_lshrrev_b32_e32 v3, s37, v3
	v_mul_lo_u32 v3, v3, s38
	v_sub_u32_e32 v3, v1, v3
	v_mad_u64_u32 v[0:1], s[30:31], v3, s40, v[0:1]
	v_mad_u64_u32 v[4:5], s[30:31], v3, s41, v[4:5]
	v_mad_u64_u32 v[2:3], s[30:31], v3, s42, v[2:3]
.LBB35_22:
	s_cbranch_execz .LBB35_24
	s_branch .LBB35_26
.LBB35_23:
                                        ; implicit-def: $vgpr2
                                        ; implicit-def: $vgpr4
                                        ; implicit-def: $vgpr0
.LBB35_24:
	s_waitcnt lgkmcnt(0)
	v_mul_hi_u32 v0, s13, v12
	v_add_u32_e32 v0, v12, v0
	v_lshrrev_b32_e32 v1, s14, v0
	v_mul_lo_u32 v0, v1, s12
	v_sub_u32_e32 v3, v12, v0
	v_mul_lo_u32 v0, v3, s8
	v_mul_lo_u32 v2, v3, s10
	s_andn2_b64 vcc, exec, s[24:25]
	v_mul_lo_u32 v4, v3, s9
	s_cbranch_vccnz .LBB35_26
; %bb.25:
	v_mul_hi_u32 v3, s22, v1
	v_add_u32_e32 v3, v1, v3
	v_lshrrev_b32_e32 v3, s23, v3
	v_mul_lo_u32 v3, v3, s15
	v_sub_u32_e32 v3, v1, v3
	v_mad_u64_u32 v[0:1], s[30:31], v3, s11, v[0:1]
	v_mad_u64_u32 v[4:5], s[30:31], v3, s20, v[4:5]
	;; [unrolled: 1-line block ×3, first 2 shown]
.LBB35_26:
	s_waitcnt lgkmcnt(0)
	global_load_ushort v1, v4, s[2:3]
	global_load_dword v3, v2, s[18:19]
	v_add_u32_e32 v12, 0x80, v12
	s_waitcnt vmcnt(1)
	v_lshlrev_b32_e32 v1, 16, v1
	s_waitcnt vmcnt(0)
	v_mul_f32_e32 v2, v3, v1
	v_cmp_lt_f32_e32 vcc, 0, v1
	v_cndmask_b32_e32 v1, v2, v1, vcc
	global_store_dword v0, v1, s[0:1]
	s_or_b64 exec, exec, s[28:29]
	v_cmp_gt_i32_e32 vcc, s36, v12
	s_and_saveexec_b64 s[28:29], vcc
	s_cbranch_execz .LBB35_4
.LBB35_27:
	s_andn2_b64 vcc, exec, s[6:7]
	s_cbranch_vccnz .LBB35_34
; %bb.28:
	s_andn2_b64 vcc, exec, s[26:27]
	v_mov_b32_e32 v2, 0
	v_mov_b32_e32 v4, 0
	;; [unrolled: 1-line block ×3, first 2 shown]
	s_cbranch_vccnz .LBB35_33
; %bb.29:
	s_add_i32 s30, s35, 1
	s_and_b32 s37, s30, 30
	s_add_u32 s30, s4, 0xffffffec
	s_addc_u32 s31, s5, -1
	v_mov_b32_e32 v0, 0
	v_mov_b32_e32 v1, v12
	;; [unrolled: 1-line block ×4, first 2 shown]
.LBB35_30:                              ; =>This Inner Loop Header: Depth=1
	s_mov_b64 s[38:39], s[30:31]
	s_load_dwordx4 s[40:43], s[38:39], 0x18
	s_load_dwordx2 s[48:49], s[38:39], 0x28
	s_load_dwordx2 s[50:51], s[38:39], 0xe8
	s_load_dwordx4 s[44:47], s[38:39], 0xd8
	s_add_u32 s30, s38, 24
	s_waitcnt lgkmcnt(0)
	v_mul_hi_u32 v3, s41, v1
	v_add_u32_e32 v3, v1, v3
	v_lshrrev_b32_e32 v3, s42, v3
	v_mul_lo_u32 v5, v3, s40
	v_mul_hi_u32 v6, s48, v3
	v_sub_u32_e32 v1, v1, v5
	v_add_u32_e32 v5, v3, v6
	v_mul_lo_u32 v6, v1, s44
	v_mul_lo_u32 v7, v1, s45
	;; [unrolled: 1-line block ×3, first 2 shown]
	v_lshrrev_b32_e32 v1, s49, v5
	v_mul_lo_u32 v5, v1, s43
	v_sub_u32_e32 v3, v3, v5
	s_addc_u32 s31, s39, 0
	s_add_i32 s37, s37, -2
	v_mul_lo_u32 v5, v3, s47
	v_mul_lo_u32 v9, v3, s50
	;; [unrolled: 1-line block ×3, first 2 shown]
	s_cmp_eq_u32 s37, 0
	v_add3_u32 v0, v6, v0, v5
	v_add3_u32 v2, v8, v2, v3
	;; [unrolled: 1-line block ×3, first 2 shown]
	s_cbranch_scc0 .LBB35_30
; %bb.31:
	s_bitcmp1_b32 s35, 0
	s_cselect_b64 s[38:39], -1, 0
	s_and_b64 vcc, exec, s[38:39]
	s_cbranch_vccnz .LBB35_33
; %bb.32:
	s_load_dwordx2 s[38:39], s[30:31], 0x18
	s_load_dword s37, s[30:31], 0x20
	s_load_dword s42, s[30:31], 0xe0
	s_load_dwordx2 s[40:41], s[30:31], 0xd8
	s_waitcnt lgkmcnt(0)
	v_mul_hi_u32 v3, s39, v1
	v_add_u32_e32 v3, v1, v3
	v_lshrrev_b32_e32 v3, s37, v3
	v_mul_lo_u32 v3, v3, s38
	v_sub_u32_e32 v3, v1, v3
	v_mad_u64_u32 v[0:1], s[30:31], v3, s40, v[0:1]
	v_mad_u64_u32 v[4:5], s[30:31], v3, s41, v[4:5]
	;; [unrolled: 1-line block ×3, first 2 shown]
.LBB35_33:
	s_cbranch_execz .LBB35_35
	s_branch .LBB35_37
.LBB35_34:
                                        ; implicit-def: $vgpr2
                                        ; implicit-def: $vgpr4
                                        ; implicit-def: $vgpr0
.LBB35_35:
	s_waitcnt lgkmcnt(0)
	v_mul_hi_u32 v0, s13, v12
	v_add_u32_e32 v0, v12, v0
	v_lshrrev_b32_e32 v1, s14, v0
	v_mul_lo_u32 v0, v1, s12
	v_sub_u32_e32 v3, v12, v0
	v_mul_lo_u32 v0, v3, s8
	v_mul_lo_u32 v2, v3, s10
	s_andn2_b64 vcc, exec, s[24:25]
	v_mul_lo_u32 v4, v3, s9
	s_cbranch_vccnz .LBB35_37
; %bb.36:
	v_mul_hi_u32 v3, s22, v1
	v_add_u32_e32 v3, v1, v3
	v_lshrrev_b32_e32 v3, s23, v3
	v_mul_lo_u32 v3, v3, s15
	v_sub_u32_e32 v3, v1, v3
	v_mad_u64_u32 v[0:1], s[30:31], v3, s11, v[0:1]
	v_mad_u64_u32 v[4:5], s[30:31], v3, s20, v[4:5]
	;; [unrolled: 1-line block ×3, first 2 shown]
.LBB35_37:
	s_waitcnt lgkmcnt(0)
	global_load_ushort v1, v4, s[2:3]
	global_load_dword v3, v2, s[18:19]
	v_add_u32_e32 v12, 0x80, v12
	s_waitcnt vmcnt(1)
	v_lshlrev_b32_e32 v1, 16, v1
	s_waitcnt vmcnt(0)
	v_mul_f32_e32 v2, v3, v1
	v_cmp_lt_f32_e32 vcc, 0, v1
	v_cndmask_b32_e32 v1, v2, v1, vcc
	global_store_dword v0, v1, s[0:1]
	s_or_b64 exec, exec, s[28:29]
	v_cmp_gt_i32_e32 vcc, s36, v12
	s_and_saveexec_b64 s[28:29], vcc
	s_cbranch_execz .LBB35_49
.LBB35_38:
	s_andn2_b64 vcc, exec, s[6:7]
	s_cbranch_vccnz .LBB35_45
; %bb.39:
	s_andn2_b64 vcc, exec, s[26:27]
	v_mov_b32_e32 v2, 0
	v_mov_b32_e32 v4, 0
	v_mov_b32_e32 v0, 0
	s_cbranch_vccnz .LBB35_44
; %bb.40:
	s_add_i32 s26, s35, 1
	s_and_b32 s30, s26, 30
	s_add_u32 s26, s4, 0xffffffec
	s_addc_u32 s27, s5, -1
	v_mov_b32_e32 v0, 0
	v_mov_b32_e32 v1, v12
	;; [unrolled: 1-line block ×4, first 2 shown]
.LBB35_41:                              ; =>This Inner Loop Header: Depth=1
	s_mov_b64 s[44:45], s[26:27]
	s_load_dwordx4 s[36:39], s[44:45], 0x18
	s_load_dwordx2 s[46:47], s[44:45], 0x28
	s_load_dwordx2 s[48:49], s[44:45], 0xe8
	s_load_dwordx4 s[40:43], s[44:45], 0xd8
	s_add_u32 s26, s44, 24
	s_waitcnt lgkmcnt(0)
	v_mul_hi_u32 v3, s37, v1
	v_add_u32_e32 v3, v1, v3
	v_lshrrev_b32_e32 v3, s38, v3
	v_mul_lo_u32 v5, v3, s36
	v_mul_hi_u32 v6, s46, v3
	v_sub_u32_e32 v1, v1, v5
	v_add_u32_e32 v5, v3, v6
	v_mul_lo_u32 v6, v1, s40
	v_mul_lo_u32 v7, v1, s41
	;; [unrolled: 1-line block ×3, first 2 shown]
	v_lshrrev_b32_e32 v1, s47, v5
	v_mul_lo_u32 v5, v1, s39
	v_sub_u32_e32 v3, v3, v5
	s_addc_u32 s27, s45, 0
	s_add_i32 s30, s30, -2
	v_mul_lo_u32 v5, v3, s43
	v_mul_lo_u32 v9, v3, s48
	v_mul_lo_u32 v3, v3, s49
	s_cmp_eq_u32 s30, 0
	v_add3_u32 v0, v6, v0, v5
	v_add3_u32 v2, v8, v2, v3
	;; [unrolled: 1-line block ×3, first 2 shown]
	s_cbranch_scc0 .LBB35_41
; %bb.42:
	s_bitcmp1_b32 s35, 0
	s_cselect_b64 s[30:31], -1, 0
	s_and_b64 vcc, exec, s[30:31]
	s_cbranch_vccnz .LBB35_44
; %bb.43:
	s_load_dwordx2 s[30:31], s[26:27], 0x18
	s_load_dword s35, s[26:27], 0x20
	s_load_dword s38, s[26:27], 0xe0
	s_load_dwordx2 s[36:37], s[26:27], 0xd8
	s_waitcnt lgkmcnt(0)
	v_mul_hi_u32 v3, s31, v1
	v_add_u32_e32 v3, v1, v3
	v_lshrrev_b32_e32 v3, s35, v3
	v_mul_lo_u32 v3, v3, s30
	v_sub_u32_e32 v3, v1, v3
	v_mad_u64_u32 v[0:1], s[26:27], v3, s36, v[0:1]
	v_mad_u64_u32 v[4:5], s[26:27], v3, s37, v[4:5]
	;; [unrolled: 1-line block ×3, first 2 shown]
.LBB35_44:
	s_cbranch_execz .LBB35_46
	s_branch .LBB35_48
.LBB35_45:
                                        ; implicit-def: $vgpr2
                                        ; implicit-def: $vgpr4
                                        ; implicit-def: $vgpr0
.LBB35_46:
	s_waitcnt lgkmcnt(0)
	v_mul_hi_u32 v0, s13, v12
	v_add_u32_e32 v0, v12, v0
	v_lshrrev_b32_e32 v1, s14, v0
	v_mul_lo_u32 v0, v1, s12
	v_sub_u32_e32 v3, v12, v0
	v_mul_lo_u32 v0, v3, s8
	v_mul_lo_u32 v2, v3, s10
	s_andn2_b64 vcc, exec, s[24:25]
	v_mul_lo_u32 v4, v3, s9
	s_cbranch_vccnz .LBB35_48
; %bb.47:
	v_mul_hi_u32 v3, s22, v1
	v_add_u32_e32 v3, v1, v3
	v_lshrrev_b32_e32 v3, s23, v3
	v_mul_lo_u32 v3, v3, s15
	v_sub_u32_e32 v3, v1, v3
	v_mad_u64_u32 v[0:1], s[8:9], v3, s11, v[0:1]
	v_mad_u64_u32 v[4:5], s[8:9], v3, s20, v[4:5]
	;; [unrolled: 1-line block ×3, first 2 shown]
.LBB35_48:
	s_waitcnt lgkmcnt(0)
	global_load_ushort v1, v4, s[2:3]
	global_load_dword v3, v2, s[18:19]
	s_waitcnt vmcnt(1)
	v_lshlrev_b32_e32 v1, 16, v1
	s_waitcnt vmcnt(0)
	v_mul_f32_e32 v2, v3, v1
	v_cmp_lt_f32_e32 vcc, 0, v1
	v_cndmask_b32_e32 v1, v2, v1, vcc
	global_store_dword v0, v1, s[0:1]
.LBB35_49:
	s_or_b64 exec, exec, s[28:29]
                                        ; implicit-def: $vgpr24
                                        ; implicit-def: $vgpr12
.LBB35_50:
	s_waitcnt lgkmcnt(0)
	s_andn2_saveexec_b64 s[0:1], s[16:17]
	s_cbranch_execz .LBB35_57
; %bb.51:
	v_cndmask_b32_e64 v0, 0, 1, s[6:7]
	v_cmp_ne_u32_e64 s[0:1], 1, v0
	s_andn2_b64 vcc, exec, s[6:7]
	s_cbranch_vccnz .LBB35_58
; %bb.52:
	s_cmp_lg_u32 s33, 0
	v_mov_b32_e32 v2, 0
	v_mov_b32_e32 v4, 0
	;; [unrolled: 1-line block ×3, first 2 shown]
	s_cbranch_scc0 .LBB35_59
; %bb.53:
	s_min_u32 s6, s34, 15
	s_add_i32 s2, s6, 1
	s_and_b32 s7, s2, 30
	s_add_u32 s2, s4, 0xffffffec
	s_addc_u32 s3, s5, -1
	v_mov_b32_e32 v0, 0
	v_mov_b32_e32 v1, v12
	;; [unrolled: 1-line block ×4, first 2 shown]
.LBB35_54:                              ; =>This Inner Loop Header: Depth=1
	s_mov_b64 s[16:17], s[2:3]
	s_load_dwordx4 s[8:11], s[16:17], 0x18
	s_load_dwordx2 s[18:19], s[16:17], 0x28
	s_load_dwordx2 s[20:21], s[16:17], 0xe8
	s_load_dwordx4 s[12:15], s[16:17], 0xd8
	s_add_u32 s2, s16, 24
	s_waitcnt lgkmcnt(0)
	v_mul_hi_u32 v3, s9, v1
	v_add_u32_e32 v3, v1, v3
	v_lshrrev_b32_e32 v3, s10, v3
	v_mul_lo_u32 v5, v3, s8
	v_mul_hi_u32 v6, s18, v3
	v_sub_u32_e32 v1, v1, v5
	v_add_u32_e32 v5, v3, v6
	v_mul_lo_u32 v6, v1, s12
	v_mul_lo_u32 v7, v1, s13
	;; [unrolled: 1-line block ×3, first 2 shown]
	v_lshrrev_b32_e32 v1, s19, v5
	v_mul_lo_u32 v5, v1, s11
	v_sub_u32_e32 v3, v3, v5
	s_addc_u32 s3, s17, 0
	s_add_i32 s7, s7, -2
	v_mul_lo_u32 v5, v3, s15
	v_mul_lo_u32 v9, v3, s20
	;; [unrolled: 1-line block ×3, first 2 shown]
	s_cmp_lg_u32 s7, 0
	v_add3_u32 v0, v6, v0, v5
	v_add3_u32 v2, v8, v2, v3
	;; [unrolled: 1-line block ×3, first 2 shown]
	s_cbranch_scc1 .LBB35_54
; %bb.55:
	s_bitcmp1_b32 s6, 0
	s_cselect_b64 s[6:7], -1, 0
	s_and_b64 vcc, exec, s[6:7]
	s_cbranch_vccnz .LBB35_59
; %bb.56:
	s_load_dwordx2 s[6:7], s[2:3], 0x18
	s_load_dword s10, s[2:3], 0x20
	s_load_dword s11, s[2:3], 0xe0
	s_load_dwordx2 s[8:9], s[2:3], 0xd8
	s_waitcnt lgkmcnt(0)
	v_mul_hi_u32 v3, s7, v1
	v_add_u32_e32 v3, v1, v3
	v_lshrrev_b32_e32 v3, s10, v3
	v_mul_lo_u32 v3, v3, s6
	v_sub_u32_e32 v3, v1, v3
	v_mad_u64_u32 v[0:1], s[2:3], v3, s8, v[0:1]
	v_mad_u64_u32 v[4:5], s[2:3], v3, s9, v[4:5]
	;; [unrolled: 1-line block ×3, first 2 shown]
	s_cbranch_execz .LBB35_60
	s_branch .LBB35_62
.LBB35_57:
	s_endpgm
.LBB35_58:
                                        ; implicit-def: $vgpr2
                                        ; implicit-def: $vgpr4
                                        ; implicit-def: $vgpr0
	s_branch .LBB35_60
.LBB35_59:
	s_cbranch_execnz .LBB35_62
.LBB35_60:
	s_load_dwordx4 s[8:11], s[4:5], 0x4
	s_load_dwordx4 s[12:15], s[4:5], 0xc4
	s_cmp_lt_u32 s33, 2
	s_waitcnt lgkmcnt(0)
	v_mul_hi_u32 v0, s9, v12
	v_add_u32_e32 v0, v12, v0
	v_lshrrev_b32_e32 v1, s10, v0
	v_mul_lo_u32 v0, v1, s8
	v_sub_u32_e32 v3, v12, v0
	v_mul_lo_u32 v0, v3, s12
	v_mul_lo_u32 v2, v3, s14
	;; [unrolled: 1-line block ×3, first 2 shown]
	s_cbranch_scc1 .LBB35_62
; %bb.61:
	s_load_dwordx4 s[8:11], s[4:5], 0x10
	s_load_dwordx4 s[12:15], s[4:5], 0xd0
	s_waitcnt lgkmcnt(0)
	v_mul_hi_u32 v3, s9, v1
	v_add_u32_e32 v3, v1, v3
	v_lshrrev_b32_e32 v3, s10, v3
	v_mul_lo_u32 v3, v3, s8
	v_sub_u32_e32 v3, v1, v3
	v_mad_u64_u32 v[0:1], s[2:3], v3, s12, v[0:1]
	v_mad_u64_u32 v[4:5], s[2:3], v3, s13, v[4:5]
	;; [unrolled: 1-line block ×3, first 2 shown]
.LBB35_62:
	s_and_b64 vcc, exec, s[0:1]
	v_add_u32_e32 v1, 0x80, v12
	s_cbranch_vccnz .LBB35_68
; %bb.63:
	s_cmp_lg_u32 s33, 0
	v_mov_b32_e32 v10, 0
	v_mov_b32_e32 v8, 0
	;; [unrolled: 1-line block ×3, first 2 shown]
	s_cbranch_scc0 .LBB35_69
; %bb.64:
	s_min_u32 s6, s34, 15
	s_add_i32 s2, s6, 1
	s_and_b32 s7, s2, 30
	s_add_u32 s2, s4, 0xffffffec
	s_addc_u32 s3, s5, -1
	v_mov_b32_e32 v6, 0
	v_mov_b32_e32 v3, v1
	;; [unrolled: 1-line block ×4, first 2 shown]
.LBB35_65:                              ; =>This Inner Loop Header: Depth=1
	s_mov_b64 s[16:17], s[2:3]
	s_load_dwordx4 s[8:11], s[16:17], 0x18
	s_load_dwordx2 s[18:19], s[16:17], 0x28
	s_load_dwordx2 s[20:21], s[16:17], 0xe8
	s_load_dwordx4 s[12:15], s[16:17], 0xd8
	s_add_u32 s2, s16, 24
	s_waitcnt lgkmcnt(0)
	v_mul_hi_u32 v5, s9, v3
	v_add_u32_e32 v5, v3, v5
	v_lshrrev_b32_e32 v5, s10, v5
	v_mul_lo_u32 v7, v5, s8
	v_mul_hi_u32 v9, s18, v5
	v_sub_u32_e32 v3, v3, v7
	v_add_u32_e32 v7, v5, v9
	v_mul_lo_u32 v9, v3, s12
	v_mul_lo_u32 v11, v3, s13
	;; [unrolled: 1-line block ×3, first 2 shown]
	v_lshrrev_b32_e32 v3, s19, v7
	v_mul_lo_u32 v7, v3, s11
	v_sub_u32_e32 v5, v5, v7
	s_addc_u32 s3, s17, 0
	s_add_i32 s7, s7, -2
	v_mul_lo_u32 v7, v5, s15
	v_mul_lo_u32 v14, v5, s20
	;; [unrolled: 1-line block ×3, first 2 shown]
	s_cmp_lg_u32 s7, 0
	v_add3_u32 v6, v9, v6, v7
	v_add3_u32 v10, v13, v10, v5
	;; [unrolled: 1-line block ×3, first 2 shown]
	s_cbranch_scc1 .LBB35_65
; %bb.66:
	s_bitcmp1_b32 s6, 0
	s_cselect_b64 s[6:7], -1, 0
	s_and_b64 vcc, exec, s[6:7]
	s_cbranch_vccnz .LBB35_69
; %bb.67:
	s_load_dwordx2 s[6:7], s[2:3], 0x18
	s_load_dword s10, s[2:3], 0x20
	s_load_dword s11, s[2:3], 0xe0
	s_load_dwordx2 s[8:9], s[2:3], 0xd8
	s_waitcnt lgkmcnt(0)
	v_mul_hi_u32 v5, s7, v3
	v_add_u32_e32 v5, v3, v5
	v_lshrrev_b32_e32 v5, s10, v5
	v_mul_lo_u32 v5, v5, s6
	v_sub_u32_e32 v3, v3, v5
	v_mad_u64_u32 v[6:7], s[2:3], v3, s8, v[6:7]
	v_mad_u64_u32 v[8:9], s[2:3], v3, s9, v[8:9]
	;; [unrolled: 1-line block ×3, first 2 shown]
	s_cbranch_execz .LBB35_70
	s_branch .LBB35_72
.LBB35_68:
                                        ; implicit-def: $vgpr10
                                        ; implicit-def: $vgpr8
                                        ; implicit-def: $vgpr6
	s_branch .LBB35_70
.LBB35_69:
	s_cbranch_execnz .LBB35_72
.LBB35_70:
	s_load_dwordx4 s[8:11], s[4:5], 0x4
	s_load_dwordx4 s[12:15], s[4:5], 0xc4
	s_cmp_lt_u32 s33, 2
	s_waitcnt lgkmcnt(0)
	v_mul_hi_u32 v3, s9, v1
	v_add_u32_e32 v3, v1, v3
	v_lshrrev_b32_e32 v3, s10, v3
	v_mul_lo_u32 v5, v3, s8
	v_sub_u32_e32 v1, v1, v5
	v_mul_lo_u32 v6, v1, s12
	v_mul_lo_u32 v10, v1, s14
	;; [unrolled: 1-line block ×3, first 2 shown]
	s_cbranch_scc1 .LBB35_72
; %bb.71:
	s_load_dwordx4 s[8:11], s[4:5], 0x10
	s_load_dwordx4 s[12:15], s[4:5], 0xd0
	s_waitcnt lgkmcnt(0)
	v_mul_hi_u32 v1, s9, v3
	v_add_u32_e32 v1, v3, v1
	v_lshrrev_b32_e32 v1, s10, v1
	v_mul_lo_u32 v1, v1, s8
	v_sub_u32_e32 v1, v3, v1
	v_mad_u64_u32 v[6:7], s[2:3], v1, s12, v[6:7]
	v_mad_u64_u32 v[8:9], s[2:3], v1, s13, v[8:9]
	;; [unrolled: 1-line block ×3, first 2 shown]
.LBB35_72:
	s_and_b64 vcc, exec, s[0:1]
	v_add_u32_e32 v1, 0x100, v12
	s_cbranch_vccnz .LBB35_78
; %bb.73:
	s_cmp_lg_u32 s33, 0
	v_mov_b32_e32 v14, 0
	v_mov_b32_e32 v16, 0
	;; [unrolled: 1-line block ×3, first 2 shown]
	s_cbranch_scc0 .LBB35_79
; %bb.74:
	s_min_u32 s6, s34, 15
	s_add_i32 s2, s6, 1
	s_and_b32 s7, s2, 30
	s_add_u32 s2, s4, 0xffffffec
	s_addc_u32 s3, s5, -1
	v_mov_b32_e32 v12, 0
	v_mov_b32_e32 v3, v1
	;; [unrolled: 1-line block ×4, first 2 shown]
.LBB35_75:                              ; =>This Inner Loop Header: Depth=1
	s_mov_b64 s[16:17], s[2:3]
	s_load_dwordx4 s[8:11], s[16:17], 0x18
	s_load_dwordx2 s[18:19], s[16:17], 0x28
	s_load_dwordx2 s[20:21], s[16:17], 0xe8
	s_load_dwordx4 s[12:15], s[16:17], 0xd8
	s_add_u32 s2, s16, 24
	s_waitcnt lgkmcnt(0)
	v_mul_hi_u32 v5, s9, v3
	v_add_u32_e32 v5, v3, v5
	v_lshrrev_b32_e32 v5, s10, v5
	v_mul_lo_u32 v7, v5, s8
	v_mul_hi_u32 v9, s18, v5
	v_sub_u32_e32 v3, v3, v7
	v_add_u32_e32 v7, v5, v9
	v_mul_lo_u32 v9, v3, s12
	v_mul_lo_u32 v11, v3, s13
	v_mul_lo_u32 v13, v3, s14
	v_lshrrev_b32_e32 v3, s19, v7
	v_mul_lo_u32 v7, v3, s11
	v_sub_u32_e32 v5, v5, v7
	s_addc_u32 s3, s17, 0
	s_add_i32 s7, s7, -2
	v_mul_lo_u32 v7, v5, s15
	v_mul_lo_u32 v15, v5, s20
	;; [unrolled: 1-line block ×3, first 2 shown]
	s_cmp_lg_u32 s7, 0
	v_add3_u32 v12, v9, v12, v7
	v_add3_u32 v14, v13, v14, v5
	;; [unrolled: 1-line block ×3, first 2 shown]
	s_cbranch_scc1 .LBB35_75
; %bb.76:
	s_bitcmp1_b32 s6, 0
	s_cselect_b64 s[6:7], -1, 0
	s_and_b64 vcc, exec, s[6:7]
	s_cbranch_vccnz .LBB35_79
; %bb.77:
	s_load_dwordx2 s[6:7], s[2:3], 0x18
	s_load_dword s10, s[2:3], 0x20
	s_load_dword s11, s[2:3], 0xe0
	s_load_dwordx2 s[8:9], s[2:3], 0xd8
	s_waitcnt lgkmcnt(0)
	v_mul_hi_u32 v5, s7, v3
	v_add_u32_e32 v5, v3, v5
	v_lshrrev_b32_e32 v5, s10, v5
	v_mul_lo_u32 v5, v5, s6
	v_sub_u32_e32 v3, v3, v5
	v_mad_u64_u32 v[12:13], s[2:3], v3, s8, v[12:13]
	v_mad_u64_u32 v[16:17], s[2:3], v3, s9, v[16:17]
	;; [unrolled: 1-line block ×3, first 2 shown]
	s_cbranch_execz .LBB35_80
	s_branch .LBB35_82
.LBB35_78:
                                        ; implicit-def: $vgpr14
                                        ; implicit-def: $vgpr16
                                        ; implicit-def: $vgpr12
	s_branch .LBB35_80
.LBB35_79:
	s_cbranch_execnz .LBB35_82
.LBB35_80:
	s_load_dwordx4 s[8:11], s[4:5], 0x4
	s_load_dwordx4 s[12:15], s[4:5], 0xc4
	s_cmp_lt_u32 s33, 2
	s_waitcnt lgkmcnt(0)
	v_mul_hi_u32 v3, s9, v1
	v_add_u32_e32 v3, v1, v3
	v_lshrrev_b32_e32 v3, s10, v3
	v_mul_lo_u32 v5, v3, s8
	v_sub_u32_e32 v1, v1, v5
	v_mul_lo_u32 v12, v1, s12
	v_mul_lo_u32 v14, v1, s14
	;; [unrolled: 1-line block ×3, first 2 shown]
	s_cbranch_scc1 .LBB35_82
; %bb.81:
	s_load_dwordx4 s[8:11], s[4:5], 0x10
	s_load_dwordx4 s[12:15], s[4:5], 0xd0
	s_waitcnt lgkmcnt(0)
	v_mul_hi_u32 v1, s9, v3
	v_add_u32_e32 v1, v3, v1
	v_lshrrev_b32_e32 v1, s10, v1
	v_mul_lo_u32 v1, v1, s8
	v_sub_u32_e32 v1, v3, v1
	v_mad_u64_u32 v[12:13], s[2:3], v1, s12, v[12:13]
	v_mad_u64_u32 v[16:17], s[2:3], v1, s13, v[16:17]
	;; [unrolled: 1-line block ×3, first 2 shown]
.LBB35_82:
	s_and_b64 vcc, exec, s[0:1]
	s_cbranch_vccnz .LBB35_88
; %bb.83:
	s_cmp_lg_u32 s33, 0
	v_mov_b32_e32 v20, 0
	v_mov_b32_e32 v22, 0
	;; [unrolled: 1-line block ×3, first 2 shown]
	s_cbranch_scc0 .LBB35_89
; %bb.84:
	s_min_u32 s2, s34, 15
	s_add_i32 s0, s2, 1
	s_and_b32 s3, s0, 30
	s_add_u32 s0, s4, 0xffffffec
	s_addc_u32 s1, s5, -1
	v_mov_b32_e32 v18, 0
	v_mov_b32_e32 v1, v24
	;; [unrolled: 1-line block ×4, first 2 shown]
.LBB35_85:                              ; =>This Inner Loop Header: Depth=1
	s_mov_b64 s[6:7], s[0:1]
	s_load_dwordx4 s[8:11], s[6:7], 0x18
	s_load_dwordx2 s[16:17], s[6:7], 0x28
	s_load_dwordx2 s[18:19], s[6:7], 0xe8
	s_load_dwordx4 s[12:15], s[6:7], 0xd8
	s_add_u32 s0, s6, 24
	s_waitcnt lgkmcnt(0)
	v_mul_hi_u32 v3, s9, v1
	v_add_u32_e32 v3, v1, v3
	v_lshrrev_b32_e32 v3, s10, v3
	v_mul_lo_u32 v5, v3, s8
	v_mul_hi_u32 v7, s16, v3
	v_sub_u32_e32 v1, v1, v5
	v_add_u32_e32 v5, v3, v7
	v_mul_lo_u32 v7, v1, s12
	v_mul_lo_u32 v9, v1, s13
	;; [unrolled: 1-line block ×3, first 2 shown]
	v_lshrrev_b32_e32 v1, s17, v5
	v_mul_lo_u32 v5, v1, s11
	v_sub_u32_e32 v3, v3, v5
	s_addc_u32 s1, s7, 0
	s_add_i32 s3, s3, -2
	v_mul_lo_u32 v5, v3, s15
	v_mul_lo_u32 v13, v3, s18
	;; [unrolled: 1-line block ×3, first 2 shown]
	s_cmp_lg_u32 s3, 0
	v_add3_u32 v18, v7, v18, v5
	v_add3_u32 v20, v11, v20, v3
	;; [unrolled: 1-line block ×3, first 2 shown]
	s_cbranch_scc1 .LBB35_85
; %bb.86:
	s_bitcmp1_b32 s2, 0
	s_cselect_b64 s[2:3], -1, 0
	s_and_b64 vcc, exec, s[2:3]
	s_cbranch_vccnz .LBB35_89
; %bb.87:
	s_load_dwordx2 s[2:3], s[0:1], 0x18
	s_load_dword s8, s[0:1], 0x20
	s_load_dword s9, s[0:1], 0xe0
	s_load_dwordx2 s[6:7], s[0:1], 0xd8
	s_waitcnt lgkmcnt(0)
	v_mul_hi_u32 v3, s3, v1
	v_add_u32_e32 v3, v1, v3
	v_lshrrev_b32_e32 v3, s8, v3
	v_mul_lo_u32 v3, v3, s2
	v_sub_u32_e32 v1, v1, v3
	v_mad_u64_u32 v[18:19], s[0:1], v1, s6, v[18:19]
	v_mad_u64_u32 v[22:23], s[0:1], v1, s7, v[22:23]
	;; [unrolled: 1-line block ×3, first 2 shown]
	s_cbranch_execz .LBB35_90
	s_branch .LBB35_92
.LBB35_88:
                                        ; implicit-def: $vgpr20
                                        ; implicit-def: $vgpr22
                                        ; implicit-def: $vgpr18
	s_branch .LBB35_90
.LBB35_89:
	s_cbranch_execnz .LBB35_92
.LBB35_90:
	s_load_dwordx4 s[0:3], s[4:5], 0x4
	s_load_dwordx4 s[8:11], s[4:5], 0xc4
	s_cmp_lt_u32 s33, 2
	s_waitcnt lgkmcnt(0)
	v_mul_hi_u32 v1, s1, v24
	v_add_u32_e32 v1, v24, v1
	v_lshrrev_b32_e32 v1, s2, v1
	v_mul_lo_u32 v3, v1, s0
	v_sub_u32_e32 v3, v24, v3
	v_mul_lo_u32 v18, v3, s8
	v_mul_lo_u32 v20, v3, s10
	;; [unrolled: 1-line block ×3, first 2 shown]
	s_cbranch_scc1 .LBB35_92
; %bb.91:
	s_load_dwordx4 s[0:3], s[4:5], 0x10
	s_load_dwordx4 s[8:11], s[4:5], 0xd0
	s_waitcnt lgkmcnt(0)
	v_mul_hi_u32 v3, s1, v1
	v_add_u32_e32 v3, v1, v3
	v_lshrrev_b32_e32 v3, s2, v3
	v_mul_lo_u32 v3, v3, s0
	v_sub_u32_e32 v1, v1, v3
	v_mad_u64_u32 v[18:19], s[0:1], v1, s8, v[18:19]
	v_mad_u64_u32 v[22:23], s[0:1], v1, s9, v[22:23]
	;; [unrolled: 1-line block ×3, first 2 shown]
.LBB35_92:
	s_load_dwordx4 s[0:3], s[4:5], 0x188
	s_load_dwordx2 s[6:7], s[4:5], 0x198
	s_waitcnt lgkmcnt(0)
	global_load_ushort v1, v4, s[2:3]
	global_load_ushort v3, v8, s[2:3]
	;; [unrolled: 1-line block ×4, first 2 shown]
	global_load_dword v9, v2, s[6:7]
	global_load_dword v11, v10, s[6:7]
	;; [unrolled: 1-line block ×4, first 2 shown]
	s_waitcnt vmcnt(7)
	v_lshlrev_b32_e32 v1, 16, v1
	s_waitcnt vmcnt(6)
	v_lshlrev_b32_e32 v2, 16, v3
	;; [unrolled: 2-line block ×3, first 2 shown]
	v_cmp_lt_f32_e32 vcc, 0, v1
	s_waitcnt vmcnt(3)
	v_mul_f32_e32 v5, v9, v1
	v_lshlrev_b32_e32 v4, 16, v7
	s_waitcnt vmcnt(2)
	v_mul_f32_e32 v7, v11, v2
	v_cndmask_b32_e32 v1, v5, v1, vcc
	v_cmp_lt_f32_e32 vcc, 0, v2
	s_waitcnt vmcnt(1)
	v_mul_f32_e32 v8, v13, v3
	v_cndmask_b32_e32 v2, v7, v2, vcc
	v_cmp_lt_f32_e32 vcc, 0, v3
	;; [unrolled: 4-line block ×3, first 2 shown]
	v_cndmask_b32_e32 v4, v9, v4, vcc
	global_store_dword v0, v1, s[0:1]
	global_store_dword v6, v2, s[0:1]
	global_store_dword v12, v3, s[0:1]
	global_store_dword v18, v4, s[0:1]
	s_endpgm
	.section	.rodata,"a",@progbits
	.p2align	6, 0x0
	.amdhsa_kernel _ZN2at6native32elementwise_kernel_manual_unrollILi128ELi4EZNS0_12_GLOBAL__N_142type_specialized_broadcast_kernel_launcherILi1EE5applyIZZZNS0_12prelu_kernelERNS_14TensorIteratorEENKUlvE_clEvENKUlvE0_clEvEUlffE_St5arrayIPcLm3EESB_IN3c1010ScalarTypeELm3EE16OffsetCalculatorILi3EjLb0EEEEvlT_T0_T1_T2_EUlibE_EEviSL_
		.amdhsa_group_segment_fixed_size 0
		.amdhsa_private_segment_fixed_size 0
		.amdhsa_kernarg_size 432
		.amdhsa_user_sgpr_count 6
		.amdhsa_user_sgpr_private_segment_buffer 1
		.amdhsa_user_sgpr_dispatch_ptr 0
		.amdhsa_user_sgpr_queue_ptr 0
		.amdhsa_user_sgpr_kernarg_segment_ptr 1
		.amdhsa_user_sgpr_dispatch_id 0
		.amdhsa_user_sgpr_flat_scratch_init 0
		.amdhsa_user_sgpr_kernarg_preload_length 0
		.amdhsa_user_sgpr_kernarg_preload_offset 0
		.amdhsa_user_sgpr_private_segment_size 0
		.amdhsa_uses_dynamic_stack 0
		.amdhsa_system_sgpr_private_segment_wavefront_offset 0
		.amdhsa_system_sgpr_workgroup_id_x 1
		.amdhsa_system_sgpr_workgroup_id_y 0
		.amdhsa_system_sgpr_workgroup_id_z 0
		.amdhsa_system_sgpr_workgroup_info 0
		.amdhsa_system_vgpr_workitem_id 0
		.amdhsa_next_free_vgpr 25
		.amdhsa_next_free_sgpr 52
		.amdhsa_accum_offset 28
		.amdhsa_reserve_vcc 1
		.amdhsa_reserve_flat_scratch 0
		.amdhsa_float_round_mode_32 0
		.amdhsa_float_round_mode_16_64 0
		.amdhsa_float_denorm_mode_32 3
		.amdhsa_float_denorm_mode_16_64 3
		.amdhsa_dx10_clamp 1
		.amdhsa_ieee_mode 1
		.amdhsa_fp16_overflow 0
		.amdhsa_tg_split 0
		.amdhsa_exception_fp_ieee_invalid_op 0
		.amdhsa_exception_fp_denorm_src 0
		.amdhsa_exception_fp_ieee_div_zero 0
		.amdhsa_exception_fp_ieee_overflow 0
		.amdhsa_exception_fp_ieee_underflow 0
		.amdhsa_exception_fp_ieee_inexact 0
		.amdhsa_exception_int_div_zero 0
	.end_amdhsa_kernel
	.section	.text._ZN2at6native32elementwise_kernel_manual_unrollILi128ELi4EZNS0_12_GLOBAL__N_142type_specialized_broadcast_kernel_launcherILi1EE5applyIZZZNS0_12prelu_kernelERNS_14TensorIteratorEENKUlvE_clEvENKUlvE0_clEvEUlffE_St5arrayIPcLm3EESB_IN3c1010ScalarTypeELm3EE16OffsetCalculatorILi3EjLb0EEEEvlT_T0_T1_T2_EUlibE_EEviSL_,"axG",@progbits,_ZN2at6native32elementwise_kernel_manual_unrollILi128ELi4EZNS0_12_GLOBAL__N_142type_specialized_broadcast_kernel_launcherILi1EE5applyIZZZNS0_12prelu_kernelERNS_14TensorIteratorEENKUlvE_clEvENKUlvE0_clEvEUlffE_St5arrayIPcLm3EESB_IN3c1010ScalarTypeELm3EE16OffsetCalculatorILi3EjLb0EEEEvlT_T0_T1_T2_EUlibE_EEviSL_,comdat
.Lfunc_end35:
	.size	_ZN2at6native32elementwise_kernel_manual_unrollILi128ELi4EZNS0_12_GLOBAL__N_142type_specialized_broadcast_kernel_launcherILi1EE5applyIZZZNS0_12prelu_kernelERNS_14TensorIteratorEENKUlvE_clEvENKUlvE0_clEvEUlffE_St5arrayIPcLm3EESB_IN3c1010ScalarTypeELm3EE16OffsetCalculatorILi3EjLb0EEEEvlT_T0_T1_T2_EUlibE_EEviSL_, .Lfunc_end35-_ZN2at6native32elementwise_kernel_manual_unrollILi128ELi4EZNS0_12_GLOBAL__N_142type_specialized_broadcast_kernel_launcherILi1EE5applyIZZZNS0_12prelu_kernelERNS_14TensorIteratorEENKUlvE_clEvENKUlvE0_clEvEUlffE_St5arrayIPcLm3EESB_IN3c1010ScalarTypeELm3EE16OffsetCalculatorILi3EjLb0EEEEvlT_T0_T1_T2_EUlibE_EEviSL_
                                        ; -- End function
	.section	.AMDGPU.csdata,"",@progbits
; Kernel info:
; codeLenInByte = 4776
; NumSgprs: 56
; NumVgprs: 25
; NumAgprs: 0
; TotalNumVgprs: 25
; ScratchSize: 0
; MemoryBound: 0
; FloatMode: 240
; IeeeMode: 1
; LDSByteSize: 0 bytes/workgroup (compile time only)
; SGPRBlocks: 6
; VGPRBlocks: 3
; NumSGPRsForWavesPerEU: 56
; NumVGPRsForWavesPerEU: 25
; AccumOffset: 28
; Occupancy: 8
; WaveLimiterHint : 1
; COMPUTE_PGM_RSRC2:SCRATCH_EN: 0
; COMPUTE_PGM_RSRC2:USER_SGPR: 6
; COMPUTE_PGM_RSRC2:TRAP_HANDLER: 0
; COMPUTE_PGM_RSRC2:TGID_X_EN: 1
; COMPUTE_PGM_RSRC2:TGID_Y_EN: 0
; COMPUTE_PGM_RSRC2:TGID_Z_EN: 0
; COMPUTE_PGM_RSRC2:TIDIG_COMP_CNT: 0
; COMPUTE_PGM_RSRC3_GFX90A:ACCUM_OFFSET: 6
; COMPUTE_PGM_RSRC3_GFX90A:TG_SPLIT: 0
	.section	.text._ZN2at6native32elementwise_kernel_manual_unrollILi128ELi4EZNS0_12_GLOBAL__N_142type_specialized_broadcast_kernel_launcherILi2EE5applyIZZZNS0_12prelu_kernelERNS_14TensorIteratorEENKUlvE_clEvENKUlvE0_clEvEUlffE_St5arrayIPcLm3EESB_IN3c1010ScalarTypeELm3EE16OffsetCalculatorILi3EjLb0EEEEvlT_T0_T1_T2_EUlibE_EEviSL_,"axG",@progbits,_ZN2at6native32elementwise_kernel_manual_unrollILi128ELi4EZNS0_12_GLOBAL__N_142type_specialized_broadcast_kernel_launcherILi2EE5applyIZZZNS0_12prelu_kernelERNS_14TensorIteratorEENKUlvE_clEvENKUlvE0_clEvEUlffE_St5arrayIPcLm3EESB_IN3c1010ScalarTypeELm3EE16OffsetCalculatorILi3EjLb0EEEEvlT_T0_T1_T2_EUlibE_EEviSL_,comdat
	.globl	_ZN2at6native32elementwise_kernel_manual_unrollILi128ELi4EZNS0_12_GLOBAL__N_142type_specialized_broadcast_kernel_launcherILi2EE5applyIZZZNS0_12prelu_kernelERNS_14TensorIteratorEENKUlvE_clEvENKUlvE0_clEvEUlffE_St5arrayIPcLm3EESB_IN3c1010ScalarTypeELm3EE16OffsetCalculatorILi3EjLb0EEEEvlT_T0_T1_T2_EUlibE_EEviSL_ ; -- Begin function _ZN2at6native32elementwise_kernel_manual_unrollILi128ELi4EZNS0_12_GLOBAL__N_142type_specialized_broadcast_kernel_launcherILi2EE5applyIZZZNS0_12prelu_kernelERNS_14TensorIteratorEENKUlvE_clEvENKUlvE0_clEvEUlffE_St5arrayIPcLm3EESB_IN3c1010ScalarTypeELm3EE16OffsetCalculatorILi3EjLb0EEEEvlT_T0_T1_T2_EUlibE_EEviSL_
	.p2align	8
	.type	_ZN2at6native32elementwise_kernel_manual_unrollILi128ELi4EZNS0_12_GLOBAL__N_142type_specialized_broadcast_kernel_launcherILi2EE5applyIZZZNS0_12prelu_kernelERNS_14TensorIteratorEENKUlvE_clEvENKUlvE0_clEvEUlffE_St5arrayIPcLm3EESB_IN3c1010ScalarTypeELm3EE16OffsetCalculatorILi3EjLb0EEEEvlT_T0_T1_T2_EUlibE_EEviSL_,@function
_ZN2at6native32elementwise_kernel_manual_unrollILi128ELi4EZNS0_12_GLOBAL__N_142type_specialized_broadcast_kernel_launcherILi2EE5applyIZZZNS0_12prelu_kernelERNS_14TensorIteratorEENKUlvE_clEvENKUlvE0_clEvEUlffE_St5arrayIPcLm3EESB_IN3c1010ScalarTypeELm3EE16OffsetCalculatorILi3EjLb0EEEEvlT_T0_T1_T2_EUlibE_EEviSL_: ; @_ZN2at6native32elementwise_kernel_manual_unrollILi128ELi4EZNS0_12_GLOBAL__N_142type_specialized_broadcast_kernel_launcherILi2EE5applyIZZZNS0_12prelu_kernelERNS_14TensorIteratorEENKUlvE_clEvENKUlvE0_clEvEUlffE_St5arrayIPcLm3EESB_IN3c1010ScalarTypeELm3EE16OffsetCalculatorILi3EjLb0EEEEvlT_T0_T1_T2_EUlibE_EEviSL_
; %bb.0:
	s_load_dword s36, s[4:5], 0x0
	s_load_dword s33, s[4:5], 0x8
	s_or_b32 s4, s4, 8
	v_lshl_or_b32 v12, s6, 9, v0
	v_or_b32_e32 v24, 0x180, v12
	s_waitcnt lgkmcnt(0)
	v_cmp_le_i32_e32 vcc, s36, v24
	s_add_i32 s34, s33, -1
	s_cmp_gt_u32 s34, 1
	s_cselect_b64 s[6:7], -1, 0
	s_mov_b64 s[8:9], 0
                                        ; implicit-def: $vgpr2_vgpr3
                                        ; implicit-def: $vgpr1
	s_and_saveexec_b64 s[0:1], vcc
	s_xor_b64 s[16:17], exec, s[0:1]
	s_cbranch_execnz .LBB36_4
; %bb.1:
	s_andn2_saveexec_b64 s[10:11], s[16:17]
	s_cbranch_execnz .LBB36_53
.LBB36_2:
	s_or_b64 exec, exec, s[10:11]
	s_and_saveexec_b64 s[0:1], s[8:9]
	s_cbranch_execnz .LBB36_94
.LBB36_3:
	s_endpgm
.LBB36_4:
	s_load_dwordx4 s[12:15], s[4:5], 0x4
	s_load_dwordx2 s[22:23], s[4:5], 0x14
	s_load_dwordx4 s[8:11], s[4:5], 0xc4
	s_load_dwordx2 s[20:21], s[4:5], 0xd4
	s_load_dwordx2 s[18:19], s[4:5], 0x198
	s_load_dwordx4 s[0:3], s[4:5], 0x188
	s_cmp_lg_u32 s33, 0
	s_cselect_b64 s[26:27], -1, 0
	s_min_u32 s35, s34, 15
	s_cmp_gt_u32 s33, 1
	s_cselect_b64 s[24:25], -1, 0
	v_cmp_gt_i32_e32 vcc, s36, v12
	s_and_saveexec_b64 s[28:29], vcc
	s_cbranch_execnz .LBB36_7
; %bb.5:
	s_or_b64 exec, exec, s[28:29]
	v_cmp_gt_i32_e32 vcc, s36, v12
	s_and_saveexec_b64 s[28:29], vcc
	s_cbranch_execnz .LBB36_18
.LBB36_6:
	s_or_b64 exec, exec, s[28:29]
	v_cmp_gt_i32_e32 vcc, s36, v12
	s_and_saveexec_b64 s[28:29], vcc
	s_cbranch_execnz .LBB36_29
	s_branch .LBB36_40
.LBB36_7:
	s_andn2_b64 vcc, exec, s[6:7]
	s_cbranch_vccnz .LBB36_14
; %bb.8:
	s_andn2_b64 vcc, exec, s[26:27]
	v_mov_b32_e32 v2, 0
	v_mov_b32_e32 v4, 0
	;; [unrolled: 1-line block ×3, first 2 shown]
	s_cbranch_vccnz .LBB36_13
; %bb.9:
	s_add_i32 s30, s35, 1
	s_and_b32 s37, s30, 30
	s_add_u32 s30, s4, 0xffffffec
	s_addc_u32 s31, s5, -1
	v_mov_b32_e32 v0, 0
	v_mov_b32_e32 v1, v12
	;; [unrolled: 1-line block ×4, first 2 shown]
.LBB36_10:                              ; =>This Inner Loop Header: Depth=1
	s_mov_b64 s[38:39], s[30:31]
	s_load_dwordx4 s[40:43], s[38:39], 0x18
	s_load_dwordx2 s[48:49], s[38:39], 0x28
	s_load_dwordx2 s[50:51], s[38:39], 0xe8
	s_load_dwordx4 s[44:47], s[38:39], 0xd8
	s_add_u32 s30, s38, 24
	s_waitcnt lgkmcnt(0)
	v_mul_hi_u32 v3, s41, v1
	v_add_u32_e32 v3, v1, v3
	v_lshrrev_b32_e32 v3, s42, v3
	v_mul_lo_u32 v5, v3, s40
	v_mul_hi_u32 v6, s48, v3
	v_sub_u32_e32 v1, v1, v5
	v_add_u32_e32 v5, v3, v6
	v_mul_lo_u32 v6, v1, s44
	v_mul_lo_u32 v7, v1, s45
	;; [unrolled: 1-line block ×3, first 2 shown]
	v_lshrrev_b32_e32 v1, s49, v5
	v_mul_lo_u32 v5, v1, s43
	v_sub_u32_e32 v3, v3, v5
	s_addc_u32 s31, s39, 0
	s_add_i32 s37, s37, -2
	v_mul_lo_u32 v5, v3, s47
	v_mul_lo_u32 v9, v3, s50
	;; [unrolled: 1-line block ×3, first 2 shown]
	s_cmp_lg_u32 s37, 0
	v_add3_u32 v0, v6, v0, v5
	v_add3_u32 v2, v8, v2, v3
	;; [unrolled: 1-line block ×3, first 2 shown]
	s_cbranch_scc1 .LBB36_10
; %bb.11:
	s_bitcmp1_b32 s35, 0
	s_cselect_b64 s[38:39], -1, 0
	s_and_b64 vcc, exec, s[38:39]
	s_cbranch_vccnz .LBB36_13
; %bb.12:
	s_load_dwordx2 s[38:39], s[30:31], 0x18
	s_load_dword s37, s[30:31], 0x20
	s_load_dword s42, s[30:31], 0xe0
	s_load_dwordx2 s[40:41], s[30:31], 0xd8
	s_waitcnt lgkmcnt(0)
	v_mul_hi_u32 v3, s39, v1
	v_add_u32_e32 v3, v1, v3
	v_lshrrev_b32_e32 v3, s37, v3
	v_mul_lo_u32 v3, v3, s38
	v_sub_u32_e32 v3, v1, v3
	v_mad_u64_u32 v[0:1], s[30:31], v3, s40, v[0:1]
	v_mad_u64_u32 v[4:5], s[30:31], v3, s41, v[4:5]
	v_mad_u64_u32 v[2:3], s[30:31], v3, s42, v[2:3]
.LBB36_13:
	s_cbranch_execz .LBB36_15
	s_branch .LBB36_17
.LBB36_14:
                                        ; implicit-def: $vgpr2
                                        ; implicit-def: $vgpr4
                                        ; implicit-def: $vgpr0
.LBB36_15:
	s_waitcnt lgkmcnt(0)
	v_mul_hi_u32 v0, s13, v12
	v_add_u32_e32 v0, v12, v0
	v_lshrrev_b32_e32 v1, s14, v0
	v_mul_lo_u32 v0, v1, s12
	v_sub_u32_e32 v3, v12, v0
	v_mul_lo_u32 v0, v3, s8
	v_mul_lo_u32 v2, v3, s10
	s_andn2_b64 vcc, exec, s[24:25]
	v_mul_lo_u32 v4, v3, s9
	s_cbranch_vccnz .LBB36_17
; %bb.16:
	v_mul_hi_u32 v3, s22, v1
	v_add_u32_e32 v3, v1, v3
	v_lshrrev_b32_e32 v3, s23, v3
	v_mul_lo_u32 v3, v3, s15
	v_sub_u32_e32 v3, v1, v3
	v_mad_u64_u32 v[0:1], s[30:31], v3, s11, v[0:1]
	v_mad_u64_u32 v[4:5], s[30:31], v3, s20, v[4:5]
	;; [unrolled: 1-line block ×3, first 2 shown]
.LBB36_17:
	s_waitcnt lgkmcnt(0)
	global_load_ushort v1, v4, s[2:3]
	global_load_dword v3, v2, s[18:19]
	s_movk_i32 s30, 0x7fff
	v_mov_b32_e32 v2, 0x7fc0
	v_add_u32_e32 v12, 0x80, v12
	s_waitcnt vmcnt(1)
	v_lshlrev_b32_e32 v1, 16, v1
	s_waitcnt vmcnt(0)
	v_mul_f32_e32 v3, v3, v1
	v_cmp_lt_f32_e32 vcc, 0, v1
	v_cndmask_b32_e32 v1, v3, v1, vcc
	v_bfe_u32 v3, v1, 16, 1
	v_add3_u32 v3, v1, v3, s30
	v_lshrrev_b32_e32 v3, 16, v3
	v_cmp_o_f32_e32 vcc, v1, v1
	v_cndmask_b32_e32 v1, v2, v3, vcc
	global_store_short v0, v1, s[0:1]
	s_or_b64 exec, exec, s[28:29]
	v_cmp_gt_i32_e32 vcc, s36, v12
	s_and_saveexec_b64 s[28:29], vcc
	s_cbranch_execz .LBB36_6
.LBB36_18:
	s_andn2_b64 vcc, exec, s[6:7]
	s_cbranch_vccnz .LBB36_25
; %bb.19:
	s_andn2_b64 vcc, exec, s[26:27]
	v_mov_b32_e32 v2, 0
	v_mov_b32_e32 v4, 0
	;; [unrolled: 1-line block ×3, first 2 shown]
	s_cbranch_vccnz .LBB36_24
; %bb.20:
	s_add_i32 s30, s35, 1
	s_and_b32 s37, s30, 30
	s_add_u32 s30, s4, 0xffffffec
	s_addc_u32 s31, s5, -1
	v_mov_b32_e32 v0, 0
	v_mov_b32_e32 v1, v12
	;; [unrolled: 1-line block ×4, first 2 shown]
.LBB36_21:                              ; =>This Inner Loop Header: Depth=1
	s_mov_b64 s[38:39], s[30:31]
	s_load_dwordx4 s[40:43], s[38:39], 0x18
	s_load_dwordx2 s[48:49], s[38:39], 0x28
	s_load_dwordx2 s[50:51], s[38:39], 0xe8
	s_load_dwordx4 s[44:47], s[38:39], 0xd8
	s_add_u32 s30, s38, 24
	s_waitcnt lgkmcnt(0)
	v_mul_hi_u32 v3, s41, v1
	v_add_u32_e32 v3, v1, v3
	v_lshrrev_b32_e32 v3, s42, v3
	v_mul_lo_u32 v5, v3, s40
	v_mul_hi_u32 v6, s48, v3
	v_sub_u32_e32 v1, v1, v5
	v_add_u32_e32 v5, v3, v6
	v_mul_lo_u32 v6, v1, s44
	v_mul_lo_u32 v7, v1, s45
	;; [unrolled: 1-line block ×3, first 2 shown]
	v_lshrrev_b32_e32 v1, s49, v5
	v_mul_lo_u32 v5, v1, s43
	v_sub_u32_e32 v3, v3, v5
	s_addc_u32 s31, s39, 0
	s_add_i32 s37, s37, -2
	v_mul_lo_u32 v5, v3, s47
	v_mul_lo_u32 v9, v3, s50
	;; [unrolled: 1-line block ×3, first 2 shown]
	s_cmp_eq_u32 s37, 0
	v_add3_u32 v0, v6, v0, v5
	v_add3_u32 v2, v8, v2, v3
	;; [unrolled: 1-line block ×3, first 2 shown]
	s_cbranch_scc0 .LBB36_21
; %bb.22:
	s_bitcmp1_b32 s35, 0
	s_cselect_b64 s[38:39], -1, 0
	s_and_b64 vcc, exec, s[38:39]
	s_cbranch_vccnz .LBB36_24
; %bb.23:
	s_load_dwordx2 s[38:39], s[30:31], 0x18
	s_load_dword s37, s[30:31], 0x20
	s_load_dword s42, s[30:31], 0xe0
	s_load_dwordx2 s[40:41], s[30:31], 0xd8
	s_waitcnt lgkmcnt(0)
	v_mul_hi_u32 v3, s39, v1
	v_add_u32_e32 v3, v1, v3
	v_lshrrev_b32_e32 v3, s37, v3
	v_mul_lo_u32 v3, v3, s38
	v_sub_u32_e32 v3, v1, v3
	v_mad_u64_u32 v[0:1], s[30:31], v3, s40, v[0:1]
	v_mad_u64_u32 v[4:5], s[30:31], v3, s41, v[4:5]
	;; [unrolled: 1-line block ×3, first 2 shown]
.LBB36_24:
	s_cbranch_execz .LBB36_26
	s_branch .LBB36_28
.LBB36_25:
                                        ; implicit-def: $vgpr2
                                        ; implicit-def: $vgpr4
                                        ; implicit-def: $vgpr0
.LBB36_26:
	s_waitcnt lgkmcnt(0)
	v_mul_hi_u32 v0, s13, v12
	v_add_u32_e32 v0, v12, v0
	v_lshrrev_b32_e32 v1, s14, v0
	v_mul_lo_u32 v0, v1, s12
	v_sub_u32_e32 v3, v12, v0
	v_mul_lo_u32 v0, v3, s8
	v_mul_lo_u32 v2, v3, s10
	s_andn2_b64 vcc, exec, s[24:25]
	v_mul_lo_u32 v4, v3, s9
	s_cbranch_vccnz .LBB36_28
; %bb.27:
	v_mul_hi_u32 v3, s22, v1
	v_add_u32_e32 v3, v1, v3
	v_lshrrev_b32_e32 v3, s23, v3
	v_mul_lo_u32 v3, v3, s15
	v_sub_u32_e32 v3, v1, v3
	v_mad_u64_u32 v[0:1], s[30:31], v3, s11, v[0:1]
	v_mad_u64_u32 v[4:5], s[30:31], v3, s20, v[4:5]
	;; [unrolled: 1-line block ×3, first 2 shown]
.LBB36_28:
	s_waitcnt lgkmcnt(0)
	global_load_ushort v1, v4, s[2:3]
	global_load_dword v3, v2, s[18:19]
	s_movk_i32 s30, 0x7fff
	v_mov_b32_e32 v2, 0x7fc0
	v_add_u32_e32 v12, 0x80, v12
	s_waitcnt vmcnt(1)
	v_lshlrev_b32_e32 v1, 16, v1
	s_waitcnt vmcnt(0)
	v_mul_f32_e32 v3, v3, v1
	v_cmp_lt_f32_e32 vcc, 0, v1
	v_cndmask_b32_e32 v1, v3, v1, vcc
	v_bfe_u32 v3, v1, 16, 1
	v_add3_u32 v3, v1, v3, s30
	v_lshrrev_b32_e32 v3, 16, v3
	v_cmp_o_f32_e32 vcc, v1, v1
	v_cndmask_b32_e32 v1, v2, v3, vcc
	global_store_short v0, v1, s[0:1]
	s_or_b64 exec, exec, s[28:29]
	v_cmp_gt_i32_e32 vcc, s36, v12
	s_and_saveexec_b64 s[28:29], vcc
	s_cbranch_execz .LBB36_40
.LBB36_29:
	s_andn2_b64 vcc, exec, s[6:7]
	s_cbranch_vccnz .LBB36_36
; %bb.30:
	s_andn2_b64 vcc, exec, s[26:27]
	v_mov_b32_e32 v2, 0
	v_mov_b32_e32 v4, 0
	;; [unrolled: 1-line block ×3, first 2 shown]
	s_cbranch_vccnz .LBB36_35
; %bb.31:
	s_add_i32 s30, s35, 1
	s_and_b32 s37, s30, 30
	s_add_u32 s30, s4, 0xffffffec
	s_addc_u32 s31, s5, -1
	v_mov_b32_e32 v0, 0
	v_mov_b32_e32 v1, v12
	v_mov_b32_e32 v4, 0
	v_mov_b32_e32 v2, 0
.LBB36_32:                              ; =>This Inner Loop Header: Depth=1
	s_mov_b64 s[38:39], s[30:31]
	s_load_dwordx4 s[40:43], s[38:39], 0x18
	s_load_dwordx2 s[48:49], s[38:39], 0x28
	s_load_dwordx2 s[50:51], s[38:39], 0xe8
	s_load_dwordx4 s[44:47], s[38:39], 0xd8
	s_add_u32 s30, s38, 24
	s_waitcnt lgkmcnt(0)
	v_mul_hi_u32 v3, s41, v1
	v_add_u32_e32 v3, v1, v3
	v_lshrrev_b32_e32 v3, s42, v3
	v_mul_lo_u32 v5, v3, s40
	v_mul_hi_u32 v6, s48, v3
	v_sub_u32_e32 v1, v1, v5
	v_add_u32_e32 v5, v3, v6
	v_mul_lo_u32 v6, v1, s44
	v_mul_lo_u32 v7, v1, s45
	;; [unrolled: 1-line block ×3, first 2 shown]
	v_lshrrev_b32_e32 v1, s49, v5
	v_mul_lo_u32 v5, v1, s43
	v_sub_u32_e32 v3, v3, v5
	s_addc_u32 s31, s39, 0
	s_add_i32 s37, s37, -2
	v_mul_lo_u32 v5, v3, s47
	v_mul_lo_u32 v9, v3, s50
	;; [unrolled: 1-line block ×3, first 2 shown]
	s_cmp_eq_u32 s37, 0
	v_add3_u32 v0, v6, v0, v5
	v_add3_u32 v2, v8, v2, v3
	;; [unrolled: 1-line block ×3, first 2 shown]
	s_cbranch_scc0 .LBB36_32
; %bb.33:
	s_bitcmp1_b32 s35, 0
	s_cselect_b64 s[38:39], -1, 0
	s_and_b64 vcc, exec, s[38:39]
	s_cbranch_vccnz .LBB36_35
; %bb.34:
	s_load_dwordx2 s[38:39], s[30:31], 0x18
	s_load_dword s37, s[30:31], 0x20
	s_load_dword s42, s[30:31], 0xe0
	s_load_dwordx2 s[40:41], s[30:31], 0xd8
	s_waitcnt lgkmcnt(0)
	v_mul_hi_u32 v3, s39, v1
	v_add_u32_e32 v3, v1, v3
	v_lshrrev_b32_e32 v3, s37, v3
	v_mul_lo_u32 v3, v3, s38
	v_sub_u32_e32 v3, v1, v3
	v_mad_u64_u32 v[0:1], s[30:31], v3, s40, v[0:1]
	v_mad_u64_u32 v[4:5], s[30:31], v3, s41, v[4:5]
	;; [unrolled: 1-line block ×3, first 2 shown]
.LBB36_35:
	s_cbranch_execz .LBB36_37
	s_branch .LBB36_39
.LBB36_36:
                                        ; implicit-def: $vgpr2
                                        ; implicit-def: $vgpr4
                                        ; implicit-def: $vgpr0
.LBB36_37:
	s_waitcnt lgkmcnt(0)
	v_mul_hi_u32 v0, s13, v12
	v_add_u32_e32 v0, v12, v0
	v_lshrrev_b32_e32 v1, s14, v0
	v_mul_lo_u32 v0, v1, s12
	v_sub_u32_e32 v3, v12, v0
	v_mul_lo_u32 v0, v3, s8
	v_mul_lo_u32 v2, v3, s10
	s_andn2_b64 vcc, exec, s[24:25]
	v_mul_lo_u32 v4, v3, s9
	s_cbranch_vccnz .LBB36_39
; %bb.38:
	v_mul_hi_u32 v3, s22, v1
	v_add_u32_e32 v3, v1, v3
	v_lshrrev_b32_e32 v3, s23, v3
	v_mul_lo_u32 v3, v3, s15
	v_sub_u32_e32 v3, v1, v3
	v_mad_u64_u32 v[0:1], s[30:31], v3, s11, v[0:1]
	v_mad_u64_u32 v[4:5], s[30:31], v3, s20, v[4:5]
	;; [unrolled: 1-line block ×3, first 2 shown]
.LBB36_39:
	s_waitcnt lgkmcnt(0)
	global_load_ushort v1, v4, s[2:3]
	global_load_dword v3, v2, s[18:19]
	s_movk_i32 s30, 0x7fff
	v_mov_b32_e32 v2, 0x7fc0
	v_add_u32_e32 v12, 0x80, v12
	s_waitcnt vmcnt(1)
	v_lshlrev_b32_e32 v1, 16, v1
	s_waitcnt vmcnt(0)
	v_mul_f32_e32 v3, v3, v1
	v_cmp_lt_f32_e32 vcc, 0, v1
	v_cndmask_b32_e32 v1, v3, v1, vcc
	v_bfe_u32 v3, v1, 16, 1
	v_add3_u32 v3, v1, v3, s30
	v_lshrrev_b32_e32 v3, 16, v3
	v_cmp_o_f32_e32 vcc, v1, v1
	v_cndmask_b32_e32 v1, v2, v3, vcc
	global_store_short v0, v1, s[0:1]
.LBB36_40:
	s_or_b64 exec, exec, s[28:29]
	v_cmp_gt_i32_e32 vcc, s36, v12
	s_mov_b64 s[30:31], 0
                                        ; implicit-def: $vgpr2_vgpr3
                                        ; implicit-def: $vgpr1
	s_and_saveexec_b64 s[28:29], vcc
	s_cbranch_execz .LBB36_52
; %bb.41:
	s_andn2_b64 vcc, exec, s[6:7]
	s_cbranch_vccnz .LBB36_48
; %bb.42:
	s_andn2_b64 vcc, exec, s[26:27]
	v_mov_b32_e32 v2, 0
	v_mov_b32_e32 v4, 0
	;; [unrolled: 1-line block ×3, first 2 shown]
	s_cbranch_vccnz .LBB36_47
; %bb.43:
	s_add_i32 s26, s35, 1
	s_and_b32 s30, s26, 30
	s_add_u32 s26, s4, 0xffffffec
	s_addc_u32 s27, s5, -1
	v_mov_b32_e32 v0, 0
	v_mov_b32_e32 v1, v12
	;; [unrolled: 1-line block ×4, first 2 shown]
.LBB36_44:                              ; =>This Inner Loop Header: Depth=1
	s_mov_b64 s[44:45], s[26:27]
	s_load_dwordx4 s[36:39], s[44:45], 0x18
	s_load_dwordx2 s[46:47], s[44:45], 0x28
	s_load_dwordx2 s[48:49], s[44:45], 0xe8
	s_load_dwordx4 s[40:43], s[44:45], 0xd8
	s_add_u32 s26, s44, 24
	s_waitcnt lgkmcnt(0)
	v_mul_hi_u32 v3, s37, v1
	v_add_u32_e32 v3, v1, v3
	v_lshrrev_b32_e32 v3, s38, v3
	v_mul_lo_u32 v5, v3, s36
	v_mul_hi_u32 v6, s46, v3
	v_sub_u32_e32 v1, v1, v5
	v_add_u32_e32 v5, v3, v6
	v_mul_lo_u32 v6, v1, s40
	v_mul_lo_u32 v7, v1, s41
	;; [unrolled: 1-line block ×3, first 2 shown]
	v_lshrrev_b32_e32 v1, s47, v5
	v_mul_lo_u32 v5, v1, s39
	v_sub_u32_e32 v3, v3, v5
	s_addc_u32 s27, s45, 0
	s_add_i32 s30, s30, -2
	v_mul_lo_u32 v5, v3, s43
	v_mul_lo_u32 v9, v3, s48
	;; [unrolled: 1-line block ×3, first 2 shown]
	s_cmp_eq_u32 s30, 0
	v_add3_u32 v0, v6, v0, v5
	v_add3_u32 v2, v8, v2, v3
	v_add3_u32 v4, v7, v4, v9
	s_cbranch_scc0 .LBB36_44
; %bb.45:
	s_bitcmp1_b32 s35, 0
	s_cselect_b64 s[30:31], -1, 0
	s_and_b64 vcc, exec, s[30:31]
	s_cbranch_vccnz .LBB36_47
; %bb.46:
	s_load_dwordx2 s[30:31], s[26:27], 0x18
	s_load_dword s35, s[26:27], 0x20
	s_load_dword s38, s[26:27], 0xe0
	s_load_dwordx2 s[36:37], s[26:27], 0xd8
	s_waitcnt lgkmcnt(0)
	v_mul_hi_u32 v3, s31, v1
	v_add_u32_e32 v3, v1, v3
	v_lshrrev_b32_e32 v3, s35, v3
	v_mul_lo_u32 v3, v3, s30
	v_sub_u32_e32 v3, v1, v3
	v_mad_u64_u32 v[0:1], s[26:27], v3, s36, v[0:1]
	v_mad_u64_u32 v[4:5], s[26:27], v3, s37, v[4:5]
	;; [unrolled: 1-line block ×3, first 2 shown]
.LBB36_47:
	s_cbranch_execz .LBB36_49
	s_branch .LBB36_51
.LBB36_48:
                                        ; implicit-def: $vgpr2
                                        ; implicit-def: $vgpr4
                                        ; implicit-def: $vgpr0
.LBB36_49:
	s_waitcnt lgkmcnt(0)
	v_mul_hi_u32 v0, s13, v12
	v_add_u32_e32 v0, v12, v0
	v_lshrrev_b32_e32 v1, s14, v0
	v_mul_lo_u32 v0, v1, s12
	v_sub_u32_e32 v3, v12, v0
	v_mul_lo_u32 v0, v3, s8
	v_mul_lo_u32 v2, v3, s10
	s_andn2_b64 vcc, exec, s[24:25]
	v_mul_lo_u32 v4, v3, s9
	s_cbranch_vccnz .LBB36_51
; %bb.50:
	v_mul_hi_u32 v3, s22, v1
	v_add_u32_e32 v3, v1, v3
	v_lshrrev_b32_e32 v3, s23, v3
	v_mul_lo_u32 v3, v3, s15
	v_sub_u32_e32 v3, v1, v3
	v_mad_u64_u32 v[0:1], s[8:9], v3, s11, v[0:1]
	v_mad_u64_u32 v[4:5], s[8:9], v3, s20, v[4:5]
	;; [unrolled: 1-line block ×3, first 2 shown]
.LBB36_51:
	s_waitcnt lgkmcnt(0)
	global_load_ushort v1, v4, s[2:3]
	global_load_dword v5, v2, s[18:19]
	v_mov_b32_e32 v3, s1
	v_add_co_u32_e32 v2, vcc, s0, v0
	v_addc_co_u32_e32 v3, vcc, 0, v3, vcc
	s_mov_b64 s[30:31], exec
	s_waitcnt vmcnt(1)
	v_lshlrev_b32_e32 v0, 16, v1
	s_waitcnt vmcnt(0)
	v_mul_f32_e32 v1, v5, v0
	v_cmp_lt_f32_e32 vcc, 0, v0
	v_cndmask_b32_e32 v1, v1, v0, vcc
.LBB36_52:
	s_or_b64 exec, exec, s[28:29]
	s_waitcnt lgkmcnt(0)
	s_and_b64 s[8:9], s[30:31], exec
                                        ; implicit-def: $vgpr24
                                        ; implicit-def: $vgpr12
	s_andn2_saveexec_b64 s[10:11], s[16:17]
	s_cbranch_execz .LBB36_2
.LBB36_53:
	v_cndmask_b32_e64 v0, 0, 1, s[6:7]
	v_cmp_ne_u32_e64 s[0:1], 1, v0
	s_andn2_b64 vcc, exec, s[6:7]
	s_cbranch_vccnz .LBB36_59
; %bb.54:
	s_cmp_lg_u32 s33, 0
	v_mov_b32_e32 v2, 0
	v_mov_b32_e32 v4, 0
	;; [unrolled: 1-line block ×3, first 2 shown]
	s_cbranch_scc0 .LBB36_60
; %bb.55:
	s_min_u32 s6, s34, 15
	s_add_i32 s2, s6, 1
	s_and_b32 s7, s2, 30
	s_add_u32 s2, s4, 0xffffffec
	s_addc_u32 s3, s5, -1
	v_mov_b32_e32 v0, 0
	v_mov_b32_e32 v1, v12
	;; [unrolled: 1-line block ×4, first 2 shown]
.LBB36_56:                              ; =>This Inner Loop Header: Depth=1
	s_mov_b64 s[20:21], s[2:3]
	s_load_dwordx4 s[12:15], s[20:21], 0x18
	s_load_dwordx2 s[22:23], s[20:21], 0x28
	s_load_dwordx2 s[24:25], s[20:21], 0xe8
	s_load_dwordx4 s[16:19], s[20:21], 0xd8
	s_add_u32 s2, s20, 24
	s_waitcnt lgkmcnt(0)
	v_mul_hi_u32 v3, s13, v1
	v_add_u32_e32 v3, v1, v3
	v_lshrrev_b32_e32 v3, s14, v3
	v_mul_lo_u32 v5, v3, s12
	v_mul_hi_u32 v6, s22, v3
	v_sub_u32_e32 v1, v1, v5
	v_add_u32_e32 v5, v3, v6
	v_mul_lo_u32 v6, v1, s16
	v_mul_lo_u32 v7, v1, s17
	v_mul_lo_u32 v8, v1, s18
	v_lshrrev_b32_e32 v1, s23, v5
	v_mul_lo_u32 v5, v1, s15
	v_sub_u32_e32 v3, v3, v5
	s_addc_u32 s3, s21, 0
	s_add_i32 s7, s7, -2
	v_mul_lo_u32 v5, v3, s19
	v_mul_lo_u32 v9, v3, s24
	;; [unrolled: 1-line block ×3, first 2 shown]
	s_cmp_lg_u32 s7, 0
	v_add3_u32 v0, v6, v0, v5
	v_add3_u32 v2, v8, v2, v3
	;; [unrolled: 1-line block ×3, first 2 shown]
	s_cbranch_scc1 .LBB36_56
; %bb.57:
	s_bitcmp1_b32 s6, 0
	s_cselect_b64 s[6:7], -1, 0
	s_and_b64 vcc, exec, s[6:7]
	s_cbranch_vccnz .LBB36_60
; %bb.58:
	s_load_dwordx2 s[6:7], s[2:3], 0x18
	s_load_dword s14, s[2:3], 0x20
	s_load_dword s15, s[2:3], 0xe0
	s_load_dwordx2 s[12:13], s[2:3], 0xd8
	s_waitcnt lgkmcnt(0)
	v_mul_hi_u32 v3, s7, v1
	v_add_u32_e32 v3, v1, v3
	v_lshrrev_b32_e32 v3, s14, v3
	v_mul_lo_u32 v3, v3, s6
	v_sub_u32_e32 v3, v1, v3
	v_mad_u64_u32 v[0:1], s[2:3], v3, s12, v[0:1]
	v_mad_u64_u32 v[4:5], s[2:3], v3, s13, v[4:5]
	;; [unrolled: 1-line block ×3, first 2 shown]
	s_cbranch_execz .LBB36_61
	s_branch .LBB36_63
.LBB36_59:
                                        ; implicit-def: $vgpr2
                                        ; implicit-def: $vgpr4
                                        ; implicit-def: $vgpr0
	s_branch .LBB36_61
.LBB36_60:
	s_cbranch_execnz .LBB36_63
.LBB36_61:
	s_load_dwordx4 s[12:15], s[4:5], 0x4
	s_load_dwordx4 s[16:19], s[4:5], 0xc4
	s_cmp_lt_u32 s33, 2
	s_waitcnt lgkmcnt(0)
	v_mul_hi_u32 v0, s13, v12
	v_add_u32_e32 v0, v12, v0
	v_lshrrev_b32_e32 v1, s14, v0
	v_mul_lo_u32 v0, v1, s12
	v_sub_u32_e32 v3, v12, v0
	v_mul_lo_u32 v0, v3, s16
	v_mul_lo_u32 v2, v3, s18
	v_mul_lo_u32 v4, v3, s17
	s_cbranch_scc1 .LBB36_63
; %bb.62:
	s_load_dwordx4 s[12:15], s[4:5], 0x10
	s_load_dwordx4 s[16:19], s[4:5], 0xd0
	s_waitcnt lgkmcnt(0)
	v_mul_hi_u32 v3, s13, v1
	v_add_u32_e32 v3, v1, v3
	v_lshrrev_b32_e32 v3, s14, v3
	v_mul_lo_u32 v3, v3, s12
	v_sub_u32_e32 v3, v1, v3
	v_mad_u64_u32 v[0:1], s[2:3], v3, s16, v[0:1]
	v_mad_u64_u32 v[4:5], s[2:3], v3, s17, v[4:5]
	;; [unrolled: 1-line block ×3, first 2 shown]
.LBB36_63:
	s_and_b64 vcc, exec, s[0:1]
	v_add_u32_e32 v1, 0x80, v12
	s_cbranch_vccnz .LBB36_69
; %bb.64:
	s_cmp_lg_u32 s33, 0
	v_mov_b32_e32 v8, 0
	v_mov_b32_e32 v10, 0
	v_mov_b32_e32 v6, 0
	s_cbranch_scc0 .LBB36_70
; %bb.65:
	s_min_u32 s6, s34, 15
	s_add_i32 s2, s6, 1
	s_and_b32 s7, s2, 30
	s_add_u32 s2, s4, 0xffffffec
	s_addc_u32 s3, s5, -1
	v_mov_b32_e32 v6, 0
	v_mov_b32_e32 v3, v1
	;; [unrolled: 1-line block ×4, first 2 shown]
.LBB36_66:                              ; =>This Inner Loop Header: Depth=1
	s_mov_b64 s[20:21], s[2:3]
	s_load_dwordx4 s[12:15], s[20:21], 0x18
	s_load_dwordx2 s[22:23], s[20:21], 0x28
	s_load_dwordx2 s[24:25], s[20:21], 0xe8
	s_load_dwordx4 s[16:19], s[20:21], 0xd8
	s_add_u32 s2, s20, 24
	s_waitcnt lgkmcnt(0)
	v_mul_hi_u32 v5, s13, v3
	v_add_u32_e32 v5, v3, v5
	v_lshrrev_b32_e32 v5, s14, v5
	v_mul_lo_u32 v7, v5, s12
	v_mul_hi_u32 v9, s22, v5
	v_sub_u32_e32 v3, v3, v7
	v_add_u32_e32 v7, v5, v9
	v_mul_lo_u32 v9, v3, s16
	v_mul_lo_u32 v11, v3, s17
	;; [unrolled: 1-line block ×3, first 2 shown]
	v_lshrrev_b32_e32 v3, s23, v7
	v_mul_lo_u32 v7, v3, s15
	v_sub_u32_e32 v5, v5, v7
	s_addc_u32 s3, s21, 0
	s_add_i32 s7, s7, -2
	v_mul_lo_u32 v7, v5, s19
	v_mul_lo_u32 v14, v5, s24
	;; [unrolled: 1-line block ×3, first 2 shown]
	s_cmp_lg_u32 s7, 0
	v_add3_u32 v6, v9, v6, v7
	v_add3_u32 v8, v13, v8, v5
	;; [unrolled: 1-line block ×3, first 2 shown]
	s_cbranch_scc1 .LBB36_66
; %bb.67:
	s_bitcmp1_b32 s6, 0
	s_cselect_b64 s[6:7], -1, 0
	s_and_b64 vcc, exec, s[6:7]
	s_cbranch_vccnz .LBB36_70
; %bb.68:
	s_load_dwordx2 s[6:7], s[2:3], 0x18
	s_load_dword s14, s[2:3], 0x20
	s_load_dword s15, s[2:3], 0xe0
	s_load_dwordx2 s[12:13], s[2:3], 0xd8
	s_waitcnt lgkmcnt(0)
	v_mul_hi_u32 v5, s7, v3
	v_add_u32_e32 v5, v3, v5
	v_lshrrev_b32_e32 v5, s14, v5
	v_mul_lo_u32 v5, v5, s6
	v_sub_u32_e32 v3, v3, v5
	v_mad_u64_u32 v[6:7], s[2:3], v3, s12, v[6:7]
	v_mad_u64_u32 v[10:11], s[2:3], v3, s13, v[10:11]
	;; [unrolled: 1-line block ×3, first 2 shown]
	s_cbranch_execz .LBB36_71
	s_branch .LBB36_73
.LBB36_69:
                                        ; implicit-def: $vgpr8
                                        ; implicit-def: $vgpr10
                                        ; implicit-def: $vgpr6
	s_branch .LBB36_71
.LBB36_70:
	s_cbranch_execnz .LBB36_73
.LBB36_71:
	s_load_dwordx4 s[12:15], s[4:5], 0x4
	s_load_dwordx4 s[16:19], s[4:5], 0xc4
	s_cmp_lt_u32 s33, 2
	s_waitcnt lgkmcnt(0)
	v_mul_hi_u32 v3, s13, v1
	v_add_u32_e32 v3, v1, v3
	v_lshrrev_b32_e32 v3, s14, v3
	v_mul_lo_u32 v5, v3, s12
	v_sub_u32_e32 v1, v1, v5
	v_mul_lo_u32 v6, v1, s16
	v_mul_lo_u32 v8, v1, s18
	;; [unrolled: 1-line block ×3, first 2 shown]
	s_cbranch_scc1 .LBB36_73
; %bb.72:
	s_load_dwordx4 s[12:15], s[4:5], 0x10
	s_load_dwordx4 s[16:19], s[4:5], 0xd0
	s_waitcnt lgkmcnt(0)
	v_mul_hi_u32 v1, s13, v3
	v_add_u32_e32 v1, v3, v1
	v_lshrrev_b32_e32 v1, s14, v1
	v_mul_lo_u32 v1, v1, s12
	v_sub_u32_e32 v1, v3, v1
	v_mad_u64_u32 v[6:7], s[2:3], v1, s16, v[6:7]
	v_mad_u64_u32 v[10:11], s[2:3], v1, s17, v[10:11]
	;; [unrolled: 1-line block ×3, first 2 shown]
.LBB36_73:
	s_and_b64 vcc, exec, s[0:1]
	v_add_u32_e32 v1, 0x100, v12
	s_cbranch_vccnz .LBB36_79
; %bb.74:
	s_cmp_lg_u32 s33, 0
	v_mov_b32_e32 v14, 0
	v_mov_b32_e32 v16, 0
	v_mov_b32_e32 v12, 0
	s_cbranch_scc0 .LBB36_80
; %bb.75:
	s_min_u32 s6, s34, 15
	s_add_i32 s2, s6, 1
	s_and_b32 s7, s2, 30
	s_add_u32 s2, s4, 0xffffffec
	s_addc_u32 s3, s5, -1
	v_mov_b32_e32 v12, 0
	v_mov_b32_e32 v3, v1
	;; [unrolled: 1-line block ×4, first 2 shown]
.LBB36_76:                              ; =>This Inner Loop Header: Depth=1
	s_mov_b64 s[20:21], s[2:3]
	s_load_dwordx4 s[12:15], s[20:21], 0x18
	s_load_dwordx2 s[22:23], s[20:21], 0x28
	s_load_dwordx2 s[24:25], s[20:21], 0xe8
	s_load_dwordx4 s[16:19], s[20:21], 0xd8
	s_add_u32 s2, s20, 24
	s_waitcnt lgkmcnt(0)
	v_mul_hi_u32 v5, s13, v3
	v_add_u32_e32 v5, v3, v5
	v_lshrrev_b32_e32 v5, s14, v5
	v_mul_lo_u32 v7, v5, s12
	v_mul_hi_u32 v9, s22, v5
	v_sub_u32_e32 v3, v3, v7
	v_add_u32_e32 v7, v5, v9
	v_mul_lo_u32 v9, v3, s16
	v_mul_lo_u32 v11, v3, s17
	;; [unrolled: 1-line block ×3, first 2 shown]
	v_lshrrev_b32_e32 v3, s23, v7
	v_mul_lo_u32 v7, v3, s15
	v_sub_u32_e32 v5, v5, v7
	s_addc_u32 s3, s21, 0
	s_add_i32 s7, s7, -2
	v_mul_lo_u32 v7, v5, s19
	v_mul_lo_u32 v15, v5, s24
	;; [unrolled: 1-line block ×3, first 2 shown]
	s_cmp_lg_u32 s7, 0
	v_add3_u32 v12, v9, v12, v7
	v_add3_u32 v14, v13, v14, v5
	;; [unrolled: 1-line block ×3, first 2 shown]
	s_cbranch_scc1 .LBB36_76
; %bb.77:
	s_bitcmp1_b32 s6, 0
	s_cselect_b64 s[6:7], -1, 0
	s_and_b64 vcc, exec, s[6:7]
	s_cbranch_vccnz .LBB36_80
; %bb.78:
	s_load_dwordx2 s[6:7], s[2:3], 0x18
	s_load_dword s14, s[2:3], 0x20
	s_load_dword s15, s[2:3], 0xe0
	s_load_dwordx2 s[12:13], s[2:3], 0xd8
	s_waitcnt lgkmcnt(0)
	v_mul_hi_u32 v5, s7, v3
	v_add_u32_e32 v5, v3, v5
	v_lshrrev_b32_e32 v5, s14, v5
	v_mul_lo_u32 v5, v5, s6
	v_sub_u32_e32 v3, v3, v5
	v_mad_u64_u32 v[12:13], s[2:3], v3, s12, v[12:13]
	v_mad_u64_u32 v[16:17], s[2:3], v3, s13, v[16:17]
	;; [unrolled: 1-line block ×3, first 2 shown]
	s_cbranch_execz .LBB36_81
	s_branch .LBB36_83
.LBB36_79:
                                        ; implicit-def: $vgpr14
                                        ; implicit-def: $vgpr16
                                        ; implicit-def: $vgpr12
	s_branch .LBB36_81
.LBB36_80:
	s_cbranch_execnz .LBB36_83
.LBB36_81:
	s_load_dwordx4 s[12:15], s[4:5], 0x4
	s_load_dwordx4 s[16:19], s[4:5], 0xc4
	s_cmp_lt_u32 s33, 2
	s_waitcnt lgkmcnt(0)
	v_mul_hi_u32 v3, s13, v1
	v_add_u32_e32 v3, v1, v3
	v_lshrrev_b32_e32 v3, s14, v3
	v_mul_lo_u32 v5, v3, s12
	v_sub_u32_e32 v1, v1, v5
	v_mul_lo_u32 v12, v1, s16
	v_mul_lo_u32 v14, v1, s18
	;; [unrolled: 1-line block ×3, first 2 shown]
	s_cbranch_scc1 .LBB36_83
; %bb.82:
	s_load_dwordx4 s[12:15], s[4:5], 0x10
	s_load_dwordx4 s[16:19], s[4:5], 0xd0
	s_waitcnt lgkmcnt(0)
	v_mul_hi_u32 v1, s13, v3
	v_add_u32_e32 v1, v3, v1
	v_lshrrev_b32_e32 v1, s14, v1
	v_mul_lo_u32 v1, v1, s12
	v_sub_u32_e32 v1, v3, v1
	v_mad_u64_u32 v[12:13], s[2:3], v1, s16, v[12:13]
	v_mad_u64_u32 v[16:17], s[2:3], v1, s17, v[16:17]
	;; [unrolled: 1-line block ×3, first 2 shown]
.LBB36_83:
	s_and_b64 vcc, exec, s[0:1]
	s_cbranch_vccnz .LBB36_89
; %bb.84:
	s_cmp_lg_u32 s33, 0
	v_mov_b32_e32 v20, 0
	v_mov_b32_e32 v22, 0
	;; [unrolled: 1-line block ×3, first 2 shown]
	s_cbranch_scc0 .LBB36_90
; %bb.85:
	s_min_u32 s2, s34, 15
	s_add_i32 s0, s2, 1
	s_and_b32 s3, s0, 30
	s_add_u32 s0, s4, 0xffffffec
	s_addc_u32 s1, s5, -1
	v_mov_b32_e32 v18, 0
	v_mov_b32_e32 v1, v24
	v_mov_b32_e32 v22, 0
	v_mov_b32_e32 v20, 0
.LBB36_86:                              ; =>This Inner Loop Header: Depth=1
	s_mov_b64 s[6:7], s[0:1]
	s_load_dwordx4 s[12:15], s[6:7], 0x18
	s_load_dwordx2 s[20:21], s[6:7], 0x28
	s_load_dwordx2 s[22:23], s[6:7], 0xe8
	s_load_dwordx4 s[16:19], s[6:7], 0xd8
	s_add_u32 s0, s6, 24
	s_waitcnt lgkmcnt(0)
	v_mul_hi_u32 v3, s13, v1
	v_add_u32_e32 v3, v1, v3
	v_lshrrev_b32_e32 v3, s14, v3
	v_mul_lo_u32 v5, v3, s12
	v_mul_hi_u32 v7, s20, v3
	v_sub_u32_e32 v1, v1, v5
	v_add_u32_e32 v5, v3, v7
	v_mul_lo_u32 v7, v1, s16
	v_mul_lo_u32 v9, v1, s17
	;; [unrolled: 1-line block ×3, first 2 shown]
	v_lshrrev_b32_e32 v1, s21, v5
	v_mul_lo_u32 v5, v1, s15
	v_sub_u32_e32 v3, v3, v5
	s_addc_u32 s1, s7, 0
	s_add_i32 s3, s3, -2
	v_mul_lo_u32 v5, v3, s19
	v_mul_lo_u32 v13, v3, s22
	;; [unrolled: 1-line block ×3, first 2 shown]
	s_cmp_lg_u32 s3, 0
	v_add3_u32 v18, v7, v18, v5
	v_add3_u32 v20, v11, v20, v3
	;; [unrolled: 1-line block ×3, first 2 shown]
	s_cbranch_scc1 .LBB36_86
; %bb.87:
	s_bitcmp1_b32 s2, 0
	s_cselect_b64 s[2:3], -1, 0
	s_and_b64 vcc, exec, s[2:3]
	s_cbranch_vccnz .LBB36_90
; %bb.88:
	s_load_dwordx2 s[2:3], s[0:1], 0x18
	s_load_dword s12, s[0:1], 0x20
	s_load_dword s13, s[0:1], 0xe0
	s_load_dwordx2 s[6:7], s[0:1], 0xd8
	s_waitcnt lgkmcnt(0)
	v_mul_hi_u32 v3, s3, v1
	v_add_u32_e32 v3, v1, v3
	v_lshrrev_b32_e32 v3, s12, v3
	v_mul_lo_u32 v3, v3, s2
	v_sub_u32_e32 v1, v1, v3
	v_mad_u64_u32 v[18:19], s[0:1], v1, s6, v[18:19]
	v_mad_u64_u32 v[22:23], s[0:1], v1, s7, v[22:23]
	;; [unrolled: 1-line block ×3, first 2 shown]
	s_cbranch_execz .LBB36_91
	s_branch .LBB36_93
.LBB36_89:
                                        ; implicit-def: $vgpr20
                                        ; implicit-def: $vgpr22
                                        ; implicit-def: $vgpr18
	s_branch .LBB36_91
.LBB36_90:
	s_cbranch_execnz .LBB36_93
.LBB36_91:
	s_load_dwordx4 s[0:3], s[4:5], 0x4
	s_load_dwordx4 s[12:15], s[4:5], 0xc4
	s_cmp_lt_u32 s33, 2
	s_waitcnt lgkmcnt(0)
	v_mul_hi_u32 v1, s1, v24
	v_add_u32_e32 v1, v24, v1
	v_lshrrev_b32_e32 v1, s2, v1
	v_mul_lo_u32 v3, v1, s0
	v_sub_u32_e32 v3, v24, v3
	v_mul_lo_u32 v18, v3, s12
	v_mul_lo_u32 v20, v3, s14
	;; [unrolled: 1-line block ×3, first 2 shown]
	s_cbranch_scc1 .LBB36_93
; %bb.92:
	s_load_dwordx4 s[0:3], s[4:5], 0x10
	s_load_dwordx4 s[12:15], s[4:5], 0xd0
	s_waitcnt lgkmcnt(0)
	v_mul_hi_u32 v3, s1, v1
	v_add_u32_e32 v3, v1, v3
	v_lshrrev_b32_e32 v3, s2, v3
	v_mul_lo_u32 v3, v3, s0
	v_sub_u32_e32 v1, v1, v3
	v_mad_u64_u32 v[18:19], s[0:1], v1, s12, v[18:19]
	v_mad_u64_u32 v[22:23], s[0:1], v1, s13, v[22:23]
	;; [unrolled: 1-line block ×3, first 2 shown]
.LBB36_93:
	s_load_dwordx4 s[0:3], s[4:5], 0x188
	s_load_dwordx2 s[6:7], s[4:5], 0x198
	s_or_b64 s[8:9], s[8:9], exec
	s_waitcnt lgkmcnt(0)
	global_load_ushort v1, v4, s[2:3]
	global_load_ushort v5, v10, s[2:3]
	global_load_ushort v7, v16, s[2:3]
	global_load_ushort v9, v22, s[2:3]
	global_load_dword v11, v2, s[6:7]
	global_load_dword v13, v8, s[6:7]
	;; [unrolled: 1-line block ×4, first 2 shown]
	v_mov_b32_e32 v3, s1
	v_add_co_u32_e32 v2, vcc, s0, v18
	v_addc_co_u32_e32 v3, vcc, 0, v3, vcc
	s_movk_i32 s2, 0x7fff
	v_mov_b32_e32 v4, 0x7fc0
	s_waitcnt vmcnt(7)
	v_lshlrev_b32_e32 v1, 16, v1
	s_waitcnt vmcnt(6)
	v_lshlrev_b32_e32 v5, 16, v5
	v_cmp_lt_f32_e32 vcc, 0, v1
	s_waitcnt vmcnt(4)
	v_lshlrev_b32_e32 v8, 16, v9
	s_waitcnt vmcnt(3)
	v_mul_f32_e32 v9, v11, v1
	v_lshlrev_b32_e32 v7, 16, v7
	s_waitcnt vmcnt(2)
	v_mul_f32_e32 v10, v13, v5
	v_cndmask_b32_e32 v9, v9, v1, vcc
	v_cmp_lt_f32_e32 vcc, 0, v5
	s_waitcnt vmcnt(1)
	v_mul_f32_e32 v11, v15, v7
	v_cndmask_b32_e32 v5, v10, v5, vcc
	v_cmp_lt_f32_e32 vcc, 0, v7
	;; [unrolled: 4-line block ×3, first 2 shown]
	v_cndmask_b32_e32 v1, v13, v8, vcc
	v_bfe_u32 v8, v9, 16, 1
	v_bfe_u32 v10, v5, 16, 1
	v_add3_u32 v8, v9, v8, s2
	v_bfe_u32 v11, v7, 16, 1
	v_add3_u32 v10, v5, v10, s2
	v_lshrrev_b32_e32 v8, 16, v8
	v_cmp_o_f32_e32 vcc, v9, v9
	v_add3_u32 v11, v7, v11, s2
	v_lshrrev_b32_e32 v10, 16, v10
	v_cndmask_b32_e32 v8, v4, v8, vcc
	v_cmp_o_f32_e32 vcc, v5, v5
	v_lshrrev_b32_e32 v11, 16, v11
	v_cndmask_b32_e32 v5, v4, v10, vcc
	v_cmp_o_f32_e32 vcc, v7, v7
	v_cndmask_b32_e32 v4, v4, v11, vcc
	global_store_short v0, v8, s[0:1]
	global_store_short v6, v5, s[0:1]
	;; [unrolled: 1-line block ×3, first 2 shown]
	s_or_b64 exec, exec, s[10:11]
	s_and_saveexec_b64 s[0:1], s[8:9]
	s_cbranch_execz .LBB36_3
.LBB36_94:
	v_bfe_u32 v0, v1, 16, 1
	s_movk_i32 s0, 0x7fff
	v_add3_u32 v0, v1, v0, s0
	v_lshrrev_b32_e32 v0, 16, v0
	v_mov_b32_e32 v4, 0x7fc0
	v_cmp_o_f32_e32 vcc, v1, v1
	v_cndmask_b32_e32 v0, v4, v0, vcc
	global_store_short v[2:3], v0, off
	s_endpgm
	.section	.rodata,"a",@progbits
	.p2align	6, 0x0
	.amdhsa_kernel _ZN2at6native32elementwise_kernel_manual_unrollILi128ELi4EZNS0_12_GLOBAL__N_142type_specialized_broadcast_kernel_launcherILi2EE5applyIZZZNS0_12prelu_kernelERNS_14TensorIteratorEENKUlvE_clEvENKUlvE0_clEvEUlffE_St5arrayIPcLm3EESB_IN3c1010ScalarTypeELm3EE16OffsetCalculatorILi3EjLb0EEEEvlT_T0_T1_T2_EUlibE_EEviSL_
		.amdhsa_group_segment_fixed_size 0
		.amdhsa_private_segment_fixed_size 0
		.amdhsa_kernarg_size 432
		.amdhsa_user_sgpr_count 6
		.amdhsa_user_sgpr_private_segment_buffer 1
		.amdhsa_user_sgpr_dispatch_ptr 0
		.amdhsa_user_sgpr_queue_ptr 0
		.amdhsa_user_sgpr_kernarg_segment_ptr 1
		.amdhsa_user_sgpr_dispatch_id 0
		.amdhsa_user_sgpr_flat_scratch_init 0
		.amdhsa_user_sgpr_kernarg_preload_length 0
		.amdhsa_user_sgpr_kernarg_preload_offset 0
		.amdhsa_user_sgpr_private_segment_size 0
		.amdhsa_uses_dynamic_stack 0
		.amdhsa_system_sgpr_private_segment_wavefront_offset 0
		.amdhsa_system_sgpr_workgroup_id_x 1
		.amdhsa_system_sgpr_workgroup_id_y 0
		.amdhsa_system_sgpr_workgroup_id_z 0
		.amdhsa_system_sgpr_workgroup_info 0
		.amdhsa_system_vgpr_workitem_id 0
		.amdhsa_next_free_vgpr 25
		.amdhsa_next_free_sgpr 52
		.amdhsa_accum_offset 28
		.amdhsa_reserve_vcc 1
		.amdhsa_reserve_flat_scratch 0
		.amdhsa_float_round_mode_32 0
		.amdhsa_float_round_mode_16_64 0
		.amdhsa_float_denorm_mode_32 3
		.amdhsa_float_denorm_mode_16_64 3
		.amdhsa_dx10_clamp 1
		.amdhsa_ieee_mode 1
		.amdhsa_fp16_overflow 0
		.amdhsa_tg_split 0
		.amdhsa_exception_fp_ieee_invalid_op 0
		.amdhsa_exception_fp_denorm_src 0
		.amdhsa_exception_fp_ieee_div_zero 0
		.amdhsa_exception_fp_ieee_overflow 0
		.amdhsa_exception_fp_ieee_underflow 0
		.amdhsa_exception_fp_ieee_inexact 0
		.amdhsa_exception_int_div_zero 0
	.end_amdhsa_kernel
	.section	.text._ZN2at6native32elementwise_kernel_manual_unrollILi128ELi4EZNS0_12_GLOBAL__N_142type_specialized_broadcast_kernel_launcherILi2EE5applyIZZZNS0_12prelu_kernelERNS_14TensorIteratorEENKUlvE_clEvENKUlvE0_clEvEUlffE_St5arrayIPcLm3EESB_IN3c1010ScalarTypeELm3EE16OffsetCalculatorILi3EjLb0EEEEvlT_T0_T1_T2_EUlibE_EEviSL_,"axG",@progbits,_ZN2at6native32elementwise_kernel_manual_unrollILi128ELi4EZNS0_12_GLOBAL__N_142type_specialized_broadcast_kernel_launcherILi2EE5applyIZZZNS0_12prelu_kernelERNS_14TensorIteratorEENKUlvE_clEvENKUlvE0_clEvEUlffE_St5arrayIPcLm3EESB_IN3c1010ScalarTypeELm3EE16OffsetCalculatorILi3EjLb0EEEEvlT_T0_T1_T2_EUlibE_EEviSL_,comdat
.Lfunc_end36:
	.size	_ZN2at6native32elementwise_kernel_manual_unrollILi128ELi4EZNS0_12_GLOBAL__N_142type_specialized_broadcast_kernel_launcherILi2EE5applyIZZZNS0_12prelu_kernelERNS_14TensorIteratorEENKUlvE_clEvENKUlvE0_clEvEUlffE_St5arrayIPcLm3EESB_IN3c1010ScalarTypeELm3EE16OffsetCalculatorILi3EjLb0EEEEvlT_T0_T1_T2_EUlibE_EEviSL_, .Lfunc_end36-_ZN2at6native32elementwise_kernel_manual_unrollILi128ELi4EZNS0_12_GLOBAL__N_142type_specialized_broadcast_kernel_launcherILi2EE5applyIZZZNS0_12prelu_kernelERNS_14TensorIteratorEENKUlvE_clEvENKUlvE0_clEvEUlffE_St5arrayIPcLm3EESB_IN3c1010ScalarTypeELm3EE16OffsetCalculatorILi3EjLb0EEEEvlT_T0_T1_T2_EUlibE_EEviSL_
                                        ; -- End function
	.section	.AMDGPU.csdata,"",@progbits
; Kernel info:
; codeLenInByte = 5084
; NumSgprs: 56
; NumVgprs: 25
; NumAgprs: 0
; TotalNumVgprs: 25
; ScratchSize: 0
; MemoryBound: 0
; FloatMode: 240
; IeeeMode: 1
; LDSByteSize: 0 bytes/workgroup (compile time only)
; SGPRBlocks: 6
; VGPRBlocks: 3
; NumSGPRsForWavesPerEU: 56
; NumVGPRsForWavesPerEU: 25
; AccumOffset: 28
; Occupancy: 8
; WaveLimiterHint : 1
; COMPUTE_PGM_RSRC2:SCRATCH_EN: 0
; COMPUTE_PGM_RSRC2:USER_SGPR: 6
; COMPUTE_PGM_RSRC2:TRAP_HANDLER: 0
; COMPUTE_PGM_RSRC2:TGID_X_EN: 1
; COMPUTE_PGM_RSRC2:TGID_Y_EN: 0
; COMPUTE_PGM_RSRC2:TGID_Z_EN: 0
; COMPUTE_PGM_RSRC2:TIDIG_COMP_CNT: 0
; COMPUTE_PGM_RSRC3_GFX90A:ACCUM_OFFSET: 6
; COMPUTE_PGM_RSRC3_GFX90A:TG_SPLIT: 0
	.section	.text._ZN2at6native32elementwise_kernel_manual_unrollILi128ELi4EZNS0_12_GLOBAL__N_142type_specialized_broadcast_kernel_launcherILi3EE5applyIZZZNS0_12prelu_kernelERNS_14TensorIteratorEENKUlvE_clEvENKUlvE0_clEvEUlffE_St5arrayIPcLm3EESB_IN3c1010ScalarTypeELm3EE16OffsetCalculatorILi3EjLb0EEEEvlT_T0_T1_T2_EUlibE_EEviSL_,"axG",@progbits,_ZN2at6native32elementwise_kernel_manual_unrollILi128ELi4EZNS0_12_GLOBAL__N_142type_specialized_broadcast_kernel_launcherILi3EE5applyIZZZNS0_12prelu_kernelERNS_14TensorIteratorEENKUlvE_clEvENKUlvE0_clEvEUlffE_St5arrayIPcLm3EESB_IN3c1010ScalarTypeELm3EE16OffsetCalculatorILi3EjLb0EEEEvlT_T0_T1_T2_EUlibE_EEviSL_,comdat
	.globl	_ZN2at6native32elementwise_kernel_manual_unrollILi128ELi4EZNS0_12_GLOBAL__N_142type_specialized_broadcast_kernel_launcherILi3EE5applyIZZZNS0_12prelu_kernelERNS_14TensorIteratorEENKUlvE_clEvENKUlvE0_clEvEUlffE_St5arrayIPcLm3EESB_IN3c1010ScalarTypeELm3EE16OffsetCalculatorILi3EjLb0EEEEvlT_T0_T1_T2_EUlibE_EEviSL_ ; -- Begin function _ZN2at6native32elementwise_kernel_manual_unrollILi128ELi4EZNS0_12_GLOBAL__N_142type_specialized_broadcast_kernel_launcherILi3EE5applyIZZZNS0_12prelu_kernelERNS_14TensorIteratorEENKUlvE_clEvENKUlvE0_clEvEUlffE_St5arrayIPcLm3EESB_IN3c1010ScalarTypeELm3EE16OffsetCalculatorILi3EjLb0EEEEvlT_T0_T1_T2_EUlibE_EEviSL_
	.p2align	8
	.type	_ZN2at6native32elementwise_kernel_manual_unrollILi128ELi4EZNS0_12_GLOBAL__N_142type_specialized_broadcast_kernel_launcherILi3EE5applyIZZZNS0_12prelu_kernelERNS_14TensorIteratorEENKUlvE_clEvENKUlvE0_clEvEUlffE_St5arrayIPcLm3EESB_IN3c1010ScalarTypeELm3EE16OffsetCalculatorILi3EjLb0EEEEvlT_T0_T1_T2_EUlibE_EEviSL_,@function
_ZN2at6native32elementwise_kernel_manual_unrollILi128ELi4EZNS0_12_GLOBAL__N_142type_specialized_broadcast_kernel_launcherILi3EE5applyIZZZNS0_12prelu_kernelERNS_14TensorIteratorEENKUlvE_clEvENKUlvE0_clEvEUlffE_St5arrayIPcLm3EESB_IN3c1010ScalarTypeELm3EE16OffsetCalculatorILi3EjLb0EEEEvlT_T0_T1_T2_EUlibE_EEviSL_: ; @_ZN2at6native32elementwise_kernel_manual_unrollILi128ELi4EZNS0_12_GLOBAL__N_142type_specialized_broadcast_kernel_launcherILi3EE5applyIZZZNS0_12prelu_kernelERNS_14TensorIteratorEENKUlvE_clEvENKUlvE0_clEvEUlffE_St5arrayIPcLm3EESB_IN3c1010ScalarTypeELm3EE16OffsetCalculatorILi3EjLb0EEEEvlT_T0_T1_T2_EUlibE_EEviSL_
; %bb.0:
	s_load_dword s36, s[4:5], 0x0
	s_load_dword s33, s[4:5], 0x8
	s_or_b32 s4, s4, 8
	v_lshl_or_b32 v12, s6, 9, v0
	v_or_b32_e32 v24, 0x180, v12
	s_waitcnt lgkmcnt(0)
	v_cmp_le_i32_e32 vcc, s36, v24
	s_add_i32 s34, s33, -1
	s_cmp_gt_u32 s34, 1
	s_cselect_b64 s[6:7], -1, 0
	s_and_saveexec_b64 s[0:1], vcc
	s_xor_b64 s[16:17], exec, s[0:1]
	s_cbranch_execz .LBB37_50
; %bb.1:
	s_load_dwordx4 s[12:15], s[4:5], 0x4
	s_load_dwordx2 s[22:23], s[4:5], 0x14
	s_load_dwordx4 s[8:11], s[4:5], 0xc4
	s_load_dwordx2 s[20:21], s[4:5], 0xd4
	s_load_dwordx2 s[18:19], s[4:5], 0x198
	s_load_dwordx4 s[0:3], s[4:5], 0x188
	s_cmp_lg_u32 s33, 0
	s_cselect_b64 s[26:27], -1, 0
	s_min_u32 s35, s34, 15
	s_cmp_gt_u32 s33, 1
	s_cselect_b64 s[24:25], -1, 0
	v_cmp_gt_i32_e32 vcc, s36, v12
	s_and_saveexec_b64 s[28:29], vcc
	s_cbranch_execnz .LBB37_5
; %bb.2:
	s_or_b64 exec, exec, s[28:29]
	v_cmp_gt_i32_e32 vcc, s36, v12
	s_and_saveexec_b64 s[28:29], vcc
	s_cbranch_execnz .LBB37_16
.LBB37_3:
	s_or_b64 exec, exec, s[28:29]
	v_cmp_gt_i32_e32 vcc, s36, v12
	s_and_saveexec_b64 s[28:29], vcc
	s_cbranch_execnz .LBB37_27
.LBB37_4:
	s_or_b64 exec, exec, s[28:29]
	v_cmp_gt_i32_e32 vcc, s36, v12
	s_and_saveexec_b64 s[28:29], vcc
	s_cbranch_execnz .LBB37_38
	s_branch .LBB37_49
.LBB37_5:
	s_andn2_b64 vcc, exec, s[6:7]
	s_cbranch_vccnz .LBB37_12
; %bb.6:
	s_andn2_b64 vcc, exec, s[26:27]
	v_mov_b32_e32 v2, 0
	v_mov_b32_e32 v4, 0
	;; [unrolled: 1-line block ×3, first 2 shown]
	s_cbranch_vccnz .LBB37_11
; %bb.7:
	s_add_i32 s30, s35, 1
	s_and_b32 s37, s30, 30
	s_add_u32 s30, s4, 0xffffffec
	s_addc_u32 s31, s5, -1
	v_mov_b32_e32 v0, 0
	v_mov_b32_e32 v1, v12
	;; [unrolled: 1-line block ×4, first 2 shown]
.LBB37_8:                               ; =>This Inner Loop Header: Depth=1
	s_mov_b64 s[38:39], s[30:31]
	s_load_dwordx4 s[40:43], s[38:39], 0x18
	s_load_dwordx2 s[48:49], s[38:39], 0x28
	s_load_dwordx2 s[50:51], s[38:39], 0xe8
	s_load_dwordx4 s[44:47], s[38:39], 0xd8
	s_add_u32 s30, s38, 24
	s_waitcnt lgkmcnt(0)
	v_mul_hi_u32 v3, s41, v1
	v_add_u32_e32 v3, v1, v3
	v_lshrrev_b32_e32 v3, s42, v3
	v_mul_lo_u32 v5, v3, s40
	v_mul_hi_u32 v6, s48, v3
	v_sub_u32_e32 v1, v1, v5
	v_add_u32_e32 v5, v3, v6
	v_mul_lo_u32 v6, v1, s44
	v_mul_lo_u32 v7, v1, s45
	v_mul_lo_u32 v8, v1, s46
	v_lshrrev_b32_e32 v1, s49, v5
	v_mul_lo_u32 v5, v1, s43
	v_sub_u32_e32 v3, v3, v5
	s_addc_u32 s31, s39, 0
	s_add_i32 s37, s37, -2
	v_mul_lo_u32 v5, v3, s47
	v_mul_lo_u32 v9, v3, s50
	v_mul_lo_u32 v3, v3, s51
	s_cmp_lg_u32 s37, 0
	v_add3_u32 v0, v6, v0, v5
	v_add3_u32 v2, v8, v2, v3
	;; [unrolled: 1-line block ×3, first 2 shown]
	s_cbranch_scc1 .LBB37_8
; %bb.9:
	s_bitcmp1_b32 s35, 0
	s_cselect_b64 s[38:39], -1, 0
	s_and_b64 vcc, exec, s[38:39]
	s_cbranch_vccnz .LBB37_11
; %bb.10:
	s_load_dwordx2 s[38:39], s[30:31], 0x18
	s_load_dword s37, s[30:31], 0x20
	s_load_dword s42, s[30:31], 0xe0
	s_load_dwordx2 s[40:41], s[30:31], 0xd8
	s_waitcnt lgkmcnt(0)
	v_mul_hi_u32 v3, s39, v1
	v_add_u32_e32 v3, v1, v3
	v_lshrrev_b32_e32 v3, s37, v3
	v_mul_lo_u32 v3, v3, s38
	v_sub_u32_e32 v3, v1, v3
	v_mad_u64_u32 v[0:1], s[30:31], v3, s40, v[0:1]
	v_mad_u64_u32 v[4:5], s[30:31], v3, s41, v[4:5]
	;; [unrolled: 1-line block ×3, first 2 shown]
.LBB37_11:
	s_cbranch_execz .LBB37_13
	s_branch .LBB37_15
.LBB37_12:
                                        ; implicit-def: $vgpr2
                                        ; implicit-def: $vgpr4
                                        ; implicit-def: $vgpr0
.LBB37_13:
	s_waitcnt lgkmcnt(0)
	v_mul_hi_u32 v0, s13, v12
	v_add_u32_e32 v0, v12, v0
	v_lshrrev_b32_e32 v1, s14, v0
	v_mul_lo_u32 v0, v1, s12
	v_sub_u32_e32 v3, v12, v0
	v_mul_lo_u32 v0, v3, s8
	v_mul_lo_u32 v2, v3, s10
	s_andn2_b64 vcc, exec, s[24:25]
	v_mul_lo_u32 v4, v3, s9
	s_cbranch_vccnz .LBB37_15
; %bb.14:
	v_mul_hi_u32 v3, s22, v1
	v_add_u32_e32 v3, v1, v3
	v_lshrrev_b32_e32 v3, s23, v3
	v_mul_lo_u32 v3, v3, s15
	v_sub_u32_e32 v3, v1, v3
	v_mad_u64_u32 v[0:1], s[30:31], v3, s11, v[0:1]
	v_mad_u64_u32 v[4:5], s[30:31], v3, s20, v[4:5]
	;; [unrolled: 1-line block ×3, first 2 shown]
.LBB37_15:
	s_waitcnt lgkmcnt(0)
	global_load_ushort v1, v2, s[18:19]
	global_load_dword v3, v4, s[2:3]
	v_add_u32_e32 v12, 0x80, v12
	s_waitcnt vmcnt(1)
	v_cvt_f32_f16_e32 v1, v1
	s_waitcnt vmcnt(0)
	v_cmp_lt_f32_e32 vcc, 0, v3
	v_mul_f32_e32 v1, v3, v1
	v_cndmask_b32_e32 v1, v1, v3, vcc
	global_store_dword v0, v1, s[0:1]
	s_or_b64 exec, exec, s[28:29]
	v_cmp_gt_i32_e32 vcc, s36, v12
	s_and_saveexec_b64 s[28:29], vcc
	s_cbranch_execz .LBB37_3
.LBB37_16:
	s_andn2_b64 vcc, exec, s[6:7]
	s_cbranch_vccnz .LBB37_23
; %bb.17:
	s_andn2_b64 vcc, exec, s[26:27]
	v_mov_b32_e32 v2, 0
	v_mov_b32_e32 v4, 0
	;; [unrolled: 1-line block ×3, first 2 shown]
	s_cbranch_vccnz .LBB37_22
; %bb.18:
	s_add_i32 s30, s35, 1
	s_and_b32 s37, s30, 30
	s_add_u32 s30, s4, 0xffffffec
	s_addc_u32 s31, s5, -1
	v_mov_b32_e32 v0, 0
	v_mov_b32_e32 v1, v12
	v_mov_b32_e32 v4, 0
	v_mov_b32_e32 v2, 0
.LBB37_19:                              ; =>This Inner Loop Header: Depth=1
	s_mov_b64 s[38:39], s[30:31]
	s_load_dwordx4 s[40:43], s[38:39], 0x18
	s_load_dwordx2 s[48:49], s[38:39], 0x28
	s_load_dwordx2 s[50:51], s[38:39], 0xe8
	s_load_dwordx4 s[44:47], s[38:39], 0xd8
	s_add_u32 s30, s38, 24
	s_waitcnt lgkmcnt(0)
	v_mul_hi_u32 v3, s41, v1
	v_add_u32_e32 v3, v1, v3
	v_lshrrev_b32_e32 v3, s42, v3
	v_mul_lo_u32 v5, v3, s40
	v_mul_hi_u32 v6, s48, v3
	v_sub_u32_e32 v1, v1, v5
	v_add_u32_e32 v5, v3, v6
	v_mul_lo_u32 v6, v1, s44
	v_mul_lo_u32 v7, v1, s45
	;; [unrolled: 1-line block ×3, first 2 shown]
	v_lshrrev_b32_e32 v1, s49, v5
	v_mul_lo_u32 v5, v1, s43
	v_sub_u32_e32 v3, v3, v5
	s_addc_u32 s31, s39, 0
	s_add_i32 s37, s37, -2
	v_mul_lo_u32 v5, v3, s47
	v_mul_lo_u32 v9, v3, s50
	;; [unrolled: 1-line block ×3, first 2 shown]
	s_cmp_eq_u32 s37, 0
	v_add3_u32 v0, v6, v0, v5
	v_add3_u32 v2, v8, v2, v3
	;; [unrolled: 1-line block ×3, first 2 shown]
	s_cbranch_scc0 .LBB37_19
; %bb.20:
	s_bitcmp1_b32 s35, 0
	s_cselect_b64 s[38:39], -1, 0
	s_and_b64 vcc, exec, s[38:39]
	s_cbranch_vccnz .LBB37_22
; %bb.21:
	s_load_dwordx2 s[38:39], s[30:31], 0x18
	s_load_dword s37, s[30:31], 0x20
	s_load_dword s42, s[30:31], 0xe0
	s_load_dwordx2 s[40:41], s[30:31], 0xd8
	s_waitcnt lgkmcnt(0)
	v_mul_hi_u32 v3, s39, v1
	v_add_u32_e32 v3, v1, v3
	v_lshrrev_b32_e32 v3, s37, v3
	v_mul_lo_u32 v3, v3, s38
	v_sub_u32_e32 v3, v1, v3
	v_mad_u64_u32 v[0:1], s[30:31], v3, s40, v[0:1]
	v_mad_u64_u32 v[4:5], s[30:31], v3, s41, v[4:5]
	;; [unrolled: 1-line block ×3, first 2 shown]
.LBB37_22:
	s_cbranch_execz .LBB37_24
	s_branch .LBB37_26
.LBB37_23:
                                        ; implicit-def: $vgpr2
                                        ; implicit-def: $vgpr4
                                        ; implicit-def: $vgpr0
.LBB37_24:
	s_waitcnt lgkmcnt(0)
	v_mul_hi_u32 v0, s13, v12
	v_add_u32_e32 v0, v12, v0
	v_lshrrev_b32_e32 v1, s14, v0
	v_mul_lo_u32 v0, v1, s12
	v_sub_u32_e32 v3, v12, v0
	v_mul_lo_u32 v0, v3, s8
	v_mul_lo_u32 v2, v3, s10
	s_andn2_b64 vcc, exec, s[24:25]
	v_mul_lo_u32 v4, v3, s9
	s_cbranch_vccnz .LBB37_26
; %bb.25:
	v_mul_hi_u32 v3, s22, v1
	v_add_u32_e32 v3, v1, v3
	v_lshrrev_b32_e32 v3, s23, v3
	v_mul_lo_u32 v3, v3, s15
	v_sub_u32_e32 v3, v1, v3
	v_mad_u64_u32 v[0:1], s[30:31], v3, s11, v[0:1]
	v_mad_u64_u32 v[4:5], s[30:31], v3, s20, v[4:5]
	;; [unrolled: 1-line block ×3, first 2 shown]
.LBB37_26:
	s_waitcnt lgkmcnt(0)
	global_load_ushort v1, v2, s[18:19]
	global_load_dword v3, v4, s[2:3]
	v_add_u32_e32 v12, 0x80, v12
	s_waitcnt vmcnt(1)
	v_cvt_f32_f16_e32 v1, v1
	s_waitcnt vmcnt(0)
	v_cmp_lt_f32_e32 vcc, 0, v3
	v_mul_f32_e32 v1, v3, v1
	v_cndmask_b32_e32 v1, v1, v3, vcc
	global_store_dword v0, v1, s[0:1]
	s_or_b64 exec, exec, s[28:29]
	v_cmp_gt_i32_e32 vcc, s36, v12
	s_and_saveexec_b64 s[28:29], vcc
	s_cbranch_execz .LBB37_4
.LBB37_27:
	s_andn2_b64 vcc, exec, s[6:7]
	s_cbranch_vccnz .LBB37_34
; %bb.28:
	s_andn2_b64 vcc, exec, s[26:27]
	v_mov_b32_e32 v2, 0
	v_mov_b32_e32 v4, 0
	;; [unrolled: 1-line block ×3, first 2 shown]
	s_cbranch_vccnz .LBB37_33
; %bb.29:
	s_add_i32 s30, s35, 1
	s_and_b32 s37, s30, 30
	s_add_u32 s30, s4, 0xffffffec
	s_addc_u32 s31, s5, -1
	v_mov_b32_e32 v0, 0
	v_mov_b32_e32 v1, v12
	;; [unrolled: 1-line block ×4, first 2 shown]
.LBB37_30:                              ; =>This Inner Loop Header: Depth=1
	s_mov_b64 s[38:39], s[30:31]
	s_load_dwordx4 s[40:43], s[38:39], 0x18
	s_load_dwordx2 s[48:49], s[38:39], 0x28
	s_load_dwordx2 s[50:51], s[38:39], 0xe8
	s_load_dwordx4 s[44:47], s[38:39], 0xd8
	s_add_u32 s30, s38, 24
	s_waitcnt lgkmcnt(0)
	v_mul_hi_u32 v3, s41, v1
	v_add_u32_e32 v3, v1, v3
	v_lshrrev_b32_e32 v3, s42, v3
	v_mul_lo_u32 v5, v3, s40
	v_mul_hi_u32 v6, s48, v3
	v_sub_u32_e32 v1, v1, v5
	v_add_u32_e32 v5, v3, v6
	v_mul_lo_u32 v6, v1, s44
	v_mul_lo_u32 v7, v1, s45
	;; [unrolled: 1-line block ×3, first 2 shown]
	v_lshrrev_b32_e32 v1, s49, v5
	v_mul_lo_u32 v5, v1, s43
	v_sub_u32_e32 v3, v3, v5
	s_addc_u32 s31, s39, 0
	s_add_i32 s37, s37, -2
	v_mul_lo_u32 v5, v3, s47
	v_mul_lo_u32 v9, v3, s50
	;; [unrolled: 1-line block ×3, first 2 shown]
	s_cmp_eq_u32 s37, 0
	v_add3_u32 v0, v6, v0, v5
	v_add3_u32 v2, v8, v2, v3
	;; [unrolled: 1-line block ×3, first 2 shown]
	s_cbranch_scc0 .LBB37_30
; %bb.31:
	s_bitcmp1_b32 s35, 0
	s_cselect_b64 s[38:39], -1, 0
	s_and_b64 vcc, exec, s[38:39]
	s_cbranch_vccnz .LBB37_33
; %bb.32:
	s_load_dwordx2 s[38:39], s[30:31], 0x18
	s_load_dword s37, s[30:31], 0x20
	s_load_dword s42, s[30:31], 0xe0
	s_load_dwordx2 s[40:41], s[30:31], 0xd8
	s_waitcnt lgkmcnt(0)
	v_mul_hi_u32 v3, s39, v1
	v_add_u32_e32 v3, v1, v3
	v_lshrrev_b32_e32 v3, s37, v3
	v_mul_lo_u32 v3, v3, s38
	v_sub_u32_e32 v3, v1, v3
	v_mad_u64_u32 v[0:1], s[30:31], v3, s40, v[0:1]
	v_mad_u64_u32 v[4:5], s[30:31], v3, s41, v[4:5]
	;; [unrolled: 1-line block ×3, first 2 shown]
.LBB37_33:
	s_cbranch_execz .LBB37_35
	s_branch .LBB37_37
.LBB37_34:
                                        ; implicit-def: $vgpr2
                                        ; implicit-def: $vgpr4
                                        ; implicit-def: $vgpr0
.LBB37_35:
	s_waitcnt lgkmcnt(0)
	v_mul_hi_u32 v0, s13, v12
	v_add_u32_e32 v0, v12, v0
	v_lshrrev_b32_e32 v1, s14, v0
	v_mul_lo_u32 v0, v1, s12
	v_sub_u32_e32 v3, v12, v0
	v_mul_lo_u32 v0, v3, s8
	v_mul_lo_u32 v2, v3, s10
	s_andn2_b64 vcc, exec, s[24:25]
	v_mul_lo_u32 v4, v3, s9
	s_cbranch_vccnz .LBB37_37
; %bb.36:
	v_mul_hi_u32 v3, s22, v1
	v_add_u32_e32 v3, v1, v3
	v_lshrrev_b32_e32 v3, s23, v3
	v_mul_lo_u32 v3, v3, s15
	v_sub_u32_e32 v3, v1, v3
	v_mad_u64_u32 v[0:1], s[30:31], v3, s11, v[0:1]
	v_mad_u64_u32 v[4:5], s[30:31], v3, s20, v[4:5]
	;; [unrolled: 1-line block ×3, first 2 shown]
.LBB37_37:
	s_waitcnt lgkmcnt(0)
	global_load_ushort v1, v2, s[18:19]
	global_load_dword v3, v4, s[2:3]
	v_add_u32_e32 v12, 0x80, v12
	s_waitcnt vmcnt(1)
	v_cvt_f32_f16_e32 v1, v1
	s_waitcnt vmcnt(0)
	v_cmp_lt_f32_e32 vcc, 0, v3
	v_mul_f32_e32 v1, v3, v1
	v_cndmask_b32_e32 v1, v1, v3, vcc
	global_store_dword v0, v1, s[0:1]
	s_or_b64 exec, exec, s[28:29]
	v_cmp_gt_i32_e32 vcc, s36, v12
	s_and_saveexec_b64 s[28:29], vcc
	s_cbranch_execz .LBB37_49
.LBB37_38:
	s_andn2_b64 vcc, exec, s[6:7]
	s_cbranch_vccnz .LBB37_45
; %bb.39:
	s_andn2_b64 vcc, exec, s[26:27]
	v_mov_b32_e32 v2, 0
	v_mov_b32_e32 v4, 0
	;; [unrolled: 1-line block ×3, first 2 shown]
	s_cbranch_vccnz .LBB37_44
; %bb.40:
	s_add_i32 s26, s35, 1
	s_and_b32 s30, s26, 30
	s_add_u32 s26, s4, 0xffffffec
	s_addc_u32 s27, s5, -1
	v_mov_b32_e32 v0, 0
	v_mov_b32_e32 v1, v12
	v_mov_b32_e32 v4, 0
	v_mov_b32_e32 v2, 0
.LBB37_41:                              ; =>This Inner Loop Header: Depth=1
	s_mov_b64 s[44:45], s[26:27]
	s_load_dwordx4 s[36:39], s[44:45], 0x18
	s_load_dwordx2 s[46:47], s[44:45], 0x28
	s_load_dwordx2 s[48:49], s[44:45], 0xe8
	s_load_dwordx4 s[40:43], s[44:45], 0xd8
	s_add_u32 s26, s44, 24
	s_waitcnt lgkmcnt(0)
	v_mul_hi_u32 v3, s37, v1
	v_add_u32_e32 v3, v1, v3
	v_lshrrev_b32_e32 v3, s38, v3
	v_mul_lo_u32 v5, v3, s36
	v_mul_hi_u32 v6, s46, v3
	v_sub_u32_e32 v1, v1, v5
	v_add_u32_e32 v5, v3, v6
	v_mul_lo_u32 v6, v1, s40
	v_mul_lo_u32 v7, v1, s41
	;; [unrolled: 1-line block ×3, first 2 shown]
	v_lshrrev_b32_e32 v1, s47, v5
	v_mul_lo_u32 v5, v1, s39
	v_sub_u32_e32 v3, v3, v5
	s_addc_u32 s27, s45, 0
	s_add_i32 s30, s30, -2
	v_mul_lo_u32 v5, v3, s43
	v_mul_lo_u32 v9, v3, s48
	;; [unrolled: 1-line block ×3, first 2 shown]
	s_cmp_eq_u32 s30, 0
	v_add3_u32 v0, v6, v0, v5
	v_add3_u32 v2, v8, v2, v3
	;; [unrolled: 1-line block ×3, first 2 shown]
	s_cbranch_scc0 .LBB37_41
; %bb.42:
	s_bitcmp1_b32 s35, 0
	s_cselect_b64 s[30:31], -1, 0
	s_and_b64 vcc, exec, s[30:31]
	s_cbranch_vccnz .LBB37_44
; %bb.43:
	s_load_dwordx2 s[30:31], s[26:27], 0x18
	s_load_dword s35, s[26:27], 0x20
	s_load_dword s38, s[26:27], 0xe0
	s_load_dwordx2 s[36:37], s[26:27], 0xd8
	s_waitcnt lgkmcnt(0)
	v_mul_hi_u32 v3, s31, v1
	v_add_u32_e32 v3, v1, v3
	v_lshrrev_b32_e32 v3, s35, v3
	v_mul_lo_u32 v3, v3, s30
	v_sub_u32_e32 v3, v1, v3
	v_mad_u64_u32 v[0:1], s[26:27], v3, s36, v[0:1]
	v_mad_u64_u32 v[4:5], s[26:27], v3, s37, v[4:5]
	;; [unrolled: 1-line block ×3, first 2 shown]
.LBB37_44:
	s_cbranch_execz .LBB37_46
	s_branch .LBB37_48
.LBB37_45:
                                        ; implicit-def: $vgpr2
                                        ; implicit-def: $vgpr4
                                        ; implicit-def: $vgpr0
.LBB37_46:
	s_waitcnt lgkmcnt(0)
	v_mul_hi_u32 v0, s13, v12
	v_add_u32_e32 v0, v12, v0
	v_lshrrev_b32_e32 v1, s14, v0
	v_mul_lo_u32 v0, v1, s12
	v_sub_u32_e32 v3, v12, v0
	v_mul_lo_u32 v0, v3, s8
	v_mul_lo_u32 v2, v3, s10
	s_andn2_b64 vcc, exec, s[24:25]
	v_mul_lo_u32 v4, v3, s9
	s_cbranch_vccnz .LBB37_48
; %bb.47:
	v_mul_hi_u32 v3, s22, v1
	v_add_u32_e32 v3, v1, v3
	v_lshrrev_b32_e32 v3, s23, v3
	v_mul_lo_u32 v3, v3, s15
	v_sub_u32_e32 v3, v1, v3
	v_mad_u64_u32 v[0:1], s[8:9], v3, s11, v[0:1]
	v_mad_u64_u32 v[4:5], s[8:9], v3, s20, v[4:5]
	;; [unrolled: 1-line block ×3, first 2 shown]
.LBB37_48:
	s_waitcnt lgkmcnt(0)
	global_load_ushort v1, v2, s[18:19]
	global_load_dword v3, v4, s[2:3]
	s_waitcnt vmcnt(1)
	v_cvt_f32_f16_e32 v1, v1
	s_waitcnt vmcnt(0)
	v_cmp_lt_f32_e32 vcc, 0, v3
	v_mul_f32_e32 v1, v3, v1
	v_cndmask_b32_e32 v1, v1, v3, vcc
	global_store_dword v0, v1, s[0:1]
.LBB37_49:
	s_or_b64 exec, exec, s[28:29]
                                        ; implicit-def: $vgpr24
                                        ; implicit-def: $vgpr12
.LBB37_50:
	s_waitcnt lgkmcnt(0)
	s_andn2_saveexec_b64 s[0:1], s[16:17]
	s_cbranch_execz .LBB37_57
; %bb.51:
	v_cndmask_b32_e64 v0, 0, 1, s[6:7]
	v_cmp_ne_u32_e64 s[0:1], 1, v0
	s_andn2_b64 vcc, exec, s[6:7]
	s_cbranch_vccnz .LBB37_58
; %bb.52:
	s_cmp_lg_u32 s33, 0
	v_mov_b32_e32 v2, 0
	v_mov_b32_e32 v4, 0
	;; [unrolled: 1-line block ×3, first 2 shown]
	s_cbranch_scc0 .LBB37_59
; %bb.53:
	s_min_u32 s6, s34, 15
	s_add_i32 s2, s6, 1
	s_and_b32 s7, s2, 30
	s_add_u32 s2, s4, 0xffffffec
	s_addc_u32 s3, s5, -1
	v_mov_b32_e32 v0, 0
	v_mov_b32_e32 v1, v12
	v_mov_b32_e32 v4, 0
	v_mov_b32_e32 v2, 0
.LBB37_54:                              ; =>This Inner Loop Header: Depth=1
	s_mov_b64 s[16:17], s[2:3]
	s_load_dwordx4 s[8:11], s[16:17], 0x18
	s_load_dwordx2 s[18:19], s[16:17], 0x28
	s_load_dwordx2 s[20:21], s[16:17], 0xe8
	s_load_dwordx4 s[12:15], s[16:17], 0xd8
	s_add_u32 s2, s16, 24
	s_waitcnt lgkmcnt(0)
	v_mul_hi_u32 v3, s9, v1
	v_add_u32_e32 v3, v1, v3
	v_lshrrev_b32_e32 v3, s10, v3
	v_mul_lo_u32 v5, v3, s8
	v_mul_hi_u32 v6, s18, v3
	v_sub_u32_e32 v1, v1, v5
	v_add_u32_e32 v5, v3, v6
	v_mul_lo_u32 v6, v1, s12
	v_mul_lo_u32 v7, v1, s13
	;; [unrolled: 1-line block ×3, first 2 shown]
	v_lshrrev_b32_e32 v1, s19, v5
	v_mul_lo_u32 v5, v1, s11
	v_sub_u32_e32 v3, v3, v5
	s_addc_u32 s3, s17, 0
	s_add_i32 s7, s7, -2
	v_mul_lo_u32 v5, v3, s15
	v_mul_lo_u32 v9, v3, s20
	;; [unrolled: 1-line block ×3, first 2 shown]
	s_cmp_lg_u32 s7, 0
	v_add3_u32 v0, v6, v0, v5
	v_add3_u32 v2, v8, v2, v3
	v_add3_u32 v4, v7, v4, v9
	s_cbranch_scc1 .LBB37_54
; %bb.55:
	s_bitcmp1_b32 s6, 0
	s_cselect_b64 s[6:7], -1, 0
	s_and_b64 vcc, exec, s[6:7]
	s_cbranch_vccnz .LBB37_59
; %bb.56:
	s_load_dwordx2 s[6:7], s[2:3], 0x18
	s_load_dword s10, s[2:3], 0x20
	s_load_dword s11, s[2:3], 0xe0
	s_load_dwordx2 s[8:9], s[2:3], 0xd8
	s_waitcnt lgkmcnt(0)
	v_mul_hi_u32 v3, s7, v1
	v_add_u32_e32 v3, v1, v3
	v_lshrrev_b32_e32 v3, s10, v3
	v_mul_lo_u32 v3, v3, s6
	v_sub_u32_e32 v3, v1, v3
	v_mad_u64_u32 v[0:1], s[2:3], v3, s8, v[0:1]
	v_mad_u64_u32 v[4:5], s[2:3], v3, s9, v[4:5]
	;; [unrolled: 1-line block ×3, first 2 shown]
	s_cbranch_execz .LBB37_60
	s_branch .LBB37_62
.LBB37_57:
	s_endpgm
.LBB37_58:
                                        ; implicit-def: $vgpr2
                                        ; implicit-def: $vgpr4
                                        ; implicit-def: $vgpr0
	s_branch .LBB37_60
.LBB37_59:
	s_cbranch_execnz .LBB37_62
.LBB37_60:
	s_load_dwordx4 s[8:11], s[4:5], 0x4
	s_load_dwordx4 s[12:15], s[4:5], 0xc4
	s_cmp_lt_u32 s33, 2
	s_waitcnt lgkmcnt(0)
	v_mul_hi_u32 v0, s9, v12
	v_add_u32_e32 v0, v12, v0
	v_lshrrev_b32_e32 v1, s10, v0
	v_mul_lo_u32 v0, v1, s8
	v_sub_u32_e32 v3, v12, v0
	v_mul_lo_u32 v0, v3, s12
	v_mul_lo_u32 v2, v3, s14
	;; [unrolled: 1-line block ×3, first 2 shown]
	s_cbranch_scc1 .LBB37_62
; %bb.61:
	s_load_dwordx4 s[8:11], s[4:5], 0x10
	s_load_dwordx4 s[12:15], s[4:5], 0xd0
	s_waitcnt lgkmcnt(0)
	v_mul_hi_u32 v3, s9, v1
	v_add_u32_e32 v3, v1, v3
	v_lshrrev_b32_e32 v3, s10, v3
	v_mul_lo_u32 v3, v3, s8
	v_sub_u32_e32 v3, v1, v3
	v_mad_u64_u32 v[0:1], s[2:3], v3, s12, v[0:1]
	v_mad_u64_u32 v[4:5], s[2:3], v3, s13, v[4:5]
	;; [unrolled: 1-line block ×3, first 2 shown]
.LBB37_62:
	s_and_b64 vcc, exec, s[0:1]
	v_add_u32_e32 v1, 0x80, v12
	s_cbranch_vccnz .LBB37_68
; %bb.63:
	s_cmp_lg_u32 s33, 0
	v_mov_b32_e32 v8, 0
	v_mov_b32_e32 v10, 0
	;; [unrolled: 1-line block ×3, first 2 shown]
	s_cbranch_scc0 .LBB37_69
; %bb.64:
	s_min_u32 s6, s34, 15
	s_add_i32 s2, s6, 1
	s_and_b32 s7, s2, 30
	s_add_u32 s2, s4, 0xffffffec
	s_addc_u32 s3, s5, -1
	v_mov_b32_e32 v6, 0
	v_mov_b32_e32 v3, v1
	;; [unrolled: 1-line block ×4, first 2 shown]
.LBB37_65:                              ; =>This Inner Loop Header: Depth=1
	s_mov_b64 s[16:17], s[2:3]
	s_load_dwordx4 s[8:11], s[16:17], 0x18
	s_load_dwordx2 s[18:19], s[16:17], 0x28
	s_load_dwordx2 s[20:21], s[16:17], 0xe8
	s_load_dwordx4 s[12:15], s[16:17], 0xd8
	s_add_u32 s2, s16, 24
	s_waitcnt lgkmcnt(0)
	v_mul_hi_u32 v5, s9, v3
	v_add_u32_e32 v5, v3, v5
	v_lshrrev_b32_e32 v5, s10, v5
	v_mul_lo_u32 v7, v5, s8
	v_mul_hi_u32 v9, s18, v5
	v_sub_u32_e32 v3, v3, v7
	v_add_u32_e32 v7, v5, v9
	v_mul_lo_u32 v9, v3, s12
	v_mul_lo_u32 v11, v3, s13
	;; [unrolled: 1-line block ×3, first 2 shown]
	v_lshrrev_b32_e32 v3, s19, v7
	v_mul_lo_u32 v7, v3, s11
	v_sub_u32_e32 v5, v5, v7
	s_addc_u32 s3, s17, 0
	s_add_i32 s7, s7, -2
	v_mul_lo_u32 v7, v5, s15
	v_mul_lo_u32 v14, v5, s20
	;; [unrolled: 1-line block ×3, first 2 shown]
	s_cmp_lg_u32 s7, 0
	v_add3_u32 v6, v9, v6, v7
	v_add3_u32 v8, v13, v8, v5
	;; [unrolled: 1-line block ×3, first 2 shown]
	s_cbranch_scc1 .LBB37_65
; %bb.66:
	s_bitcmp1_b32 s6, 0
	s_cselect_b64 s[6:7], -1, 0
	s_and_b64 vcc, exec, s[6:7]
	s_cbranch_vccnz .LBB37_69
; %bb.67:
	s_load_dwordx2 s[6:7], s[2:3], 0x18
	s_load_dword s10, s[2:3], 0x20
	s_load_dword s11, s[2:3], 0xe0
	s_load_dwordx2 s[8:9], s[2:3], 0xd8
	s_waitcnt lgkmcnt(0)
	v_mul_hi_u32 v5, s7, v3
	v_add_u32_e32 v5, v3, v5
	v_lshrrev_b32_e32 v5, s10, v5
	v_mul_lo_u32 v5, v5, s6
	v_sub_u32_e32 v3, v3, v5
	v_mad_u64_u32 v[6:7], s[2:3], v3, s8, v[6:7]
	v_mad_u64_u32 v[10:11], s[2:3], v3, s9, v[10:11]
	;; [unrolled: 1-line block ×3, first 2 shown]
	s_cbranch_execz .LBB37_70
	s_branch .LBB37_72
.LBB37_68:
                                        ; implicit-def: $vgpr8
                                        ; implicit-def: $vgpr10
                                        ; implicit-def: $vgpr6
	s_branch .LBB37_70
.LBB37_69:
	s_cbranch_execnz .LBB37_72
.LBB37_70:
	s_load_dwordx4 s[8:11], s[4:5], 0x4
	s_load_dwordx4 s[12:15], s[4:5], 0xc4
	s_cmp_lt_u32 s33, 2
	s_waitcnt lgkmcnt(0)
	v_mul_hi_u32 v3, s9, v1
	v_add_u32_e32 v3, v1, v3
	v_lshrrev_b32_e32 v3, s10, v3
	v_mul_lo_u32 v5, v3, s8
	v_sub_u32_e32 v1, v1, v5
	v_mul_lo_u32 v6, v1, s12
	v_mul_lo_u32 v8, v1, s14
	;; [unrolled: 1-line block ×3, first 2 shown]
	s_cbranch_scc1 .LBB37_72
; %bb.71:
	s_load_dwordx4 s[8:11], s[4:5], 0x10
	s_load_dwordx4 s[12:15], s[4:5], 0xd0
	s_waitcnt lgkmcnt(0)
	v_mul_hi_u32 v1, s9, v3
	v_add_u32_e32 v1, v3, v1
	v_lshrrev_b32_e32 v1, s10, v1
	v_mul_lo_u32 v1, v1, s8
	v_sub_u32_e32 v1, v3, v1
	v_mad_u64_u32 v[6:7], s[2:3], v1, s12, v[6:7]
	v_mad_u64_u32 v[10:11], s[2:3], v1, s13, v[10:11]
	;; [unrolled: 1-line block ×3, first 2 shown]
.LBB37_72:
	s_and_b64 vcc, exec, s[0:1]
	v_add_u32_e32 v1, 0x100, v12
	s_cbranch_vccnz .LBB37_78
; %bb.73:
	s_cmp_lg_u32 s33, 0
	v_mov_b32_e32 v14, 0
	v_mov_b32_e32 v16, 0
	;; [unrolled: 1-line block ×3, first 2 shown]
	s_cbranch_scc0 .LBB37_79
; %bb.74:
	s_min_u32 s6, s34, 15
	s_add_i32 s2, s6, 1
	s_and_b32 s7, s2, 30
	s_add_u32 s2, s4, 0xffffffec
	s_addc_u32 s3, s5, -1
	v_mov_b32_e32 v12, 0
	v_mov_b32_e32 v3, v1
	;; [unrolled: 1-line block ×4, first 2 shown]
.LBB37_75:                              ; =>This Inner Loop Header: Depth=1
	s_mov_b64 s[16:17], s[2:3]
	s_load_dwordx4 s[8:11], s[16:17], 0x18
	s_load_dwordx2 s[18:19], s[16:17], 0x28
	s_load_dwordx2 s[20:21], s[16:17], 0xe8
	s_load_dwordx4 s[12:15], s[16:17], 0xd8
	s_add_u32 s2, s16, 24
	s_waitcnt lgkmcnt(0)
	v_mul_hi_u32 v5, s9, v3
	v_add_u32_e32 v5, v3, v5
	v_lshrrev_b32_e32 v5, s10, v5
	v_mul_lo_u32 v7, v5, s8
	v_mul_hi_u32 v9, s18, v5
	v_sub_u32_e32 v3, v3, v7
	v_add_u32_e32 v7, v5, v9
	v_mul_lo_u32 v9, v3, s12
	v_mul_lo_u32 v11, v3, s13
	;; [unrolled: 1-line block ×3, first 2 shown]
	v_lshrrev_b32_e32 v3, s19, v7
	v_mul_lo_u32 v7, v3, s11
	v_sub_u32_e32 v5, v5, v7
	s_addc_u32 s3, s17, 0
	s_add_i32 s7, s7, -2
	v_mul_lo_u32 v7, v5, s15
	v_mul_lo_u32 v15, v5, s20
	;; [unrolled: 1-line block ×3, first 2 shown]
	s_cmp_lg_u32 s7, 0
	v_add3_u32 v12, v9, v12, v7
	v_add3_u32 v14, v13, v14, v5
	;; [unrolled: 1-line block ×3, first 2 shown]
	s_cbranch_scc1 .LBB37_75
; %bb.76:
	s_bitcmp1_b32 s6, 0
	s_cselect_b64 s[6:7], -1, 0
	s_and_b64 vcc, exec, s[6:7]
	s_cbranch_vccnz .LBB37_79
; %bb.77:
	s_load_dwordx2 s[6:7], s[2:3], 0x18
	s_load_dword s10, s[2:3], 0x20
	s_load_dword s11, s[2:3], 0xe0
	s_load_dwordx2 s[8:9], s[2:3], 0xd8
	s_waitcnt lgkmcnt(0)
	v_mul_hi_u32 v5, s7, v3
	v_add_u32_e32 v5, v3, v5
	v_lshrrev_b32_e32 v5, s10, v5
	v_mul_lo_u32 v5, v5, s6
	v_sub_u32_e32 v3, v3, v5
	v_mad_u64_u32 v[12:13], s[2:3], v3, s8, v[12:13]
	v_mad_u64_u32 v[16:17], s[2:3], v3, s9, v[16:17]
	;; [unrolled: 1-line block ×3, first 2 shown]
	s_cbranch_execz .LBB37_80
	s_branch .LBB37_82
.LBB37_78:
                                        ; implicit-def: $vgpr14
                                        ; implicit-def: $vgpr16
                                        ; implicit-def: $vgpr12
	s_branch .LBB37_80
.LBB37_79:
	s_cbranch_execnz .LBB37_82
.LBB37_80:
	s_load_dwordx4 s[8:11], s[4:5], 0x4
	s_load_dwordx4 s[12:15], s[4:5], 0xc4
	s_cmp_lt_u32 s33, 2
	s_waitcnt lgkmcnt(0)
	v_mul_hi_u32 v3, s9, v1
	v_add_u32_e32 v3, v1, v3
	v_lshrrev_b32_e32 v3, s10, v3
	v_mul_lo_u32 v5, v3, s8
	v_sub_u32_e32 v1, v1, v5
	v_mul_lo_u32 v12, v1, s12
	v_mul_lo_u32 v14, v1, s14
	;; [unrolled: 1-line block ×3, first 2 shown]
	s_cbranch_scc1 .LBB37_82
; %bb.81:
	s_load_dwordx4 s[8:11], s[4:5], 0x10
	s_load_dwordx4 s[12:15], s[4:5], 0xd0
	s_waitcnt lgkmcnt(0)
	v_mul_hi_u32 v1, s9, v3
	v_add_u32_e32 v1, v3, v1
	v_lshrrev_b32_e32 v1, s10, v1
	v_mul_lo_u32 v1, v1, s8
	v_sub_u32_e32 v1, v3, v1
	v_mad_u64_u32 v[12:13], s[2:3], v1, s12, v[12:13]
	v_mad_u64_u32 v[16:17], s[2:3], v1, s13, v[16:17]
	;; [unrolled: 1-line block ×3, first 2 shown]
.LBB37_82:
	s_and_b64 vcc, exec, s[0:1]
	s_cbranch_vccnz .LBB37_88
; %bb.83:
	s_cmp_lg_u32 s33, 0
	v_mov_b32_e32 v20, 0
	v_mov_b32_e32 v22, 0
	v_mov_b32_e32 v18, 0
	s_cbranch_scc0 .LBB37_89
; %bb.84:
	s_min_u32 s2, s34, 15
	s_add_i32 s0, s2, 1
	s_and_b32 s3, s0, 30
	s_add_u32 s0, s4, 0xffffffec
	s_addc_u32 s1, s5, -1
	v_mov_b32_e32 v18, 0
	v_mov_b32_e32 v1, v24
	v_mov_b32_e32 v22, 0
	v_mov_b32_e32 v20, 0
.LBB37_85:                              ; =>This Inner Loop Header: Depth=1
	s_mov_b64 s[6:7], s[0:1]
	s_load_dwordx4 s[8:11], s[6:7], 0x18
	s_load_dwordx2 s[16:17], s[6:7], 0x28
	s_load_dwordx2 s[18:19], s[6:7], 0xe8
	s_load_dwordx4 s[12:15], s[6:7], 0xd8
	s_add_u32 s0, s6, 24
	s_waitcnt lgkmcnt(0)
	v_mul_hi_u32 v3, s9, v1
	v_add_u32_e32 v3, v1, v3
	v_lshrrev_b32_e32 v3, s10, v3
	v_mul_lo_u32 v5, v3, s8
	v_mul_hi_u32 v7, s16, v3
	v_sub_u32_e32 v1, v1, v5
	v_add_u32_e32 v5, v3, v7
	v_mul_lo_u32 v7, v1, s12
	v_mul_lo_u32 v9, v1, s13
	v_mul_lo_u32 v11, v1, s14
	v_lshrrev_b32_e32 v1, s17, v5
	v_mul_lo_u32 v5, v1, s11
	v_sub_u32_e32 v3, v3, v5
	s_addc_u32 s1, s7, 0
	s_add_i32 s3, s3, -2
	v_mul_lo_u32 v5, v3, s15
	v_mul_lo_u32 v13, v3, s18
	;; [unrolled: 1-line block ×3, first 2 shown]
	s_cmp_lg_u32 s3, 0
	v_add3_u32 v18, v7, v18, v5
	v_add3_u32 v20, v11, v20, v3
	;; [unrolled: 1-line block ×3, first 2 shown]
	s_cbranch_scc1 .LBB37_85
; %bb.86:
	s_bitcmp1_b32 s2, 0
	s_cselect_b64 s[2:3], -1, 0
	s_and_b64 vcc, exec, s[2:3]
	s_cbranch_vccnz .LBB37_89
; %bb.87:
	s_load_dwordx2 s[2:3], s[0:1], 0x18
	s_load_dword s8, s[0:1], 0x20
	s_load_dword s9, s[0:1], 0xe0
	s_load_dwordx2 s[6:7], s[0:1], 0xd8
	s_waitcnt lgkmcnt(0)
	v_mul_hi_u32 v3, s3, v1
	v_add_u32_e32 v3, v1, v3
	v_lshrrev_b32_e32 v3, s8, v3
	v_mul_lo_u32 v3, v3, s2
	v_sub_u32_e32 v1, v1, v3
	v_mad_u64_u32 v[18:19], s[0:1], v1, s6, v[18:19]
	v_mad_u64_u32 v[22:23], s[0:1], v1, s7, v[22:23]
	;; [unrolled: 1-line block ×3, first 2 shown]
	s_cbranch_execz .LBB37_90
	s_branch .LBB37_92
.LBB37_88:
                                        ; implicit-def: $vgpr20
                                        ; implicit-def: $vgpr22
                                        ; implicit-def: $vgpr18
	s_branch .LBB37_90
.LBB37_89:
	s_cbranch_execnz .LBB37_92
.LBB37_90:
	s_load_dwordx4 s[0:3], s[4:5], 0x4
	s_load_dwordx4 s[8:11], s[4:5], 0xc4
	s_cmp_lt_u32 s33, 2
	s_waitcnt lgkmcnt(0)
	v_mul_hi_u32 v1, s1, v24
	v_add_u32_e32 v1, v24, v1
	v_lshrrev_b32_e32 v1, s2, v1
	v_mul_lo_u32 v3, v1, s0
	v_sub_u32_e32 v3, v24, v3
	v_mul_lo_u32 v18, v3, s8
	v_mul_lo_u32 v20, v3, s10
	;; [unrolled: 1-line block ×3, first 2 shown]
	s_cbranch_scc1 .LBB37_92
; %bb.91:
	s_load_dwordx4 s[0:3], s[4:5], 0x10
	s_load_dwordx4 s[8:11], s[4:5], 0xd0
	s_waitcnt lgkmcnt(0)
	v_mul_hi_u32 v3, s1, v1
	v_add_u32_e32 v3, v1, v3
	v_lshrrev_b32_e32 v3, s2, v3
	v_mul_lo_u32 v3, v3, s0
	v_sub_u32_e32 v1, v1, v3
	v_mad_u64_u32 v[18:19], s[0:1], v1, s8, v[18:19]
	v_mad_u64_u32 v[22:23], s[0:1], v1, s9, v[22:23]
	;; [unrolled: 1-line block ×3, first 2 shown]
.LBB37_92:
	s_load_dwordx2 s[6:7], s[4:5], 0x198
	s_load_dwordx4 s[0:3], s[4:5], 0x188
	s_waitcnt lgkmcnt(0)
	global_load_ushort v1, v2, s[6:7]
	global_load_ushort v3, v8, s[6:7]
	;; [unrolled: 1-line block ×4, first 2 shown]
	global_load_dword v9, v4, s[2:3]
	global_load_dword v11, v10, s[2:3]
	;; [unrolled: 1-line block ×4, first 2 shown]
	s_waitcnt vmcnt(7)
	v_cvt_f32_f16_e32 v1, v1
	s_waitcnt vmcnt(6)
	v_cvt_f32_f16_e32 v2, v3
	;; [unrolled: 2-line block ×4, first 2 shown]
	s_waitcnt vmcnt(3)
	v_mul_f32_e32 v1, v9, v1
	v_cmp_lt_f32_e32 vcc, 0, v9
	s_waitcnt vmcnt(2)
	v_mul_f32_e32 v2, v11, v2
	v_cndmask_b32_e32 v1, v1, v9, vcc
	v_cmp_lt_f32_e32 vcc, 0, v11
	s_waitcnt vmcnt(1)
	v_mul_f32_e32 v3, v13, v3
	v_cndmask_b32_e32 v2, v2, v11, vcc
	;; [unrolled: 4-line block ×3, first 2 shown]
	v_cmp_lt_f32_e32 vcc, 0, v15
	v_cndmask_b32_e32 v4, v4, v15, vcc
	global_store_dword v0, v1, s[0:1]
	global_store_dword v6, v2, s[0:1]
	;; [unrolled: 1-line block ×4, first 2 shown]
	s_endpgm
	.section	.rodata,"a",@progbits
	.p2align	6, 0x0
	.amdhsa_kernel _ZN2at6native32elementwise_kernel_manual_unrollILi128ELi4EZNS0_12_GLOBAL__N_142type_specialized_broadcast_kernel_launcherILi3EE5applyIZZZNS0_12prelu_kernelERNS_14TensorIteratorEENKUlvE_clEvENKUlvE0_clEvEUlffE_St5arrayIPcLm3EESB_IN3c1010ScalarTypeELm3EE16OffsetCalculatorILi3EjLb0EEEEvlT_T0_T1_T2_EUlibE_EEviSL_
		.amdhsa_group_segment_fixed_size 0
		.amdhsa_private_segment_fixed_size 0
		.amdhsa_kernarg_size 432
		.amdhsa_user_sgpr_count 6
		.amdhsa_user_sgpr_private_segment_buffer 1
		.amdhsa_user_sgpr_dispatch_ptr 0
		.amdhsa_user_sgpr_queue_ptr 0
		.amdhsa_user_sgpr_kernarg_segment_ptr 1
		.amdhsa_user_sgpr_dispatch_id 0
		.amdhsa_user_sgpr_flat_scratch_init 0
		.amdhsa_user_sgpr_kernarg_preload_length 0
		.amdhsa_user_sgpr_kernarg_preload_offset 0
		.amdhsa_user_sgpr_private_segment_size 0
		.amdhsa_uses_dynamic_stack 0
		.amdhsa_system_sgpr_private_segment_wavefront_offset 0
		.amdhsa_system_sgpr_workgroup_id_x 1
		.amdhsa_system_sgpr_workgroup_id_y 0
		.amdhsa_system_sgpr_workgroup_id_z 0
		.amdhsa_system_sgpr_workgroup_info 0
		.amdhsa_system_vgpr_workitem_id 0
		.amdhsa_next_free_vgpr 25
		.amdhsa_next_free_sgpr 52
		.amdhsa_accum_offset 28
		.amdhsa_reserve_vcc 1
		.amdhsa_reserve_flat_scratch 0
		.amdhsa_float_round_mode_32 0
		.amdhsa_float_round_mode_16_64 0
		.amdhsa_float_denorm_mode_32 3
		.amdhsa_float_denorm_mode_16_64 3
		.amdhsa_dx10_clamp 1
		.amdhsa_ieee_mode 1
		.amdhsa_fp16_overflow 0
		.amdhsa_tg_split 0
		.amdhsa_exception_fp_ieee_invalid_op 0
		.amdhsa_exception_fp_denorm_src 0
		.amdhsa_exception_fp_ieee_div_zero 0
		.amdhsa_exception_fp_ieee_overflow 0
		.amdhsa_exception_fp_ieee_underflow 0
		.amdhsa_exception_fp_ieee_inexact 0
		.amdhsa_exception_int_div_zero 0
	.end_amdhsa_kernel
	.section	.text._ZN2at6native32elementwise_kernel_manual_unrollILi128ELi4EZNS0_12_GLOBAL__N_142type_specialized_broadcast_kernel_launcherILi3EE5applyIZZZNS0_12prelu_kernelERNS_14TensorIteratorEENKUlvE_clEvENKUlvE0_clEvEUlffE_St5arrayIPcLm3EESB_IN3c1010ScalarTypeELm3EE16OffsetCalculatorILi3EjLb0EEEEvlT_T0_T1_T2_EUlibE_EEviSL_,"axG",@progbits,_ZN2at6native32elementwise_kernel_manual_unrollILi128ELi4EZNS0_12_GLOBAL__N_142type_specialized_broadcast_kernel_launcherILi3EE5applyIZZZNS0_12prelu_kernelERNS_14TensorIteratorEENKUlvE_clEvENKUlvE0_clEvEUlffE_St5arrayIPcLm3EESB_IN3c1010ScalarTypeELm3EE16OffsetCalculatorILi3EjLb0EEEEvlT_T0_T1_T2_EUlibE_EEviSL_,comdat
.Lfunc_end37:
	.size	_ZN2at6native32elementwise_kernel_manual_unrollILi128ELi4EZNS0_12_GLOBAL__N_142type_specialized_broadcast_kernel_launcherILi3EE5applyIZZZNS0_12prelu_kernelERNS_14TensorIteratorEENKUlvE_clEvENKUlvE0_clEvEUlffE_St5arrayIPcLm3EESB_IN3c1010ScalarTypeELm3EE16OffsetCalculatorILi3EjLb0EEEEvlT_T0_T1_T2_EUlibE_EEviSL_, .Lfunc_end37-_ZN2at6native32elementwise_kernel_manual_unrollILi128ELi4EZNS0_12_GLOBAL__N_142type_specialized_broadcast_kernel_launcherILi3EE5applyIZZZNS0_12prelu_kernelERNS_14TensorIteratorEENKUlvE_clEvENKUlvE0_clEvEUlffE_St5arrayIPcLm3EESB_IN3c1010ScalarTypeELm3EE16OffsetCalculatorILi3EjLb0EEEEvlT_T0_T1_T2_EUlibE_EEviSL_
                                        ; -- End function
	.section	.AMDGPU.csdata,"",@progbits
; Kernel info:
; codeLenInByte = 4780
; NumSgprs: 56
; NumVgprs: 25
; NumAgprs: 0
; TotalNumVgprs: 25
; ScratchSize: 0
; MemoryBound: 0
; FloatMode: 240
; IeeeMode: 1
; LDSByteSize: 0 bytes/workgroup (compile time only)
; SGPRBlocks: 6
; VGPRBlocks: 3
; NumSGPRsForWavesPerEU: 56
; NumVGPRsForWavesPerEU: 25
; AccumOffset: 28
; Occupancy: 8
; WaveLimiterHint : 1
; COMPUTE_PGM_RSRC2:SCRATCH_EN: 0
; COMPUTE_PGM_RSRC2:USER_SGPR: 6
; COMPUTE_PGM_RSRC2:TRAP_HANDLER: 0
; COMPUTE_PGM_RSRC2:TGID_X_EN: 1
; COMPUTE_PGM_RSRC2:TGID_Y_EN: 0
; COMPUTE_PGM_RSRC2:TGID_Z_EN: 0
; COMPUTE_PGM_RSRC2:TIDIG_COMP_CNT: 0
; COMPUTE_PGM_RSRC3_GFX90A:ACCUM_OFFSET: 6
; COMPUTE_PGM_RSRC3_GFX90A:TG_SPLIT: 0
	.section	.text._ZN2at6native32elementwise_kernel_manual_unrollILi128ELi4EZNS0_12_GLOBAL__N_142type_specialized_broadcast_kernel_launcherILi4EE5applyIZZZNS0_12prelu_kernelERNS_14TensorIteratorEENKUlvE_clEvENKUlvE0_clEvEUlffE_St5arrayIPcLm3EESB_IN3c1010ScalarTypeELm3EE16OffsetCalculatorILi3EjLb0EEEEvlT_T0_T1_T2_EUlibE_EEviSL_,"axG",@progbits,_ZN2at6native32elementwise_kernel_manual_unrollILi128ELi4EZNS0_12_GLOBAL__N_142type_specialized_broadcast_kernel_launcherILi4EE5applyIZZZNS0_12prelu_kernelERNS_14TensorIteratorEENKUlvE_clEvENKUlvE0_clEvEUlffE_St5arrayIPcLm3EESB_IN3c1010ScalarTypeELm3EE16OffsetCalculatorILi3EjLb0EEEEvlT_T0_T1_T2_EUlibE_EEviSL_,comdat
	.globl	_ZN2at6native32elementwise_kernel_manual_unrollILi128ELi4EZNS0_12_GLOBAL__N_142type_specialized_broadcast_kernel_launcherILi4EE5applyIZZZNS0_12prelu_kernelERNS_14TensorIteratorEENKUlvE_clEvENKUlvE0_clEvEUlffE_St5arrayIPcLm3EESB_IN3c1010ScalarTypeELm3EE16OffsetCalculatorILi3EjLb0EEEEvlT_T0_T1_T2_EUlibE_EEviSL_ ; -- Begin function _ZN2at6native32elementwise_kernel_manual_unrollILi128ELi4EZNS0_12_GLOBAL__N_142type_specialized_broadcast_kernel_launcherILi4EE5applyIZZZNS0_12prelu_kernelERNS_14TensorIteratorEENKUlvE_clEvENKUlvE0_clEvEUlffE_St5arrayIPcLm3EESB_IN3c1010ScalarTypeELm3EE16OffsetCalculatorILi3EjLb0EEEEvlT_T0_T1_T2_EUlibE_EEviSL_
	.p2align	8
	.type	_ZN2at6native32elementwise_kernel_manual_unrollILi128ELi4EZNS0_12_GLOBAL__N_142type_specialized_broadcast_kernel_launcherILi4EE5applyIZZZNS0_12prelu_kernelERNS_14TensorIteratorEENKUlvE_clEvENKUlvE0_clEvEUlffE_St5arrayIPcLm3EESB_IN3c1010ScalarTypeELm3EE16OffsetCalculatorILi3EjLb0EEEEvlT_T0_T1_T2_EUlibE_EEviSL_,@function
_ZN2at6native32elementwise_kernel_manual_unrollILi128ELi4EZNS0_12_GLOBAL__N_142type_specialized_broadcast_kernel_launcherILi4EE5applyIZZZNS0_12prelu_kernelERNS_14TensorIteratorEENKUlvE_clEvENKUlvE0_clEvEUlffE_St5arrayIPcLm3EESB_IN3c1010ScalarTypeELm3EE16OffsetCalculatorILi3EjLb0EEEEvlT_T0_T1_T2_EUlibE_EEviSL_: ; @_ZN2at6native32elementwise_kernel_manual_unrollILi128ELi4EZNS0_12_GLOBAL__N_142type_specialized_broadcast_kernel_launcherILi4EE5applyIZZZNS0_12prelu_kernelERNS_14TensorIteratorEENKUlvE_clEvENKUlvE0_clEvEUlffE_St5arrayIPcLm3EESB_IN3c1010ScalarTypeELm3EE16OffsetCalculatorILi3EjLb0EEEEvlT_T0_T1_T2_EUlibE_EEviSL_
; %bb.0:
	s_load_dword s36, s[4:5], 0x0
	s_load_dword s33, s[4:5], 0x8
	s_or_b32 s4, s4, 8
	v_lshl_or_b32 v12, s6, 9, v0
	v_or_b32_e32 v24, 0x180, v12
	s_waitcnt lgkmcnt(0)
	v_cmp_le_i32_e32 vcc, s36, v24
	s_add_i32 s34, s33, -1
	s_cmp_gt_u32 s34, 1
	s_cselect_b64 s[6:7], -1, 0
	s_and_saveexec_b64 s[0:1], vcc
	s_xor_b64 s[16:17], exec, s[0:1]
	s_cbranch_execz .LBB38_50
; %bb.1:
	s_load_dwordx4 s[12:15], s[4:5], 0x4
	s_load_dwordx2 s[22:23], s[4:5], 0x14
	s_load_dwordx4 s[8:11], s[4:5], 0xc4
	s_load_dwordx2 s[20:21], s[4:5], 0xd4
	s_load_dwordx2 s[18:19], s[4:5], 0x198
	s_load_dwordx4 s[0:3], s[4:5], 0x188
	s_cmp_lg_u32 s33, 0
	s_cselect_b64 s[26:27], -1, 0
	s_min_u32 s35, s34, 15
	s_cmp_gt_u32 s33, 1
	s_cselect_b64 s[24:25], -1, 0
	v_cmp_gt_i32_e32 vcc, s36, v12
	s_and_saveexec_b64 s[28:29], vcc
	s_cbranch_execnz .LBB38_5
; %bb.2:
	s_or_b64 exec, exec, s[28:29]
	v_cmp_gt_i32_e32 vcc, s36, v12
	s_and_saveexec_b64 s[28:29], vcc
	s_cbranch_execnz .LBB38_16
.LBB38_3:
	s_or_b64 exec, exec, s[28:29]
	v_cmp_gt_i32_e32 vcc, s36, v12
	s_and_saveexec_b64 s[28:29], vcc
	s_cbranch_execnz .LBB38_27
.LBB38_4:
	s_or_b64 exec, exec, s[28:29]
	v_cmp_gt_i32_e32 vcc, s36, v12
	s_and_saveexec_b64 s[28:29], vcc
	s_cbranch_execnz .LBB38_38
	s_branch .LBB38_49
.LBB38_5:
	s_andn2_b64 vcc, exec, s[6:7]
	s_cbranch_vccnz .LBB38_12
; %bb.6:
	s_andn2_b64 vcc, exec, s[26:27]
	v_mov_b32_e32 v2, 0
	v_mov_b32_e32 v4, 0
	;; [unrolled: 1-line block ×3, first 2 shown]
	s_cbranch_vccnz .LBB38_11
; %bb.7:
	s_add_i32 s30, s35, 1
	s_and_b32 s37, s30, 30
	s_add_u32 s30, s4, 0xffffffec
	s_addc_u32 s31, s5, -1
	v_mov_b32_e32 v0, 0
	v_mov_b32_e32 v1, v12
	;; [unrolled: 1-line block ×4, first 2 shown]
.LBB38_8:                               ; =>This Inner Loop Header: Depth=1
	s_mov_b64 s[38:39], s[30:31]
	s_load_dwordx4 s[40:43], s[38:39], 0x18
	s_load_dwordx2 s[48:49], s[38:39], 0x28
	s_load_dwordx2 s[50:51], s[38:39], 0xe8
	s_load_dwordx4 s[44:47], s[38:39], 0xd8
	s_add_u32 s30, s38, 24
	s_waitcnt lgkmcnt(0)
	v_mul_hi_u32 v3, s41, v1
	v_add_u32_e32 v3, v1, v3
	v_lshrrev_b32_e32 v3, s42, v3
	v_mul_lo_u32 v5, v3, s40
	v_mul_hi_u32 v6, s48, v3
	v_sub_u32_e32 v1, v1, v5
	v_add_u32_e32 v5, v3, v6
	v_mul_lo_u32 v6, v1, s44
	v_mul_lo_u32 v7, v1, s45
	;; [unrolled: 1-line block ×3, first 2 shown]
	v_lshrrev_b32_e32 v1, s49, v5
	v_mul_lo_u32 v5, v1, s43
	v_sub_u32_e32 v3, v3, v5
	s_addc_u32 s31, s39, 0
	s_add_i32 s37, s37, -2
	v_mul_lo_u32 v5, v3, s47
	v_mul_lo_u32 v9, v3, s50
	;; [unrolled: 1-line block ×3, first 2 shown]
	s_cmp_lg_u32 s37, 0
	v_add3_u32 v0, v6, v0, v5
	v_add3_u32 v2, v8, v2, v3
	;; [unrolled: 1-line block ×3, first 2 shown]
	s_cbranch_scc1 .LBB38_8
; %bb.9:
	s_bitcmp1_b32 s35, 0
	s_cselect_b64 s[38:39], -1, 0
	s_and_b64 vcc, exec, s[38:39]
	s_cbranch_vccnz .LBB38_11
; %bb.10:
	s_load_dwordx2 s[38:39], s[30:31], 0x18
	s_load_dword s37, s[30:31], 0x20
	s_load_dword s42, s[30:31], 0xe0
	s_load_dwordx2 s[40:41], s[30:31], 0xd8
	s_waitcnt lgkmcnt(0)
	v_mul_hi_u32 v3, s39, v1
	v_add_u32_e32 v3, v1, v3
	v_lshrrev_b32_e32 v3, s37, v3
	v_mul_lo_u32 v3, v3, s38
	v_sub_u32_e32 v3, v1, v3
	v_mad_u64_u32 v[0:1], s[30:31], v3, s40, v[0:1]
	v_mad_u64_u32 v[4:5], s[30:31], v3, s41, v[4:5]
	;; [unrolled: 1-line block ×3, first 2 shown]
.LBB38_11:
	s_cbranch_execz .LBB38_13
	s_branch .LBB38_15
.LBB38_12:
                                        ; implicit-def: $vgpr2
                                        ; implicit-def: $vgpr4
                                        ; implicit-def: $vgpr0
.LBB38_13:
	s_waitcnt lgkmcnt(0)
	v_mul_hi_u32 v0, s13, v12
	v_add_u32_e32 v0, v12, v0
	v_lshrrev_b32_e32 v1, s14, v0
	v_mul_lo_u32 v0, v1, s12
	v_sub_u32_e32 v3, v12, v0
	v_mul_lo_u32 v0, v3, s8
	v_mul_lo_u32 v2, v3, s10
	s_andn2_b64 vcc, exec, s[24:25]
	v_mul_lo_u32 v4, v3, s9
	s_cbranch_vccnz .LBB38_15
; %bb.14:
	v_mul_hi_u32 v3, s22, v1
	v_add_u32_e32 v3, v1, v3
	v_lshrrev_b32_e32 v3, s23, v3
	v_mul_lo_u32 v3, v3, s15
	v_sub_u32_e32 v3, v1, v3
	v_mad_u64_u32 v[0:1], s[30:31], v3, s11, v[0:1]
	v_mad_u64_u32 v[4:5], s[30:31], v3, s20, v[4:5]
	v_mad_u64_u32 v[2:3], s[30:31], v3, s21, v[2:3]
.LBB38_15:
	s_waitcnt lgkmcnt(0)
	global_load_ushort v1, v4, s[2:3]
	global_load_dword v3, v2, s[18:19]
	v_add_u32_e32 v12, 0x80, v12
	s_waitcnt vmcnt(1)
	v_cvt_f32_f16_e32 v2, v1
	v_cmp_lt_f16_e32 vcc, 0, v1
	s_waitcnt vmcnt(0)
	v_mul_f32_e32 v3, v3, v2
	v_cndmask_b32_e32 v1, v3, v2, vcc
	global_store_dword v0, v1, s[0:1]
	s_or_b64 exec, exec, s[28:29]
	v_cmp_gt_i32_e32 vcc, s36, v12
	s_and_saveexec_b64 s[28:29], vcc
	s_cbranch_execz .LBB38_3
.LBB38_16:
	s_andn2_b64 vcc, exec, s[6:7]
	s_cbranch_vccnz .LBB38_23
; %bb.17:
	s_andn2_b64 vcc, exec, s[26:27]
	v_mov_b32_e32 v2, 0
	v_mov_b32_e32 v4, 0
	;; [unrolled: 1-line block ×3, first 2 shown]
	s_cbranch_vccnz .LBB38_22
; %bb.18:
	s_add_i32 s30, s35, 1
	s_and_b32 s37, s30, 30
	s_add_u32 s30, s4, 0xffffffec
	s_addc_u32 s31, s5, -1
	v_mov_b32_e32 v0, 0
	v_mov_b32_e32 v1, v12
	;; [unrolled: 1-line block ×4, first 2 shown]
.LBB38_19:                              ; =>This Inner Loop Header: Depth=1
	s_mov_b64 s[38:39], s[30:31]
	s_load_dwordx4 s[40:43], s[38:39], 0x18
	s_load_dwordx2 s[48:49], s[38:39], 0x28
	s_load_dwordx2 s[50:51], s[38:39], 0xe8
	s_load_dwordx4 s[44:47], s[38:39], 0xd8
	s_add_u32 s30, s38, 24
	s_waitcnt lgkmcnt(0)
	v_mul_hi_u32 v3, s41, v1
	v_add_u32_e32 v3, v1, v3
	v_lshrrev_b32_e32 v3, s42, v3
	v_mul_lo_u32 v5, v3, s40
	v_mul_hi_u32 v6, s48, v3
	v_sub_u32_e32 v1, v1, v5
	v_add_u32_e32 v5, v3, v6
	v_mul_lo_u32 v6, v1, s44
	v_mul_lo_u32 v7, v1, s45
	;; [unrolled: 1-line block ×3, first 2 shown]
	v_lshrrev_b32_e32 v1, s49, v5
	v_mul_lo_u32 v5, v1, s43
	v_sub_u32_e32 v3, v3, v5
	s_addc_u32 s31, s39, 0
	s_add_i32 s37, s37, -2
	v_mul_lo_u32 v5, v3, s47
	v_mul_lo_u32 v9, v3, s50
	;; [unrolled: 1-line block ×3, first 2 shown]
	s_cmp_eq_u32 s37, 0
	v_add3_u32 v0, v6, v0, v5
	v_add3_u32 v2, v8, v2, v3
	;; [unrolled: 1-line block ×3, first 2 shown]
	s_cbranch_scc0 .LBB38_19
; %bb.20:
	s_bitcmp1_b32 s35, 0
	s_cselect_b64 s[38:39], -1, 0
	s_and_b64 vcc, exec, s[38:39]
	s_cbranch_vccnz .LBB38_22
; %bb.21:
	s_load_dwordx2 s[38:39], s[30:31], 0x18
	s_load_dword s37, s[30:31], 0x20
	s_load_dword s42, s[30:31], 0xe0
	s_load_dwordx2 s[40:41], s[30:31], 0xd8
	s_waitcnt lgkmcnt(0)
	v_mul_hi_u32 v3, s39, v1
	v_add_u32_e32 v3, v1, v3
	v_lshrrev_b32_e32 v3, s37, v3
	v_mul_lo_u32 v3, v3, s38
	v_sub_u32_e32 v3, v1, v3
	v_mad_u64_u32 v[0:1], s[30:31], v3, s40, v[0:1]
	v_mad_u64_u32 v[4:5], s[30:31], v3, s41, v[4:5]
	;; [unrolled: 1-line block ×3, first 2 shown]
.LBB38_22:
	s_cbranch_execz .LBB38_24
	s_branch .LBB38_26
.LBB38_23:
                                        ; implicit-def: $vgpr2
                                        ; implicit-def: $vgpr4
                                        ; implicit-def: $vgpr0
.LBB38_24:
	s_waitcnt lgkmcnt(0)
	v_mul_hi_u32 v0, s13, v12
	v_add_u32_e32 v0, v12, v0
	v_lshrrev_b32_e32 v1, s14, v0
	v_mul_lo_u32 v0, v1, s12
	v_sub_u32_e32 v3, v12, v0
	v_mul_lo_u32 v0, v3, s8
	v_mul_lo_u32 v2, v3, s10
	s_andn2_b64 vcc, exec, s[24:25]
	v_mul_lo_u32 v4, v3, s9
	s_cbranch_vccnz .LBB38_26
; %bb.25:
	v_mul_hi_u32 v3, s22, v1
	v_add_u32_e32 v3, v1, v3
	v_lshrrev_b32_e32 v3, s23, v3
	v_mul_lo_u32 v3, v3, s15
	v_sub_u32_e32 v3, v1, v3
	v_mad_u64_u32 v[0:1], s[30:31], v3, s11, v[0:1]
	v_mad_u64_u32 v[4:5], s[30:31], v3, s20, v[4:5]
	;; [unrolled: 1-line block ×3, first 2 shown]
.LBB38_26:
	s_waitcnt lgkmcnt(0)
	global_load_ushort v1, v4, s[2:3]
	global_load_dword v3, v2, s[18:19]
	v_add_u32_e32 v12, 0x80, v12
	s_waitcnt vmcnt(1)
	v_cvt_f32_f16_e32 v2, v1
	v_cmp_lt_f16_e32 vcc, 0, v1
	s_waitcnt vmcnt(0)
	v_mul_f32_e32 v3, v3, v2
	v_cndmask_b32_e32 v1, v3, v2, vcc
	global_store_dword v0, v1, s[0:1]
	s_or_b64 exec, exec, s[28:29]
	v_cmp_gt_i32_e32 vcc, s36, v12
	s_and_saveexec_b64 s[28:29], vcc
	s_cbranch_execz .LBB38_4
.LBB38_27:
	s_andn2_b64 vcc, exec, s[6:7]
	s_cbranch_vccnz .LBB38_34
; %bb.28:
	s_andn2_b64 vcc, exec, s[26:27]
	v_mov_b32_e32 v2, 0
	v_mov_b32_e32 v4, 0
	;; [unrolled: 1-line block ×3, first 2 shown]
	s_cbranch_vccnz .LBB38_33
; %bb.29:
	s_add_i32 s30, s35, 1
	s_and_b32 s37, s30, 30
	s_add_u32 s30, s4, 0xffffffec
	s_addc_u32 s31, s5, -1
	v_mov_b32_e32 v0, 0
	v_mov_b32_e32 v1, v12
	;; [unrolled: 1-line block ×4, first 2 shown]
.LBB38_30:                              ; =>This Inner Loop Header: Depth=1
	s_mov_b64 s[38:39], s[30:31]
	s_load_dwordx4 s[40:43], s[38:39], 0x18
	s_load_dwordx2 s[48:49], s[38:39], 0x28
	s_load_dwordx2 s[50:51], s[38:39], 0xe8
	s_load_dwordx4 s[44:47], s[38:39], 0xd8
	s_add_u32 s30, s38, 24
	s_waitcnt lgkmcnt(0)
	v_mul_hi_u32 v3, s41, v1
	v_add_u32_e32 v3, v1, v3
	v_lshrrev_b32_e32 v3, s42, v3
	v_mul_lo_u32 v5, v3, s40
	v_mul_hi_u32 v6, s48, v3
	v_sub_u32_e32 v1, v1, v5
	v_add_u32_e32 v5, v3, v6
	v_mul_lo_u32 v6, v1, s44
	v_mul_lo_u32 v7, v1, s45
	;; [unrolled: 1-line block ×3, first 2 shown]
	v_lshrrev_b32_e32 v1, s49, v5
	v_mul_lo_u32 v5, v1, s43
	v_sub_u32_e32 v3, v3, v5
	s_addc_u32 s31, s39, 0
	s_add_i32 s37, s37, -2
	v_mul_lo_u32 v5, v3, s47
	v_mul_lo_u32 v9, v3, s50
	;; [unrolled: 1-line block ×3, first 2 shown]
	s_cmp_eq_u32 s37, 0
	v_add3_u32 v0, v6, v0, v5
	v_add3_u32 v2, v8, v2, v3
	;; [unrolled: 1-line block ×3, first 2 shown]
	s_cbranch_scc0 .LBB38_30
; %bb.31:
	s_bitcmp1_b32 s35, 0
	s_cselect_b64 s[38:39], -1, 0
	s_and_b64 vcc, exec, s[38:39]
	s_cbranch_vccnz .LBB38_33
; %bb.32:
	s_load_dwordx2 s[38:39], s[30:31], 0x18
	s_load_dword s37, s[30:31], 0x20
	s_load_dword s42, s[30:31], 0xe0
	s_load_dwordx2 s[40:41], s[30:31], 0xd8
	s_waitcnt lgkmcnt(0)
	v_mul_hi_u32 v3, s39, v1
	v_add_u32_e32 v3, v1, v3
	v_lshrrev_b32_e32 v3, s37, v3
	v_mul_lo_u32 v3, v3, s38
	v_sub_u32_e32 v3, v1, v3
	v_mad_u64_u32 v[0:1], s[30:31], v3, s40, v[0:1]
	v_mad_u64_u32 v[4:5], s[30:31], v3, s41, v[4:5]
	;; [unrolled: 1-line block ×3, first 2 shown]
.LBB38_33:
	s_cbranch_execz .LBB38_35
	s_branch .LBB38_37
.LBB38_34:
                                        ; implicit-def: $vgpr2
                                        ; implicit-def: $vgpr4
                                        ; implicit-def: $vgpr0
.LBB38_35:
	s_waitcnt lgkmcnt(0)
	v_mul_hi_u32 v0, s13, v12
	v_add_u32_e32 v0, v12, v0
	v_lshrrev_b32_e32 v1, s14, v0
	v_mul_lo_u32 v0, v1, s12
	v_sub_u32_e32 v3, v12, v0
	v_mul_lo_u32 v0, v3, s8
	v_mul_lo_u32 v2, v3, s10
	s_andn2_b64 vcc, exec, s[24:25]
	v_mul_lo_u32 v4, v3, s9
	s_cbranch_vccnz .LBB38_37
; %bb.36:
	v_mul_hi_u32 v3, s22, v1
	v_add_u32_e32 v3, v1, v3
	v_lshrrev_b32_e32 v3, s23, v3
	v_mul_lo_u32 v3, v3, s15
	v_sub_u32_e32 v3, v1, v3
	v_mad_u64_u32 v[0:1], s[30:31], v3, s11, v[0:1]
	v_mad_u64_u32 v[4:5], s[30:31], v3, s20, v[4:5]
	;; [unrolled: 1-line block ×3, first 2 shown]
.LBB38_37:
	s_waitcnt lgkmcnt(0)
	global_load_ushort v1, v4, s[2:3]
	global_load_dword v3, v2, s[18:19]
	v_add_u32_e32 v12, 0x80, v12
	s_waitcnt vmcnt(1)
	v_cvt_f32_f16_e32 v2, v1
	v_cmp_lt_f16_e32 vcc, 0, v1
	s_waitcnt vmcnt(0)
	v_mul_f32_e32 v3, v3, v2
	v_cndmask_b32_e32 v1, v3, v2, vcc
	global_store_dword v0, v1, s[0:1]
	s_or_b64 exec, exec, s[28:29]
	v_cmp_gt_i32_e32 vcc, s36, v12
	s_and_saveexec_b64 s[28:29], vcc
	s_cbranch_execz .LBB38_49
.LBB38_38:
	s_andn2_b64 vcc, exec, s[6:7]
	s_cbranch_vccnz .LBB38_45
; %bb.39:
	s_andn2_b64 vcc, exec, s[26:27]
	v_mov_b32_e32 v2, 0
	v_mov_b32_e32 v4, 0
	;; [unrolled: 1-line block ×3, first 2 shown]
	s_cbranch_vccnz .LBB38_44
; %bb.40:
	s_add_i32 s26, s35, 1
	s_and_b32 s30, s26, 30
	s_add_u32 s26, s4, 0xffffffec
	s_addc_u32 s27, s5, -1
	v_mov_b32_e32 v0, 0
	v_mov_b32_e32 v1, v12
	;; [unrolled: 1-line block ×4, first 2 shown]
.LBB38_41:                              ; =>This Inner Loop Header: Depth=1
	s_mov_b64 s[44:45], s[26:27]
	s_load_dwordx4 s[36:39], s[44:45], 0x18
	s_load_dwordx2 s[46:47], s[44:45], 0x28
	s_load_dwordx2 s[48:49], s[44:45], 0xe8
	s_load_dwordx4 s[40:43], s[44:45], 0xd8
	s_add_u32 s26, s44, 24
	s_waitcnt lgkmcnt(0)
	v_mul_hi_u32 v3, s37, v1
	v_add_u32_e32 v3, v1, v3
	v_lshrrev_b32_e32 v3, s38, v3
	v_mul_lo_u32 v5, v3, s36
	v_mul_hi_u32 v6, s46, v3
	v_sub_u32_e32 v1, v1, v5
	v_add_u32_e32 v5, v3, v6
	v_mul_lo_u32 v6, v1, s40
	v_mul_lo_u32 v7, v1, s41
	v_mul_lo_u32 v8, v1, s42
	v_lshrrev_b32_e32 v1, s47, v5
	v_mul_lo_u32 v5, v1, s39
	v_sub_u32_e32 v3, v3, v5
	s_addc_u32 s27, s45, 0
	s_add_i32 s30, s30, -2
	v_mul_lo_u32 v5, v3, s43
	v_mul_lo_u32 v9, v3, s48
	;; [unrolled: 1-line block ×3, first 2 shown]
	s_cmp_eq_u32 s30, 0
	v_add3_u32 v0, v6, v0, v5
	v_add3_u32 v2, v8, v2, v3
	;; [unrolled: 1-line block ×3, first 2 shown]
	s_cbranch_scc0 .LBB38_41
; %bb.42:
	s_bitcmp1_b32 s35, 0
	s_cselect_b64 s[30:31], -1, 0
	s_and_b64 vcc, exec, s[30:31]
	s_cbranch_vccnz .LBB38_44
; %bb.43:
	s_load_dwordx2 s[30:31], s[26:27], 0x18
	s_load_dword s35, s[26:27], 0x20
	s_load_dword s38, s[26:27], 0xe0
	s_load_dwordx2 s[36:37], s[26:27], 0xd8
	s_waitcnt lgkmcnt(0)
	v_mul_hi_u32 v3, s31, v1
	v_add_u32_e32 v3, v1, v3
	v_lshrrev_b32_e32 v3, s35, v3
	v_mul_lo_u32 v3, v3, s30
	v_sub_u32_e32 v3, v1, v3
	v_mad_u64_u32 v[0:1], s[26:27], v3, s36, v[0:1]
	v_mad_u64_u32 v[4:5], s[26:27], v3, s37, v[4:5]
	;; [unrolled: 1-line block ×3, first 2 shown]
.LBB38_44:
	s_cbranch_execz .LBB38_46
	s_branch .LBB38_48
.LBB38_45:
                                        ; implicit-def: $vgpr2
                                        ; implicit-def: $vgpr4
                                        ; implicit-def: $vgpr0
.LBB38_46:
	s_waitcnt lgkmcnt(0)
	v_mul_hi_u32 v0, s13, v12
	v_add_u32_e32 v0, v12, v0
	v_lshrrev_b32_e32 v1, s14, v0
	v_mul_lo_u32 v0, v1, s12
	v_sub_u32_e32 v3, v12, v0
	v_mul_lo_u32 v0, v3, s8
	v_mul_lo_u32 v2, v3, s10
	s_andn2_b64 vcc, exec, s[24:25]
	v_mul_lo_u32 v4, v3, s9
	s_cbranch_vccnz .LBB38_48
; %bb.47:
	v_mul_hi_u32 v3, s22, v1
	v_add_u32_e32 v3, v1, v3
	v_lshrrev_b32_e32 v3, s23, v3
	v_mul_lo_u32 v3, v3, s15
	v_sub_u32_e32 v3, v1, v3
	v_mad_u64_u32 v[0:1], s[8:9], v3, s11, v[0:1]
	v_mad_u64_u32 v[4:5], s[8:9], v3, s20, v[4:5]
	;; [unrolled: 1-line block ×3, first 2 shown]
.LBB38_48:
	s_waitcnt lgkmcnt(0)
	global_load_ushort v1, v4, s[2:3]
	global_load_dword v3, v2, s[18:19]
	s_waitcnt vmcnt(1)
	v_cvt_f32_f16_e32 v2, v1
	v_cmp_lt_f16_e32 vcc, 0, v1
	s_waitcnt vmcnt(0)
	v_mul_f32_e32 v3, v3, v2
	v_cndmask_b32_e32 v1, v3, v2, vcc
	global_store_dword v0, v1, s[0:1]
.LBB38_49:
	s_or_b64 exec, exec, s[28:29]
                                        ; implicit-def: $vgpr24
                                        ; implicit-def: $vgpr12
.LBB38_50:
	s_waitcnt lgkmcnt(0)
	s_andn2_saveexec_b64 s[0:1], s[16:17]
	s_cbranch_execz .LBB38_57
; %bb.51:
	v_cndmask_b32_e64 v0, 0, 1, s[6:7]
	v_cmp_ne_u32_e64 s[0:1], 1, v0
	s_andn2_b64 vcc, exec, s[6:7]
	s_cbranch_vccnz .LBB38_58
; %bb.52:
	s_cmp_lg_u32 s33, 0
	v_mov_b32_e32 v2, 0
	v_mov_b32_e32 v4, 0
	v_mov_b32_e32 v0, 0
	s_cbranch_scc0 .LBB38_59
; %bb.53:
	s_min_u32 s6, s34, 15
	s_add_i32 s2, s6, 1
	s_and_b32 s7, s2, 30
	s_add_u32 s2, s4, 0xffffffec
	s_addc_u32 s3, s5, -1
	v_mov_b32_e32 v0, 0
	v_mov_b32_e32 v1, v12
	v_mov_b32_e32 v4, 0
	v_mov_b32_e32 v2, 0
.LBB38_54:                              ; =>This Inner Loop Header: Depth=1
	s_mov_b64 s[16:17], s[2:3]
	s_load_dwordx4 s[8:11], s[16:17], 0x18
	s_load_dwordx2 s[18:19], s[16:17], 0x28
	s_load_dwordx2 s[20:21], s[16:17], 0xe8
	s_load_dwordx4 s[12:15], s[16:17], 0xd8
	s_add_u32 s2, s16, 24
	s_waitcnt lgkmcnt(0)
	v_mul_hi_u32 v3, s9, v1
	v_add_u32_e32 v3, v1, v3
	v_lshrrev_b32_e32 v3, s10, v3
	v_mul_lo_u32 v5, v3, s8
	v_mul_hi_u32 v6, s18, v3
	v_sub_u32_e32 v1, v1, v5
	v_add_u32_e32 v5, v3, v6
	v_mul_lo_u32 v6, v1, s12
	v_mul_lo_u32 v7, v1, s13
	;; [unrolled: 1-line block ×3, first 2 shown]
	v_lshrrev_b32_e32 v1, s19, v5
	v_mul_lo_u32 v5, v1, s11
	v_sub_u32_e32 v3, v3, v5
	s_addc_u32 s3, s17, 0
	s_add_i32 s7, s7, -2
	v_mul_lo_u32 v5, v3, s15
	v_mul_lo_u32 v9, v3, s20
	;; [unrolled: 1-line block ×3, first 2 shown]
	s_cmp_lg_u32 s7, 0
	v_add3_u32 v0, v6, v0, v5
	v_add3_u32 v2, v8, v2, v3
	;; [unrolled: 1-line block ×3, first 2 shown]
	s_cbranch_scc1 .LBB38_54
; %bb.55:
	s_bitcmp1_b32 s6, 0
	s_cselect_b64 s[6:7], -1, 0
	s_and_b64 vcc, exec, s[6:7]
	s_cbranch_vccnz .LBB38_59
; %bb.56:
	s_load_dwordx2 s[6:7], s[2:3], 0x18
	s_load_dword s10, s[2:3], 0x20
	s_load_dword s11, s[2:3], 0xe0
	s_load_dwordx2 s[8:9], s[2:3], 0xd8
	s_waitcnt lgkmcnt(0)
	v_mul_hi_u32 v3, s7, v1
	v_add_u32_e32 v3, v1, v3
	v_lshrrev_b32_e32 v3, s10, v3
	v_mul_lo_u32 v3, v3, s6
	v_sub_u32_e32 v3, v1, v3
	v_mad_u64_u32 v[0:1], s[2:3], v3, s8, v[0:1]
	v_mad_u64_u32 v[4:5], s[2:3], v3, s9, v[4:5]
	;; [unrolled: 1-line block ×3, first 2 shown]
	s_cbranch_execz .LBB38_60
	s_branch .LBB38_62
.LBB38_57:
	s_endpgm
.LBB38_58:
                                        ; implicit-def: $vgpr2
                                        ; implicit-def: $vgpr4
                                        ; implicit-def: $vgpr0
	s_branch .LBB38_60
.LBB38_59:
	s_cbranch_execnz .LBB38_62
.LBB38_60:
	s_load_dwordx4 s[8:11], s[4:5], 0x4
	s_load_dwordx4 s[12:15], s[4:5], 0xc4
	s_cmp_lt_u32 s33, 2
	s_waitcnt lgkmcnt(0)
	v_mul_hi_u32 v0, s9, v12
	v_add_u32_e32 v0, v12, v0
	v_lshrrev_b32_e32 v1, s10, v0
	v_mul_lo_u32 v0, v1, s8
	v_sub_u32_e32 v3, v12, v0
	v_mul_lo_u32 v0, v3, s12
	v_mul_lo_u32 v2, v3, s14
	;; [unrolled: 1-line block ×3, first 2 shown]
	s_cbranch_scc1 .LBB38_62
; %bb.61:
	s_load_dwordx4 s[8:11], s[4:5], 0x10
	s_load_dwordx4 s[12:15], s[4:5], 0xd0
	s_waitcnt lgkmcnt(0)
	v_mul_hi_u32 v3, s9, v1
	v_add_u32_e32 v3, v1, v3
	v_lshrrev_b32_e32 v3, s10, v3
	v_mul_lo_u32 v3, v3, s8
	v_sub_u32_e32 v3, v1, v3
	v_mad_u64_u32 v[0:1], s[2:3], v3, s12, v[0:1]
	v_mad_u64_u32 v[4:5], s[2:3], v3, s13, v[4:5]
	v_mad_u64_u32 v[2:3], s[2:3], v3, s14, v[2:3]
.LBB38_62:
	s_and_b64 vcc, exec, s[0:1]
	v_add_u32_e32 v1, 0x80, v12
	s_cbranch_vccnz .LBB38_68
; %bb.63:
	s_cmp_lg_u32 s33, 0
	v_mov_b32_e32 v8, 0
	v_mov_b32_e32 v10, 0
	;; [unrolled: 1-line block ×3, first 2 shown]
	s_cbranch_scc0 .LBB38_69
; %bb.64:
	s_min_u32 s6, s34, 15
	s_add_i32 s2, s6, 1
	s_and_b32 s7, s2, 30
	s_add_u32 s2, s4, 0xffffffec
	s_addc_u32 s3, s5, -1
	v_mov_b32_e32 v6, 0
	v_mov_b32_e32 v3, v1
	;; [unrolled: 1-line block ×4, first 2 shown]
.LBB38_65:                              ; =>This Inner Loop Header: Depth=1
	s_mov_b64 s[16:17], s[2:3]
	s_load_dwordx4 s[8:11], s[16:17], 0x18
	s_load_dwordx2 s[18:19], s[16:17], 0x28
	s_load_dwordx2 s[20:21], s[16:17], 0xe8
	s_load_dwordx4 s[12:15], s[16:17], 0xd8
	s_add_u32 s2, s16, 24
	s_waitcnt lgkmcnt(0)
	v_mul_hi_u32 v5, s9, v3
	v_add_u32_e32 v5, v3, v5
	v_lshrrev_b32_e32 v5, s10, v5
	v_mul_lo_u32 v7, v5, s8
	v_mul_hi_u32 v9, s18, v5
	v_sub_u32_e32 v3, v3, v7
	v_add_u32_e32 v7, v5, v9
	v_mul_lo_u32 v9, v3, s12
	v_mul_lo_u32 v11, v3, s13
	;; [unrolled: 1-line block ×3, first 2 shown]
	v_lshrrev_b32_e32 v3, s19, v7
	v_mul_lo_u32 v7, v3, s11
	v_sub_u32_e32 v5, v5, v7
	s_addc_u32 s3, s17, 0
	s_add_i32 s7, s7, -2
	v_mul_lo_u32 v7, v5, s15
	v_mul_lo_u32 v14, v5, s20
	;; [unrolled: 1-line block ×3, first 2 shown]
	s_cmp_lg_u32 s7, 0
	v_add3_u32 v6, v9, v6, v7
	v_add3_u32 v8, v13, v8, v5
	;; [unrolled: 1-line block ×3, first 2 shown]
	s_cbranch_scc1 .LBB38_65
; %bb.66:
	s_bitcmp1_b32 s6, 0
	s_cselect_b64 s[6:7], -1, 0
	s_and_b64 vcc, exec, s[6:7]
	s_cbranch_vccnz .LBB38_69
; %bb.67:
	s_load_dwordx2 s[6:7], s[2:3], 0x18
	s_load_dword s10, s[2:3], 0x20
	s_load_dword s11, s[2:3], 0xe0
	s_load_dwordx2 s[8:9], s[2:3], 0xd8
	s_waitcnt lgkmcnt(0)
	v_mul_hi_u32 v5, s7, v3
	v_add_u32_e32 v5, v3, v5
	v_lshrrev_b32_e32 v5, s10, v5
	v_mul_lo_u32 v5, v5, s6
	v_sub_u32_e32 v3, v3, v5
	v_mad_u64_u32 v[6:7], s[2:3], v3, s8, v[6:7]
	v_mad_u64_u32 v[10:11], s[2:3], v3, s9, v[10:11]
	;; [unrolled: 1-line block ×3, first 2 shown]
	s_cbranch_execz .LBB38_70
	s_branch .LBB38_72
.LBB38_68:
                                        ; implicit-def: $vgpr8
                                        ; implicit-def: $vgpr10
                                        ; implicit-def: $vgpr6
	s_branch .LBB38_70
.LBB38_69:
	s_cbranch_execnz .LBB38_72
.LBB38_70:
	s_load_dwordx4 s[8:11], s[4:5], 0x4
	s_load_dwordx4 s[12:15], s[4:5], 0xc4
	s_cmp_lt_u32 s33, 2
	s_waitcnt lgkmcnt(0)
	v_mul_hi_u32 v3, s9, v1
	v_add_u32_e32 v3, v1, v3
	v_lshrrev_b32_e32 v3, s10, v3
	v_mul_lo_u32 v5, v3, s8
	v_sub_u32_e32 v1, v1, v5
	v_mul_lo_u32 v6, v1, s12
	v_mul_lo_u32 v8, v1, s14
	;; [unrolled: 1-line block ×3, first 2 shown]
	s_cbranch_scc1 .LBB38_72
; %bb.71:
	s_load_dwordx4 s[8:11], s[4:5], 0x10
	s_load_dwordx4 s[12:15], s[4:5], 0xd0
	s_waitcnt lgkmcnt(0)
	v_mul_hi_u32 v1, s9, v3
	v_add_u32_e32 v1, v3, v1
	v_lshrrev_b32_e32 v1, s10, v1
	v_mul_lo_u32 v1, v1, s8
	v_sub_u32_e32 v1, v3, v1
	v_mad_u64_u32 v[6:7], s[2:3], v1, s12, v[6:7]
	v_mad_u64_u32 v[10:11], s[2:3], v1, s13, v[10:11]
	;; [unrolled: 1-line block ×3, first 2 shown]
.LBB38_72:
	s_and_b64 vcc, exec, s[0:1]
	v_add_u32_e32 v1, 0x100, v12
	s_cbranch_vccnz .LBB38_78
; %bb.73:
	s_cmp_lg_u32 s33, 0
	v_mov_b32_e32 v14, 0
	v_mov_b32_e32 v16, 0
	;; [unrolled: 1-line block ×3, first 2 shown]
	s_cbranch_scc0 .LBB38_79
; %bb.74:
	s_min_u32 s6, s34, 15
	s_add_i32 s2, s6, 1
	s_and_b32 s7, s2, 30
	s_add_u32 s2, s4, 0xffffffec
	s_addc_u32 s3, s5, -1
	v_mov_b32_e32 v12, 0
	v_mov_b32_e32 v3, v1
	;; [unrolled: 1-line block ×4, first 2 shown]
.LBB38_75:                              ; =>This Inner Loop Header: Depth=1
	s_mov_b64 s[16:17], s[2:3]
	s_load_dwordx4 s[8:11], s[16:17], 0x18
	s_load_dwordx2 s[18:19], s[16:17], 0x28
	s_load_dwordx2 s[20:21], s[16:17], 0xe8
	s_load_dwordx4 s[12:15], s[16:17], 0xd8
	s_add_u32 s2, s16, 24
	s_waitcnt lgkmcnt(0)
	v_mul_hi_u32 v5, s9, v3
	v_add_u32_e32 v5, v3, v5
	v_lshrrev_b32_e32 v5, s10, v5
	v_mul_lo_u32 v7, v5, s8
	v_mul_hi_u32 v9, s18, v5
	v_sub_u32_e32 v3, v3, v7
	v_add_u32_e32 v7, v5, v9
	v_mul_lo_u32 v9, v3, s12
	v_mul_lo_u32 v11, v3, s13
	;; [unrolled: 1-line block ×3, first 2 shown]
	v_lshrrev_b32_e32 v3, s19, v7
	v_mul_lo_u32 v7, v3, s11
	v_sub_u32_e32 v5, v5, v7
	s_addc_u32 s3, s17, 0
	s_add_i32 s7, s7, -2
	v_mul_lo_u32 v7, v5, s15
	v_mul_lo_u32 v15, v5, s20
	;; [unrolled: 1-line block ×3, first 2 shown]
	s_cmp_lg_u32 s7, 0
	v_add3_u32 v12, v9, v12, v7
	v_add3_u32 v14, v13, v14, v5
	;; [unrolled: 1-line block ×3, first 2 shown]
	s_cbranch_scc1 .LBB38_75
; %bb.76:
	s_bitcmp1_b32 s6, 0
	s_cselect_b64 s[6:7], -1, 0
	s_and_b64 vcc, exec, s[6:7]
	s_cbranch_vccnz .LBB38_79
; %bb.77:
	s_load_dwordx2 s[6:7], s[2:3], 0x18
	s_load_dword s10, s[2:3], 0x20
	s_load_dword s11, s[2:3], 0xe0
	s_load_dwordx2 s[8:9], s[2:3], 0xd8
	s_waitcnt lgkmcnt(0)
	v_mul_hi_u32 v5, s7, v3
	v_add_u32_e32 v5, v3, v5
	v_lshrrev_b32_e32 v5, s10, v5
	v_mul_lo_u32 v5, v5, s6
	v_sub_u32_e32 v3, v3, v5
	v_mad_u64_u32 v[12:13], s[2:3], v3, s8, v[12:13]
	v_mad_u64_u32 v[16:17], s[2:3], v3, s9, v[16:17]
	v_mad_u64_u32 v[14:15], s[2:3], v3, s11, v[14:15]
	s_cbranch_execz .LBB38_80
	s_branch .LBB38_82
.LBB38_78:
                                        ; implicit-def: $vgpr14
                                        ; implicit-def: $vgpr16
                                        ; implicit-def: $vgpr12
	s_branch .LBB38_80
.LBB38_79:
	s_cbranch_execnz .LBB38_82
.LBB38_80:
	s_load_dwordx4 s[8:11], s[4:5], 0x4
	s_load_dwordx4 s[12:15], s[4:5], 0xc4
	s_cmp_lt_u32 s33, 2
	s_waitcnt lgkmcnt(0)
	v_mul_hi_u32 v3, s9, v1
	v_add_u32_e32 v3, v1, v3
	v_lshrrev_b32_e32 v3, s10, v3
	v_mul_lo_u32 v5, v3, s8
	v_sub_u32_e32 v1, v1, v5
	v_mul_lo_u32 v12, v1, s12
	v_mul_lo_u32 v14, v1, s14
	;; [unrolled: 1-line block ×3, first 2 shown]
	s_cbranch_scc1 .LBB38_82
; %bb.81:
	s_load_dwordx4 s[8:11], s[4:5], 0x10
	s_load_dwordx4 s[12:15], s[4:5], 0xd0
	s_waitcnt lgkmcnt(0)
	v_mul_hi_u32 v1, s9, v3
	v_add_u32_e32 v1, v3, v1
	v_lshrrev_b32_e32 v1, s10, v1
	v_mul_lo_u32 v1, v1, s8
	v_sub_u32_e32 v1, v3, v1
	v_mad_u64_u32 v[12:13], s[2:3], v1, s12, v[12:13]
	v_mad_u64_u32 v[16:17], s[2:3], v1, s13, v[16:17]
	;; [unrolled: 1-line block ×3, first 2 shown]
.LBB38_82:
	s_and_b64 vcc, exec, s[0:1]
	s_cbranch_vccnz .LBB38_88
; %bb.83:
	s_cmp_lg_u32 s33, 0
	v_mov_b32_e32 v20, 0
	v_mov_b32_e32 v22, 0
	;; [unrolled: 1-line block ×3, first 2 shown]
	s_cbranch_scc0 .LBB38_89
; %bb.84:
	s_min_u32 s2, s34, 15
	s_add_i32 s0, s2, 1
	s_and_b32 s3, s0, 30
	s_add_u32 s0, s4, 0xffffffec
	s_addc_u32 s1, s5, -1
	v_mov_b32_e32 v18, 0
	v_mov_b32_e32 v1, v24
	;; [unrolled: 1-line block ×4, first 2 shown]
.LBB38_85:                              ; =>This Inner Loop Header: Depth=1
	s_mov_b64 s[6:7], s[0:1]
	s_load_dwordx4 s[8:11], s[6:7], 0x18
	s_load_dwordx2 s[16:17], s[6:7], 0x28
	s_load_dwordx2 s[18:19], s[6:7], 0xe8
	s_load_dwordx4 s[12:15], s[6:7], 0xd8
	s_add_u32 s0, s6, 24
	s_waitcnt lgkmcnt(0)
	v_mul_hi_u32 v3, s9, v1
	v_add_u32_e32 v3, v1, v3
	v_lshrrev_b32_e32 v3, s10, v3
	v_mul_lo_u32 v5, v3, s8
	v_mul_hi_u32 v7, s16, v3
	v_sub_u32_e32 v1, v1, v5
	v_add_u32_e32 v5, v3, v7
	v_mul_lo_u32 v7, v1, s12
	v_mul_lo_u32 v9, v1, s13
	;; [unrolled: 1-line block ×3, first 2 shown]
	v_lshrrev_b32_e32 v1, s17, v5
	v_mul_lo_u32 v5, v1, s11
	v_sub_u32_e32 v3, v3, v5
	s_addc_u32 s1, s7, 0
	s_add_i32 s3, s3, -2
	v_mul_lo_u32 v5, v3, s15
	v_mul_lo_u32 v13, v3, s18
	;; [unrolled: 1-line block ×3, first 2 shown]
	s_cmp_lg_u32 s3, 0
	v_add3_u32 v18, v7, v18, v5
	v_add3_u32 v20, v11, v20, v3
	;; [unrolled: 1-line block ×3, first 2 shown]
	s_cbranch_scc1 .LBB38_85
; %bb.86:
	s_bitcmp1_b32 s2, 0
	s_cselect_b64 s[2:3], -1, 0
	s_and_b64 vcc, exec, s[2:3]
	s_cbranch_vccnz .LBB38_89
; %bb.87:
	s_load_dwordx2 s[2:3], s[0:1], 0x18
	s_load_dword s8, s[0:1], 0x20
	s_load_dword s9, s[0:1], 0xe0
	s_load_dwordx2 s[6:7], s[0:1], 0xd8
	s_waitcnt lgkmcnt(0)
	v_mul_hi_u32 v3, s3, v1
	v_add_u32_e32 v3, v1, v3
	v_lshrrev_b32_e32 v3, s8, v3
	v_mul_lo_u32 v3, v3, s2
	v_sub_u32_e32 v1, v1, v3
	v_mad_u64_u32 v[18:19], s[0:1], v1, s6, v[18:19]
	v_mad_u64_u32 v[22:23], s[0:1], v1, s7, v[22:23]
	;; [unrolled: 1-line block ×3, first 2 shown]
	s_cbranch_execz .LBB38_90
	s_branch .LBB38_92
.LBB38_88:
                                        ; implicit-def: $vgpr20
                                        ; implicit-def: $vgpr22
                                        ; implicit-def: $vgpr18
	s_branch .LBB38_90
.LBB38_89:
	s_cbranch_execnz .LBB38_92
.LBB38_90:
	s_load_dwordx4 s[0:3], s[4:5], 0x4
	s_load_dwordx4 s[8:11], s[4:5], 0xc4
	s_cmp_lt_u32 s33, 2
	s_waitcnt lgkmcnt(0)
	v_mul_hi_u32 v1, s1, v24
	v_add_u32_e32 v1, v24, v1
	v_lshrrev_b32_e32 v1, s2, v1
	v_mul_lo_u32 v3, v1, s0
	v_sub_u32_e32 v3, v24, v3
	v_mul_lo_u32 v18, v3, s8
	v_mul_lo_u32 v20, v3, s10
	;; [unrolled: 1-line block ×3, first 2 shown]
	s_cbranch_scc1 .LBB38_92
; %bb.91:
	s_load_dwordx4 s[0:3], s[4:5], 0x10
	s_load_dwordx4 s[8:11], s[4:5], 0xd0
	s_waitcnt lgkmcnt(0)
	v_mul_hi_u32 v3, s1, v1
	v_add_u32_e32 v3, v1, v3
	v_lshrrev_b32_e32 v3, s2, v3
	v_mul_lo_u32 v3, v3, s0
	v_sub_u32_e32 v1, v1, v3
	v_mad_u64_u32 v[18:19], s[0:1], v1, s8, v[18:19]
	v_mad_u64_u32 v[22:23], s[0:1], v1, s9, v[22:23]
	;; [unrolled: 1-line block ×3, first 2 shown]
.LBB38_92:
	s_load_dwordx4 s[0:3], s[4:5], 0x188
	s_load_dwordx2 s[6:7], s[4:5], 0x198
	s_waitcnt lgkmcnt(0)
	global_load_ushort v1, v4, s[2:3]
	global_load_ushort v3, v10, s[2:3]
	;; [unrolled: 1-line block ×4, first 2 shown]
	global_load_dword v9, v2, s[6:7]
	global_load_dword v11, v8, s[6:7]
	;; [unrolled: 1-line block ×4, first 2 shown]
	s_waitcnt vmcnt(7)
	v_cvt_f32_f16_e32 v2, v1
	s_waitcnt vmcnt(6)
	v_cvt_f32_f16_e32 v4, v3
	s_waitcnt vmcnt(5)
	v_cvt_f32_f16_e32 v8, v5
	s_waitcnt vmcnt(4)
	v_cvt_f32_f16_e32 v10, v7
	s_waitcnt vmcnt(3)
	v_mul_f32_e32 v9, v9, v2
	v_cmp_lt_f16_e32 vcc, 0, v1
	s_waitcnt vmcnt(2)
	v_mul_f32_e32 v11, v11, v4
	v_cndmask_b32_e32 v1, v9, v2, vcc
	v_cmp_lt_f16_e32 vcc, 0, v3
	s_waitcnt vmcnt(1)
	v_mul_f32_e32 v13, v13, v8
	v_cndmask_b32_e32 v2, v11, v4, vcc
	;; [unrolled: 4-line block ×3, first 2 shown]
	v_cmp_lt_f16_e32 vcc, 0, v7
	v_cndmask_b32_e32 v4, v14, v10, vcc
	global_store_dword v0, v1, s[0:1]
	global_store_dword v6, v2, s[0:1]
	;; [unrolled: 1-line block ×4, first 2 shown]
	s_endpgm
	.section	.rodata,"a",@progbits
	.p2align	6, 0x0
	.amdhsa_kernel _ZN2at6native32elementwise_kernel_manual_unrollILi128ELi4EZNS0_12_GLOBAL__N_142type_specialized_broadcast_kernel_launcherILi4EE5applyIZZZNS0_12prelu_kernelERNS_14TensorIteratorEENKUlvE_clEvENKUlvE0_clEvEUlffE_St5arrayIPcLm3EESB_IN3c1010ScalarTypeELm3EE16OffsetCalculatorILi3EjLb0EEEEvlT_T0_T1_T2_EUlibE_EEviSL_
		.amdhsa_group_segment_fixed_size 0
		.amdhsa_private_segment_fixed_size 0
		.amdhsa_kernarg_size 432
		.amdhsa_user_sgpr_count 6
		.amdhsa_user_sgpr_private_segment_buffer 1
		.amdhsa_user_sgpr_dispatch_ptr 0
		.amdhsa_user_sgpr_queue_ptr 0
		.amdhsa_user_sgpr_kernarg_segment_ptr 1
		.amdhsa_user_sgpr_dispatch_id 0
		.amdhsa_user_sgpr_flat_scratch_init 0
		.amdhsa_user_sgpr_kernarg_preload_length 0
		.amdhsa_user_sgpr_kernarg_preload_offset 0
		.amdhsa_user_sgpr_private_segment_size 0
		.amdhsa_uses_dynamic_stack 0
		.amdhsa_system_sgpr_private_segment_wavefront_offset 0
		.amdhsa_system_sgpr_workgroup_id_x 1
		.amdhsa_system_sgpr_workgroup_id_y 0
		.amdhsa_system_sgpr_workgroup_id_z 0
		.amdhsa_system_sgpr_workgroup_info 0
		.amdhsa_system_vgpr_workitem_id 0
		.amdhsa_next_free_vgpr 25
		.amdhsa_next_free_sgpr 52
		.amdhsa_accum_offset 28
		.amdhsa_reserve_vcc 1
		.amdhsa_reserve_flat_scratch 0
		.amdhsa_float_round_mode_32 0
		.amdhsa_float_round_mode_16_64 0
		.amdhsa_float_denorm_mode_32 3
		.amdhsa_float_denorm_mode_16_64 3
		.amdhsa_dx10_clamp 1
		.amdhsa_ieee_mode 1
		.amdhsa_fp16_overflow 0
		.amdhsa_tg_split 0
		.amdhsa_exception_fp_ieee_invalid_op 0
		.amdhsa_exception_fp_denorm_src 0
		.amdhsa_exception_fp_ieee_div_zero 0
		.amdhsa_exception_fp_ieee_overflow 0
		.amdhsa_exception_fp_ieee_underflow 0
		.amdhsa_exception_fp_ieee_inexact 0
		.amdhsa_exception_int_div_zero 0
	.end_amdhsa_kernel
	.section	.text._ZN2at6native32elementwise_kernel_manual_unrollILi128ELi4EZNS0_12_GLOBAL__N_142type_specialized_broadcast_kernel_launcherILi4EE5applyIZZZNS0_12prelu_kernelERNS_14TensorIteratorEENKUlvE_clEvENKUlvE0_clEvEUlffE_St5arrayIPcLm3EESB_IN3c1010ScalarTypeELm3EE16OffsetCalculatorILi3EjLb0EEEEvlT_T0_T1_T2_EUlibE_EEviSL_,"axG",@progbits,_ZN2at6native32elementwise_kernel_manual_unrollILi128ELi4EZNS0_12_GLOBAL__N_142type_specialized_broadcast_kernel_launcherILi4EE5applyIZZZNS0_12prelu_kernelERNS_14TensorIteratorEENKUlvE_clEvENKUlvE0_clEvEUlffE_St5arrayIPcLm3EESB_IN3c1010ScalarTypeELm3EE16OffsetCalculatorILi3EjLb0EEEEvlT_T0_T1_T2_EUlibE_EEviSL_,comdat
.Lfunc_end38:
	.size	_ZN2at6native32elementwise_kernel_manual_unrollILi128ELi4EZNS0_12_GLOBAL__N_142type_specialized_broadcast_kernel_launcherILi4EE5applyIZZZNS0_12prelu_kernelERNS_14TensorIteratorEENKUlvE_clEvENKUlvE0_clEvEUlffE_St5arrayIPcLm3EESB_IN3c1010ScalarTypeELm3EE16OffsetCalculatorILi3EjLb0EEEEvlT_T0_T1_T2_EUlibE_EEviSL_, .Lfunc_end38-_ZN2at6native32elementwise_kernel_manual_unrollILi128ELi4EZNS0_12_GLOBAL__N_142type_specialized_broadcast_kernel_launcherILi4EE5applyIZZZNS0_12prelu_kernelERNS_14TensorIteratorEENKUlvE_clEvENKUlvE0_clEvEUlffE_St5arrayIPcLm3EESB_IN3c1010ScalarTypeELm3EE16OffsetCalculatorILi3EjLb0EEEEvlT_T0_T1_T2_EUlibE_EEviSL_
                                        ; -- End function
	.section	.AMDGPU.csdata,"",@progbits
; Kernel info:
; codeLenInByte = 4780
; NumSgprs: 56
; NumVgprs: 25
; NumAgprs: 0
; TotalNumVgprs: 25
; ScratchSize: 0
; MemoryBound: 0
; FloatMode: 240
; IeeeMode: 1
; LDSByteSize: 0 bytes/workgroup (compile time only)
; SGPRBlocks: 6
; VGPRBlocks: 3
; NumSGPRsForWavesPerEU: 56
; NumVGPRsForWavesPerEU: 25
; AccumOffset: 28
; Occupancy: 8
; WaveLimiterHint : 1
; COMPUTE_PGM_RSRC2:SCRATCH_EN: 0
; COMPUTE_PGM_RSRC2:USER_SGPR: 6
; COMPUTE_PGM_RSRC2:TRAP_HANDLER: 0
; COMPUTE_PGM_RSRC2:TGID_X_EN: 1
; COMPUTE_PGM_RSRC2:TGID_Y_EN: 0
; COMPUTE_PGM_RSRC2:TGID_Z_EN: 0
; COMPUTE_PGM_RSRC2:TIDIG_COMP_CNT: 0
; COMPUTE_PGM_RSRC3_GFX90A:ACCUM_OFFSET: 6
; COMPUTE_PGM_RSRC3_GFX90A:TG_SPLIT: 0
	.section	.text._ZN2at6native32elementwise_kernel_manual_unrollILi128ELi4EZNS0_12_GLOBAL__N_142type_specialized_broadcast_kernel_launcherILi5EE5applyIZZZNS0_12prelu_kernelERNS_14TensorIteratorEENKUlvE_clEvENKUlvE0_clEvEUlffE_St5arrayIPcLm3EESB_IN3c1010ScalarTypeELm3EE16OffsetCalculatorILi3EjLb0EEEEvlT_T0_T1_T2_EUlibE_EEviSL_,"axG",@progbits,_ZN2at6native32elementwise_kernel_manual_unrollILi128ELi4EZNS0_12_GLOBAL__N_142type_specialized_broadcast_kernel_launcherILi5EE5applyIZZZNS0_12prelu_kernelERNS_14TensorIteratorEENKUlvE_clEvENKUlvE0_clEvEUlffE_St5arrayIPcLm3EESB_IN3c1010ScalarTypeELm3EE16OffsetCalculatorILi3EjLb0EEEEvlT_T0_T1_T2_EUlibE_EEviSL_,comdat
	.globl	_ZN2at6native32elementwise_kernel_manual_unrollILi128ELi4EZNS0_12_GLOBAL__N_142type_specialized_broadcast_kernel_launcherILi5EE5applyIZZZNS0_12prelu_kernelERNS_14TensorIteratorEENKUlvE_clEvENKUlvE0_clEvEUlffE_St5arrayIPcLm3EESB_IN3c1010ScalarTypeELm3EE16OffsetCalculatorILi3EjLb0EEEEvlT_T0_T1_T2_EUlibE_EEviSL_ ; -- Begin function _ZN2at6native32elementwise_kernel_manual_unrollILi128ELi4EZNS0_12_GLOBAL__N_142type_specialized_broadcast_kernel_launcherILi5EE5applyIZZZNS0_12prelu_kernelERNS_14TensorIteratorEENKUlvE_clEvENKUlvE0_clEvEUlffE_St5arrayIPcLm3EESB_IN3c1010ScalarTypeELm3EE16OffsetCalculatorILi3EjLb0EEEEvlT_T0_T1_T2_EUlibE_EEviSL_
	.p2align	8
	.type	_ZN2at6native32elementwise_kernel_manual_unrollILi128ELi4EZNS0_12_GLOBAL__N_142type_specialized_broadcast_kernel_launcherILi5EE5applyIZZZNS0_12prelu_kernelERNS_14TensorIteratorEENKUlvE_clEvENKUlvE0_clEvEUlffE_St5arrayIPcLm3EESB_IN3c1010ScalarTypeELm3EE16OffsetCalculatorILi3EjLb0EEEEvlT_T0_T1_T2_EUlibE_EEviSL_,@function
_ZN2at6native32elementwise_kernel_manual_unrollILi128ELi4EZNS0_12_GLOBAL__N_142type_specialized_broadcast_kernel_launcherILi5EE5applyIZZZNS0_12prelu_kernelERNS_14TensorIteratorEENKUlvE_clEvENKUlvE0_clEvEUlffE_St5arrayIPcLm3EESB_IN3c1010ScalarTypeELm3EE16OffsetCalculatorILi3EjLb0EEEEvlT_T0_T1_T2_EUlibE_EEviSL_: ; @_ZN2at6native32elementwise_kernel_manual_unrollILi128ELi4EZNS0_12_GLOBAL__N_142type_specialized_broadcast_kernel_launcherILi5EE5applyIZZZNS0_12prelu_kernelERNS_14TensorIteratorEENKUlvE_clEvENKUlvE0_clEvEUlffE_St5arrayIPcLm3EESB_IN3c1010ScalarTypeELm3EE16OffsetCalculatorILi3EjLb0EEEEvlT_T0_T1_T2_EUlibE_EEviSL_
; %bb.0:
	s_load_dword s36, s[4:5], 0x0
	s_load_dword s33, s[4:5], 0x8
	s_or_b32 s4, s4, 8
	v_lshl_or_b32 v12, s6, 9, v0
	v_or_b32_e32 v24, 0x180, v12
	s_waitcnt lgkmcnt(0)
	v_cmp_le_i32_e32 vcc, s36, v24
	s_add_i32 s34, s33, -1
	s_cmp_gt_u32 s34, 1
	s_cselect_b64 s[6:7], -1, 0
	s_and_saveexec_b64 s[0:1], vcc
	s_xor_b64 s[16:17], exec, s[0:1]
	s_cbranch_execz .LBB39_50
; %bb.1:
	s_load_dwordx4 s[12:15], s[4:5], 0x4
	s_load_dwordx2 s[22:23], s[4:5], 0x14
	s_load_dwordx4 s[8:11], s[4:5], 0xc4
	s_load_dwordx2 s[20:21], s[4:5], 0xd4
	s_load_dwordx2 s[18:19], s[4:5], 0x198
	s_load_dwordx4 s[0:3], s[4:5], 0x188
	s_cmp_lg_u32 s33, 0
	s_cselect_b64 s[26:27], -1, 0
	s_min_u32 s35, s34, 15
	s_cmp_gt_u32 s33, 1
	s_cselect_b64 s[24:25], -1, 0
	v_cmp_gt_i32_e32 vcc, s36, v12
	s_and_saveexec_b64 s[28:29], vcc
	s_cbranch_execnz .LBB39_5
; %bb.2:
	s_or_b64 exec, exec, s[28:29]
	v_cmp_gt_i32_e32 vcc, s36, v12
	s_and_saveexec_b64 s[28:29], vcc
	s_cbranch_execnz .LBB39_16
.LBB39_3:
	s_or_b64 exec, exec, s[28:29]
	v_cmp_gt_i32_e32 vcc, s36, v12
	s_and_saveexec_b64 s[28:29], vcc
	s_cbranch_execnz .LBB39_27
.LBB39_4:
	s_or_b64 exec, exec, s[28:29]
	v_cmp_gt_i32_e32 vcc, s36, v12
	s_and_saveexec_b64 s[28:29], vcc
	s_cbranch_execnz .LBB39_38
	s_branch .LBB39_49
.LBB39_5:
	s_andn2_b64 vcc, exec, s[6:7]
	s_cbranch_vccnz .LBB39_12
; %bb.6:
	s_andn2_b64 vcc, exec, s[26:27]
	v_mov_b32_e32 v2, 0
	v_mov_b32_e32 v4, 0
	;; [unrolled: 1-line block ×3, first 2 shown]
	s_cbranch_vccnz .LBB39_11
; %bb.7:
	s_add_i32 s30, s35, 1
	s_and_b32 s37, s30, 30
	s_add_u32 s30, s4, 0xffffffec
	s_addc_u32 s31, s5, -1
	v_mov_b32_e32 v0, 0
	v_mov_b32_e32 v1, v12
	;; [unrolled: 1-line block ×4, first 2 shown]
.LBB39_8:                               ; =>This Inner Loop Header: Depth=1
	s_mov_b64 s[38:39], s[30:31]
	s_load_dwordx4 s[40:43], s[38:39], 0x18
	s_load_dwordx2 s[48:49], s[38:39], 0x28
	s_load_dwordx2 s[50:51], s[38:39], 0xe8
	s_load_dwordx4 s[44:47], s[38:39], 0xd8
	s_add_u32 s30, s38, 24
	s_waitcnt lgkmcnt(0)
	v_mul_hi_u32 v3, s41, v1
	v_add_u32_e32 v3, v1, v3
	v_lshrrev_b32_e32 v3, s42, v3
	v_mul_lo_u32 v5, v3, s40
	v_mul_hi_u32 v6, s48, v3
	v_sub_u32_e32 v1, v1, v5
	v_add_u32_e32 v5, v3, v6
	v_mul_lo_u32 v6, v1, s44
	v_mul_lo_u32 v7, v1, s45
	;; [unrolled: 1-line block ×3, first 2 shown]
	v_lshrrev_b32_e32 v1, s49, v5
	v_mul_lo_u32 v5, v1, s43
	v_sub_u32_e32 v3, v3, v5
	s_addc_u32 s31, s39, 0
	s_add_i32 s37, s37, -2
	v_mul_lo_u32 v5, v3, s47
	v_mul_lo_u32 v9, v3, s50
	;; [unrolled: 1-line block ×3, first 2 shown]
	s_cmp_lg_u32 s37, 0
	v_add3_u32 v0, v6, v0, v5
	v_add3_u32 v2, v8, v2, v3
	;; [unrolled: 1-line block ×3, first 2 shown]
	s_cbranch_scc1 .LBB39_8
; %bb.9:
	s_bitcmp1_b32 s35, 0
	s_cselect_b64 s[38:39], -1, 0
	s_and_b64 vcc, exec, s[38:39]
	s_cbranch_vccnz .LBB39_11
; %bb.10:
	s_load_dwordx2 s[38:39], s[30:31], 0x18
	s_load_dword s37, s[30:31], 0x20
	s_load_dword s42, s[30:31], 0xe0
	s_load_dwordx2 s[40:41], s[30:31], 0xd8
	s_waitcnt lgkmcnt(0)
	v_mul_hi_u32 v3, s39, v1
	v_add_u32_e32 v3, v1, v3
	v_lshrrev_b32_e32 v3, s37, v3
	v_mul_lo_u32 v3, v3, s38
	v_sub_u32_e32 v3, v1, v3
	v_mad_u64_u32 v[0:1], s[30:31], v3, s40, v[0:1]
	v_mad_u64_u32 v[4:5], s[30:31], v3, s41, v[4:5]
	;; [unrolled: 1-line block ×3, first 2 shown]
.LBB39_11:
	s_cbranch_execz .LBB39_13
	s_branch .LBB39_15
.LBB39_12:
                                        ; implicit-def: $vgpr2
                                        ; implicit-def: $vgpr4
                                        ; implicit-def: $vgpr0
.LBB39_13:
	s_waitcnt lgkmcnt(0)
	v_mul_hi_u32 v0, s13, v12
	v_add_u32_e32 v0, v12, v0
	v_lshrrev_b32_e32 v1, s14, v0
	v_mul_lo_u32 v0, v1, s12
	v_sub_u32_e32 v3, v12, v0
	v_mul_lo_u32 v0, v3, s8
	v_mul_lo_u32 v2, v3, s10
	s_andn2_b64 vcc, exec, s[24:25]
	v_mul_lo_u32 v4, v3, s9
	s_cbranch_vccnz .LBB39_15
; %bb.14:
	v_mul_hi_u32 v3, s22, v1
	v_add_u32_e32 v3, v1, v3
	v_lshrrev_b32_e32 v3, s23, v3
	v_mul_lo_u32 v3, v3, s15
	v_sub_u32_e32 v3, v1, v3
	v_mad_u64_u32 v[0:1], s[30:31], v3, s11, v[0:1]
	v_mad_u64_u32 v[4:5], s[30:31], v3, s20, v[4:5]
	v_mad_u64_u32 v[2:3], s[30:31], v3, s21, v[2:3]
.LBB39_15:
	s_waitcnt lgkmcnt(0)
	global_load_ushort v1, v4, s[2:3]
	global_load_dword v3, v2, s[18:19]
	v_add_u32_e32 v12, 0x80, v12
	s_waitcnt vmcnt(1)
	v_cmp_lt_f16_e32 vcc, 0, v1
	s_waitcnt vmcnt(0)
	v_fma_mixlo_f16 v2, v3, v1, 0 op_sel_hi:[0,1,0]
	v_cndmask_b32_e32 v1, v2, v1, vcc
	global_store_short v0, v1, s[0:1]
	s_or_b64 exec, exec, s[28:29]
	v_cmp_gt_i32_e32 vcc, s36, v12
	s_and_saveexec_b64 s[28:29], vcc
	s_cbranch_execz .LBB39_3
.LBB39_16:
	s_andn2_b64 vcc, exec, s[6:7]
	s_cbranch_vccnz .LBB39_23
; %bb.17:
	s_andn2_b64 vcc, exec, s[26:27]
	v_mov_b32_e32 v2, 0
	v_mov_b32_e32 v4, 0
	;; [unrolled: 1-line block ×3, first 2 shown]
	s_cbranch_vccnz .LBB39_22
; %bb.18:
	s_add_i32 s30, s35, 1
	s_and_b32 s37, s30, 30
	s_add_u32 s30, s4, 0xffffffec
	s_addc_u32 s31, s5, -1
	v_mov_b32_e32 v0, 0
	v_mov_b32_e32 v1, v12
	v_mov_b32_e32 v4, 0
	v_mov_b32_e32 v2, 0
.LBB39_19:                              ; =>This Inner Loop Header: Depth=1
	s_mov_b64 s[38:39], s[30:31]
	s_load_dwordx4 s[40:43], s[38:39], 0x18
	s_load_dwordx2 s[48:49], s[38:39], 0x28
	s_load_dwordx2 s[50:51], s[38:39], 0xe8
	s_load_dwordx4 s[44:47], s[38:39], 0xd8
	s_add_u32 s30, s38, 24
	s_waitcnt lgkmcnt(0)
	v_mul_hi_u32 v3, s41, v1
	v_add_u32_e32 v3, v1, v3
	v_lshrrev_b32_e32 v3, s42, v3
	v_mul_lo_u32 v5, v3, s40
	v_mul_hi_u32 v6, s48, v3
	v_sub_u32_e32 v1, v1, v5
	v_add_u32_e32 v5, v3, v6
	v_mul_lo_u32 v6, v1, s44
	v_mul_lo_u32 v7, v1, s45
	;; [unrolled: 1-line block ×3, first 2 shown]
	v_lshrrev_b32_e32 v1, s49, v5
	v_mul_lo_u32 v5, v1, s43
	v_sub_u32_e32 v3, v3, v5
	s_addc_u32 s31, s39, 0
	s_add_i32 s37, s37, -2
	v_mul_lo_u32 v5, v3, s47
	v_mul_lo_u32 v9, v3, s50
	;; [unrolled: 1-line block ×3, first 2 shown]
	s_cmp_eq_u32 s37, 0
	v_add3_u32 v0, v6, v0, v5
	v_add3_u32 v2, v8, v2, v3
	;; [unrolled: 1-line block ×3, first 2 shown]
	s_cbranch_scc0 .LBB39_19
; %bb.20:
	s_bitcmp1_b32 s35, 0
	s_cselect_b64 s[38:39], -1, 0
	s_and_b64 vcc, exec, s[38:39]
	s_cbranch_vccnz .LBB39_22
; %bb.21:
	s_load_dwordx2 s[38:39], s[30:31], 0x18
	s_load_dword s37, s[30:31], 0x20
	s_load_dword s42, s[30:31], 0xe0
	s_load_dwordx2 s[40:41], s[30:31], 0xd8
	s_waitcnt lgkmcnt(0)
	v_mul_hi_u32 v3, s39, v1
	v_add_u32_e32 v3, v1, v3
	v_lshrrev_b32_e32 v3, s37, v3
	v_mul_lo_u32 v3, v3, s38
	v_sub_u32_e32 v3, v1, v3
	v_mad_u64_u32 v[0:1], s[30:31], v3, s40, v[0:1]
	v_mad_u64_u32 v[4:5], s[30:31], v3, s41, v[4:5]
	;; [unrolled: 1-line block ×3, first 2 shown]
.LBB39_22:
	s_cbranch_execz .LBB39_24
	s_branch .LBB39_26
.LBB39_23:
                                        ; implicit-def: $vgpr2
                                        ; implicit-def: $vgpr4
                                        ; implicit-def: $vgpr0
.LBB39_24:
	s_waitcnt lgkmcnt(0)
	v_mul_hi_u32 v0, s13, v12
	v_add_u32_e32 v0, v12, v0
	v_lshrrev_b32_e32 v1, s14, v0
	v_mul_lo_u32 v0, v1, s12
	v_sub_u32_e32 v3, v12, v0
	v_mul_lo_u32 v0, v3, s8
	v_mul_lo_u32 v2, v3, s10
	s_andn2_b64 vcc, exec, s[24:25]
	v_mul_lo_u32 v4, v3, s9
	s_cbranch_vccnz .LBB39_26
; %bb.25:
	v_mul_hi_u32 v3, s22, v1
	v_add_u32_e32 v3, v1, v3
	v_lshrrev_b32_e32 v3, s23, v3
	v_mul_lo_u32 v3, v3, s15
	v_sub_u32_e32 v3, v1, v3
	v_mad_u64_u32 v[0:1], s[30:31], v3, s11, v[0:1]
	v_mad_u64_u32 v[4:5], s[30:31], v3, s20, v[4:5]
	;; [unrolled: 1-line block ×3, first 2 shown]
.LBB39_26:
	s_waitcnt lgkmcnt(0)
	global_load_ushort v1, v4, s[2:3]
	global_load_dword v3, v2, s[18:19]
	v_add_u32_e32 v12, 0x80, v12
	s_waitcnt vmcnt(1)
	v_cmp_lt_f16_e32 vcc, 0, v1
	s_waitcnt vmcnt(0)
	v_fma_mixlo_f16 v2, v3, v1, 0 op_sel_hi:[0,1,0]
	v_cndmask_b32_e32 v1, v2, v1, vcc
	global_store_short v0, v1, s[0:1]
	s_or_b64 exec, exec, s[28:29]
	v_cmp_gt_i32_e32 vcc, s36, v12
	s_and_saveexec_b64 s[28:29], vcc
	s_cbranch_execz .LBB39_4
.LBB39_27:
	s_andn2_b64 vcc, exec, s[6:7]
	s_cbranch_vccnz .LBB39_34
; %bb.28:
	s_andn2_b64 vcc, exec, s[26:27]
	v_mov_b32_e32 v2, 0
	v_mov_b32_e32 v4, 0
	;; [unrolled: 1-line block ×3, first 2 shown]
	s_cbranch_vccnz .LBB39_33
; %bb.29:
	s_add_i32 s30, s35, 1
	s_and_b32 s37, s30, 30
	s_add_u32 s30, s4, 0xffffffec
	s_addc_u32 s31, s5, -1
	v_mov_b32_e32 v0, 0
	v_mov_b32_e32 v1, v12
	;; [unrolled: 1-line block ×4, first 2 shown]
.LBB39_30:                              ; =>This Inner Loop Header: Depth=1
	s_mov_b64 s[38:39], s[30:31]
	s_load_dwordx4 s[40:43], s[38:39], 0x18
	s_load_dwordx2 s[48:49], s[38:39], 0x28
	s_load_dwordx2 s[50:51], s[38:39], 0xe8
	s_load_dwordx4 s[44:47], s[38:39], 0xd8
	s_add_u32 s30, s38, 24
	s_waitcnt lgkmcnt(0)
	v_mul_hi_u32 v3, s41, v1
	v_add_u32_e32 v3, v1, v3
	v_lshrrev_b32_e32 v3, s42, v3
	v_mul_lo_u32 v5, v3, s40
	v_mul_hi_u32 v6, s48, v3
	v_sub_u32_e32 v1, v1, v5
	v_add_u32_e32 v5, v3, v6
	v_mul_lo_u32 v6, v1, s44
	v_mul_lo_u32 v7, v1, s45
	;; [unrolled: 1-line block ×3, first 2 shown]
	v_lshrrev_b32_e32 v1, s49, v5
	v_mul_lo_u32 v5, v1, s43
	v_sub_u32_e32 v3, v3, v5
	s_addc_u32 s31, s39, 0
	s_add_i32 s37, s37, -2
	v_mul_lo_u32 v5, v3, s47
	v_mul_lo_u32 v9, v3, s50
	;; [unrolled: 1-line block ×3, first 2 shown]
	s_cmp_eq_u32 s37, 0
	v_add3_u32 v0, v6, v0, v5
	v_add3_u32 v2, v8, v2, v3
	;; [unrolled: 1-line block ×3, first 2 shown]
	s_cbranch_scc0 .LBB39_30
; %bb.31:
	s_bitcmp1_b32 s35, 0
	s_cselect_b64 s[38:39], -1, 0
	s_and_b64 vcc, exec, s[38:39]
	s_cbranch_vccnz .LBB39_33
; %bb.32:
	s_load_dwordx2 s[38:39], s[30:31], 0x18
	s_load_dword s37, s[30:31], 0x20
	s_load_dword s42, s[30:31], 0xe0
	s_load_dwordx2 s[40:41], s[30:31], 0xd8
	s_waitcnt lgkmcnt(0)
	v_mul_hi_u32 v3, s39, v1
	v_add_u32_e32 v3, v1, v3
	v_lshrrev_b32_e32 v3, s37, v3
	v_mul_lo_u32 v3, v3, s38
	v_sub_u32_e32 v3, v1, v3
	v_mad_u64_u32 v[0:1], s[30:31], v3, s40, v[0:1]
	v_mad_u64_u32 v[4:5], s[30:31], v3, s41, v[4:5]
	;; [unrolled: 1-line block ×3, first 2 shown]
.LBB39_33:
	s_cbranch_execz .LBB39_35
	s_branch .LBB39_37
.LBB39_34:
                                        ; implicit-def: $vgpr2
                                        ; implicit-def: $vgpr4
                                        ; implicit-def: $vgpr0
.LBB39_35:
	s_waitcnt lgkmcnt(0)
	v_mul_hi_u32 v0, s13, v12
	v_add_u32_e32 v0, v12, v0
	v_lshrrev_b32_e32 v1, s14, v0
	v_mul_lo_u32 v0, v1, s12
	v_sub_u32_e32 v3, v12, v0
	v_mul_lo_u32 v0, v3, s8
	v_mul_lo_u32 v2, v3, s10
	s_andn2_b64 vcc, exec, s[24:25]
	v_mul_lo_u32 v4, v3, s9
	s_cbranch_vccnz .LBB39_37
; %bb.36:
	v_mul_hi_u32 v3, s22, v1
	v_add_u32_e32 v3, v1, v3
	v_lshrrev_b32_e32 v3, s23, v3
	v_mul_lo_u32 v3, v3, s15
	v_sub_u32_e32 v3, v1, v3
	v_mad_u64_u32 v[0:1], s[30:31], v3, s11, v[0:1]
	v_mad_u64_u32 v[4:5], s[30:31], v3, s20, v[4:5]
	;; [unrolled: 1-line block ×3, first 2 shown]
.LBB39_37:
	s_waitcnt lgkmcnt(0)
	global_load_ushort v1, v4, s[2:3]
	global_load_dword v3, v2, s[18:19]
	v_add_u32_e32 v12, 0x80, v12
	s_waitcnt vmcnt(1)
	v_cmp_lt_f16_e32 vcc, 0, v1
	s_waitcnt vmcnt(0)
	v_fma_mixlo_f16 v2, v3, v1, 0 op_sel_hi:[0,1,0]
	v_cndmask_b32_e32 v1, v2, v1, vcc
	global_store_short v0, v1, s[0:1]
	s_or_b64 exec, exec, s[28:29]
	v_cmp_gt_i32_e32 vcc, s36, v12
	s_and_saveexec_b64 s[28:29], vcc
	s_cbranch_execz .LBB39_49
.LBB39_38:
	s_andn2_b64 vcc, exec, s[6:7]
	s_cbranch_vccnz .LBB39_45
; %bb.39:
	s_andn2_b64 vcc, exec, s[26:27]
	v_mov_b32_e32 v2, 0
	v_mov_b32_e32 v4, 0
	;; [unrolled: 1-line block ×3, first 2 shown]
	s_cbranch_vccnz .LBB39_44
; %bb.40:
	s_add_i32 s26, s35, 1
	s_and_b32 s30, s26, 30
	s_add_u32 s26, s4, 0xffffffec
	s_addc_u32 s27, s5, -1
	v_mov_b32_e32 v0, 0
	v_mov_b32_e32 v1, v12
	;; [unrolled: 1-line block ×4, first 2 shown]
.LBB39_41:                              ; =>This Inner Loop Header: Depth=1
	s_mov_b64 s[44:45], s[26:27]
	s_load_dwordx4 s[36:39], s[44:45], 0x18
	s_load_dwordx2 s[46:47], s[44:45], 0x28
	s_load_dwordx2 s[48:49], s[44:45], 0xe8
	s_load_dwordx4 s[40:43], s[44:45], 0xd8
	s_add_u32 s26, s44, 24
	s_waitcnt lgkmcnt(0)
	v_mul_hi_u32 v3, s37, v1
	v_add_u32_e32 v3, v1, v3
	v_lshrrev_b32_e32 v3, s38, v3
	v_mul_lo_u32 v5, v3, s36
	v_mul_hi_u32 v6, s46, v3
	v_sub_u32_e32 v1, v1, v5
	v_add_u32_e32 v5, v3, v6
	v_mul_lo_u32 v6, v1, s40
	v_mul_lo_u32 v7, v1, s41
	;; [unrolled: 1-line block ×3, first 2 shown]
	v_lshrrev_b32_e32 v1, s47, v5
	v_mul_lo_u32 v5, v1, s39
	v_sub_u32_e32 v3, v3, v5
	s_addc_u32 s27, s45, 0
	s_add_i32 s30, s30, -2
	v_mul_lo_u32 v5, v3, s43
	v_mul_lo_u32 v9, v3, s48
	;; [unrolled: 1-line block ×3, first 2 shown]
	s_cmp_eq_u32 s30, 0
	v_add3_u32 v0, v6, v0, v5
	v_add3_u32 v2, v8, v2, v3
	;; [unrolled: 1-line block ×3, first 2 shown]
	s_cbranch_scc0 .LBB39_41
; %bb.42:
	s_bitcmp1_b32 s35, 0
	s_cselect_b64 s[30:31], -1, 0
	s_and_b64 vcc, exec, s[30:31]
	s_cbranch_vccnz .LBB39_44
; %bb.43:
	s_load_dwordx2 s[30:31], s[26:27], 0x18
	s_load_dword s35, s[26:27], 0x20
	s_load_dword s38, s[26:27], 0xe0
	s_load_dwordx2 s[36:37], s[26:27], 0xd8
	s_waitcnt lgkmcnt(0)
	v_mul_hi_u32 v3, s31, v1
	v_add_u32_e32 v3, v1, v3
	v_lshrrev_b32_e32 v3, s35, v3
	v_mul_lo_u32 v3, v3, s30
	v_sub_u32_e32 v3, v1, v3
	v_mad_u64_u32 v[0:1], s[26:27], v3, s36, v[0:1]
	v_mad_u64_u32 v[4:5], s[26:27], v3, s37, v[4:5]
	v_mad_u64_u32 v[2:3], s[26:27], v3, s38, v[2:3]
.LBB39_44:
	s_cbranch_execz .LBB39_46
	s_branch .LBB39_48
.LBB39_45:
                                        ; implicit-def: $vgpr2
                                        ; implicit-def: $vgpr4
                                        ; implicit-def: $vgpr0
.LBB39_46:
	s_waitcnt lgkmcnt(0)
	v_mul_hi_u32 v0, s13, v12
	v_add_u32_e32 v0, v12, v0
	v_lshrrev_b32_e32 v1, s14, v0
	v_mul_lo_u32 v0, v1, s12
	v_sub_u32_e32 v3, v12, v0
	v_mul_lo_u32 v0, v3, s8
	v_mul_lo_u32 v2, v3, s10
	s_andn2_b64 vcc, exec, s[24:25]
	v_mul_lo_u32 v4, v3, s9
	s_cbranch_vccnz .LBB39_48
; %bb.47:
	v_mul_hi_u32 v3, s22, v1
	v_add_u32_e32 v3, v1, v3
	v_lshrrev_b32_e32 v3, s23, v3
	v_mul_lo_u32 v3, v3, s15
	v_sub_u32_e32 v3, v1, v3
	v_mad_u64_u32 v[0:1], s[8:9], v3, s11, v[0:1]
	v_mad_u64_u32 v[4:5], s[8:9], v3, s20, v[4:5]
	;; [unrolled: 1-line block ×3, first 2 shown]
.LBB39_48:
	s_waitcnt lgkmcnt(0)
	global_load_ushort v1, v4, s[2:3]
	global_load_dword v3, v2, s[18:19]
	s_waitcnt vmcnt(1)
	v_cmp_lt_f16_e32 vcc, 0, v1
	s_waitcnt vmcnt(0)
	v_fma_mixlo_f16 v2, v3, v1, 0 op_sel_hi:[0,1,0]
	v_cndmask_b32_e32 v1, v2, v1, vcc
	global_store_short v0, v1, s[0:1]
.LBB39_49:
	s_or_b64 exec, exec, s[28:29]
                                        ; implicit-def: $vgpr24
                                        ; implicit-def: $vgpr12
.LBB39_50:
	s_waitcnt lgkmcnt(0)
	s_andn2_saveexec_b64 s[0:1], s[16:17]
	s_cbranch_execz .LBB39_57
; %bb.51:
	v_cndmask_b32_e64 v0, 0, 1, s[6:7]
	v_cmp_ne_u32_e64 s[0:1], 1, v0
	s_andn2_b64 vcc, exec, s[6:7]
	s_cbranch_vccnz .LBB39_58
; %bb.52:
	s_cmp_lg_u32 s33, 0
	v_mov_b32_e32 v4, 0
	v_mov_b32_e32 v2, 0
	;; [unrolled: 1-line block ×3, first 2 shown]
	s_cbranch_scc0 .LBB39_59
; %bb.53:
	s_min_u32 s6, s34, 15
	s_add_i32 s2, s6, 1
	s_and_b32 s7, s2, 30
	s_add_u32 s2, s4, 0xffffffec
	s_addc_u32 s3, s5, -1
	v_mov_b32_e32 v0, 0
	v_mov_b32_e32 v1, v12
	;; [unrolled: 1-line block ×4, first 2 shown]
.LBB39_54:                              ; =>This Inner Loop Header: Depth=1
	s_mov_b64 s[16:17], s[2:3]
	s_load_dwordx4 s[8:11], s[16:17], 0x18
	s_load_dwordx2 s[18:19], s[16:17], 0x28
	s_load_dwordx2 s[20:21], s[16:17], 0xe8
	s_load_dwordx4 s[12:15], s[16:17], 0xd8
	s_add_u32 s2, s16, 24
	s_waitcnt lgkmcnt(0)
	v_mul_hi_u32 v3, s9, v1
	v_add_u32_e32 v3, v1, v3
	v_lshrrev_b32_e32 v3, s10, v3
	v_mul_lo_u32 v5, v3, s8
	v_mul_hi_u32 v6, s18, v3
	v_sub_u32_e32 v1, v1, v5
	v_add_u32_e32 v5, v3, v6
	v_mul_lo_u32 v6, v1, s12
	v_mul_lo_u32 v7, v1, s13
	;; [unrolled: 1-line block ×3, first 2 shown]
	v_lshrrev_b32_e32 v1, s19, v5
	v_mul_lo_u32 v5, v1, s11
	v_sub_u32_e32 v3, v3, v5
	s_addc_u32 s3, s17, 0
	s_add_i32 s7, s7, -2
	v_mul_lo_u32 v5, v3, s15
	v_mul_lo_u32 v9, v3, s20
	;; [unrolled: 1-line block ×3, first 2 shown]
	s_cmp_lg_u32 s7, 0
	v_add3_u32 v0, v6, v0, v5
	v_add3_u32 v4, v8, v4, v3
	;; [unrolled: 1-line block ×3, first 2 shown]
	s_cbranch_scc1 .LBB39_54
; %bb.55:
	s_bitcmp1_b32 s6, 0
	s_cselect_b64 s[6:7], -1, 0
	s_and_b64 vcc, exec, s[6:7]
	s_cbranch_vccnz .LBB39_59
; %bb.56:
	s_load_dwordx2 s[6:7], s[2:3], 0x18
	s_load_dword s10, s[2:3], 0x20
	s_load_dword s11, s[2:3], 0xe0
	s_load_dwordx2 s[8:9], s[2:3], 0xd8
	s_waitcnt lgkmcnt(0)
	v_mul_hi_u32 v3, s7, v1
	v_add_u32_e32 v3, v1, v3
	v_lshrrev_b32_e32 v3, s10, v3
	v_mul_lo_u32 v3, v3, s6
	v_sub_u32_e32 v5, v1, v3
	v_mad_u64_u32 v[0:1], s[2:3], v5, s8, v[0:1]
	v_mad_u64_u32 v[2:3], s[2:3], v5, s9, v[2:3]
	;; [unrolled: 1-line block ×3, first 2 shown]
	s_cbranch_execz .LBB39_60
	s_branch .LBB39_62
.LBB39_57:
	s_endpgm
.LBB39_58:
                                        ; implicit-def: $vgpr4
                                        ; implicit-def: $vgpr2
                                        ; implicit-def: $vgpr0
	s_branch .LBB39_60
.LBB39_59:
	s_cbranch_execnz .LBB39_62
.LBB39_60:
	s_load_dwordx4 s[8:11], s[4:5], 0x4
	s_load_dwordx4 s[12:15], s[4:5], 0xc4
	s_cmp_lt_u32 s33, 2
	s_waitcnt lgkmcnt(0)
	v_mul_hi_u32 v0, s9, v12
	v_add_u32_e32 v0, v12, v0
	v_lshrrev_b32_e32 v1, s10, v0
	v_mul_lo_u32 v0, v1, s8
	v_sub_u32_e32 v2, v12, v0
	v_mul_lo_u32 v0, v2, s12
	v_mul_lo_u32 v4, v2, s14
	;; [unrolled: 1-line block ×3, first 2 shown]
	s_cbranch_scc1 .LBB39_62
; %bb.61:
	s_load_dwordx4 s[8:11], s[4:5], 0x10
	s_load_dwordx4 s[12:15], s[4:5], 0xd0
	s_waitcnt lgkmcnt(0)
	v_mul_hi_u32 v3, s9, v1
	v_add_u32_e32 v3, v1, v3
	v_lshrrev_b32_e32 v3, s10, v3
	v_mul_lo_u32 v3, v3, s8
	v_sub_u32_e32 v5, v1, v3
	v_mad_u64_u32 v[0:1], s[2:3], v5, s12, v[0:1]
	v_mad_u64_u32 v[2:3], s[2:3], v5, s13, v[2:3]
	;; [unrolled: 1-line block ×3, first 2 shown]
.LBB39_62:
	s_and_b64 vcc, exec, s[0:1]
	v_add_u32_e32 v1, 0x80, v12
	s_cbranch_vccnz .LBB39_68
; %bb.63:
	s_cmp_lg_u32 s33, 0
	v_mov_b32_e32 v8, 0
	v_mov_b32_e32 v10, 0
	;; [unrolled: 1-line block ×3, first 2 shown]
	s_cbranch_scc0 .LBB39_69
; %bb.64:
	s_min_u32 s6, s34, 15
	s_add_i32 s2, s6, 1
	s_and_b32 s7, s2, 30
	s_add_u32 s2, s4, 0xffffffec
	s_addc_u32 s3, s5, -1
	v_mov_b32_e32 v6, 0
	v_mov_b32_e32 v3, v1
	;; [unrolled: 1-line block ×4, first 2 shown]
.LBB39_65:                              ; =>This Inner Loop Header: Depth=1
	s_mov_b64 s[16:17], s[2:3]
	s_load_dwordx4 s[8:11], s[16:17], 0x18
	s_load_dwordx2 s[18:19], s[16:17], 0x28
	s_load_dwordx2 s[20:21], s[16:17], 0xe8
	s_load_dwordx4 s[12:15], s[16:17], 0xd8
	s_add_u32 s2, s16, 24
	s_waitcnt lgkmcnt(0)
	v_mul_hi_u32 v5, s9, v3
	v_add_u32_e32 v5, v3, v5
	v_lshrrev_b32_e32 v5, s10, v5
	v_mul_lo_u32 v7, v5, s8
	v_mul_hi_u32 v9, s18, v5
	v_sub_u32_e32 v3, v3, v7
	v_add_u32_e32 v7, v5, v9
	v_mul_lo_u32 v9, v3, s12
	v_mul_lo_u32 v11, v3, s13
	;; [unrolled: 1-line block ×3, first 2 shown]
	v_lshrrev_b32_e32 v3, s19, v7
	v_mul_lo_u32 v7, v3, s11
	v_sub_u32_e32 v5, v5, v7
	s_addc_u32 s3, s17, 0
	s_add_i32 s7, s7, -2
	v_mul_lo_u32 v7, v5, s15
	v_mul_lo_u32 v14, v5, s20
	;; [unrolled: 1-line block ×3, first 2 shown]
	s_cmp_lg_u32 s7, 0
	v_add3_u32 v6, v9, v6, v7
	v_add3_u32 v8, v13, v8, v5
	;; [unrolled: 1-line block ×3, first 2 shown]
	s_cbranch_scc1 .LBB39_65
; %bb.66:
	s_bitcmp1_b32 s6, 0
	s_cselect_b64 s[6:7], -1, 0
	s_and_b64 vcc, exec, s[6:7]
	s_cbranch_vccnz .LBB39_69
; %bb.67:
	s_load_dwordx2 s[6:7], s[2:3], 0x18
	s_load_dword s10, s[2:3], 0x20
	s_load_dword s11, s[2:3], 0xe0
	s_load_dwordx2 s[8:9], s[2:3], 0xd8
	s_waitcnt lgkmcnt(0)
	v_mul_hi_u32 v5, s7, v3
	v_add_u32_e32 v5, v3, v5
	v_lshrrev_b32_e32 v5, s10, v5
	v_mul_lo_u32 v5, v5, s6
	v_sub_u32_e32 v3, v3, v5
	v_mad_u64_u32 v[6:7], s[2:3], v3, s8, v[6:7]
	v_mad_u64_u32 v[10:11], s[2:3], v3, s9, v[10:11]
	;; [unrolled: 1-line block ×3, first 2 shown]
	s_cbranch_execz .LBB39_70
	s_branch .LBB39_72
.LBB39_68:
                                        ; implicit-def: $vgpr8
                                        ; implicit-def: $vgpr10
                                        ; implicit-def: $vgpr6
	s_branch .LBB39_70
.LBB39_69:
	s_cbranch_execnz .LBB39_72
.LBB39_70:
	s_load_dwordx4 s[8:11], s[4:5], 0x4
	s_load_dwordx4 s[12:15], s[4:5], 0xc4
	s_cmp_lt_u32 s33, 2
	s_waitcnt lgkmcnt(0)
	v_mul_hi_u32 v3, s9, v1
	v_add_u32_e32 v3, v1, v3
	v_lshrrev_b32_e32 v3, s10, v3
	v_mul_lo_u32 v5, v3, s8
	v_sub_u32_e32 v1, v1, v5
	v_mul_lo_u32 v6, v1, s12
	v_mul_lo_u32 v8, v1, s14
	;; [unrolled: 1-line block ×3, first 2 shown]
	s_cbranch_scc1 .LBB39_72
; %bb.71:
	s_load_dwordx4 s[8:11], s[4:5], 0x10
	s_load_dwordx4 s[12:15], s[4:5], 0xd0
	s_waitcnt lgkmcnt(0)
	v_mul_hi_u32 v1, s9, v3
	v_add_u32_e32 v1, v3, v1
	v_lshrrev_b32_e32 v1, s10, v1
	v_mul_lo_u32 v1, v1, s8
	v_sub_u32_e32 v1, v3, v1
	v_mad_u64_u32 v[6:7], s[2:3], v1, s12, v[6:7]
	v_mad_u64_u32 v[10:11], s[2:3], v1, s13, v[10:11]
	;; [unrolled: 1-line block ×3, first 2 shown]
.LBB39_72:
	s_and_b64 vcc, exec, s[0:1]
	v_add_u32_e32 v1, 0x100, v12
	s_cbranch_vccnz .LBB39_78
; %bb.73:
	s_cmp_lg_u32 s33, 0
	v_mov_b32_e32 v14, 0
	v_mov_b32_e32 v16, 0
	v_mov_b32_e32 v12, 0
	s_cbranch_scc0 .LBB39_79
; %bb.74:
	s_min_u32 s6, s34, 15
	s_add_i32 s2, s6, 1
	s_and_b32 s7, s2, 30
	s_add_u32 s2, s4, 0xffffffec
	s_addc_u32 s3, s5, -1
	v_mov_b32_e32 v12, 0
	v_mov_b32_e32 v3, v1
	;; [unrolled: 1-line block ×4, first 2 shown]
.LBB39_75:                              ; =>This Inner Loop Header: Depth=1
	s_mov_b64 s[16:17], s[2:3]
	s_load_dwordx4 s[8:11], s[16:17], 0x18
	s_load_dwordx2 s[18:19], s[16:17], 0x28
	s_load_dwordx2 s[20:21], s[16:17], 0xe8
	s_load_dwordx4 s[12:15], s[16:17], 0xd8
	s_add_u32 s2, s16, 24
	s_waitcnt lgkmcnt(0)
	v_mul_hi_u32 v5, s9, v3
	v_add_u32_e32 v5, v3, v5
	v_lshrrev_b32_e32 v5, s10, v5
	v_mul_lo_u32 v7, v5, s8
	v_mul_hi_u32 v9, s18, v5
	v_sub_u32_e32 v3, v3, v7
	v_add_u32_e32 v7, v5, v9
	v_mul_lo_u32 v9, v3, s12
	v_mul_lo_u32 v11, v3, s13
	;; [unrolled: 1-line block ×3, first 2 shown]
	v_lshrrev_b32_e32 v3, s19, v7
	v_mul_lo_u32 v7, v3, s11
	v_sub_u32_e32 v5, v5, v7
	s_addc_u32 s3, s17, 0
	s_add_i32 s7, s7, -2
	v_mul_lo_u32 v7, v5, s15
	v_mul_lo_u32 v15, v5, s20
	;; [unrolled: 1-line block ×3, first 2 shown]
	s_cmp_lg_u32 s7, 0
	v_add3_u32 v12, v9, v12, v7
	v_add3_u32 v14, v13, v14, v5
	;; [unrolled: 1-line block ×3, first 2 shown]
	s_cbranch_scc1 .LBB39_75
; %bb.76:
	s_bitcmp1_b32 s6, 0
	s_cselect_b64 s[6:7], -1, 0
	s_and_b64 vcc, exec, s[6:7]
	s_cbranch_vccnz .LBB39_79
; %bb.77:
	s_load_dwordx2 s[6:7], s[2:3], 0x18
	s_load_dword s10, s[2:3], 0x20
	s_load_dword s11, s[2:3], 0xe0
	s_load_dwordx2 s[8:9], s[2:3], 0xd8
	s_waitcnt lgkmcnt(0)
	v_mul_hi_u32 v5, s7, v3
	v_add_u32_e32 v5, v3, v5
	v_lshrrev_b32_e32 v5, s10, v5
	v_mul_lo_u32 v5, v5, s6
	v_sub_u32_e32 v3, v3, v5
	v_mad_u64_u32 v[12:13], s[2:3], v3, s8, v[12:13]
	v_mad_u64_u32 v[16:17], s[2:3], v3, s9, v[16:17]
	;; [unrolled: 1-line block ×3, first 2 shown]
	s_cbranch_execz .LBB39_80
	s_branch .LBB39_82
.LBB39_78:
                                        ; implicit-def: $vgpr14
                                        ; implicit-def: $vgpr16
                                        ; implicit-def: $vgpr12
	s_branch .LBB39_80
.LBB39_79:
	s_cbranch_execnz .LBB39_82
.LBB39_80:
	s_load_dwordx4 s[8:11], s[4:5], 0x4
	s_load_dwordx4 s[12:15], s[4:5], 0xc4
	s_cmp_lt_u32 s33, 2
	s_waitcnt lgkmcnt(0)
	v_mul_hi_u32 v3, s9, v1
	v_add_u32_e32 v3, v1, v3
	v_lshrrev_b32_e32 v3, s10, v3
	v_mul_lo_u32 v5, v3, s8
	v_sub_u32_e32 v1, v1, v5
	v_mul_lo_u32 v12, v1, s12
	v_mul_lo_u32 v14, v1, s14
	v_mul_lo_u32 v16, v1, s13
	s_cbranch_scc1 .LBB39_82
; %bb.81:
	s_load_dwordx4 s[8:11], s[4:5], 0x10
	s_load_dwordx4 s[12:15], s[4:5], 0xd0
	s_waitcnt lgkmcnt(0)
	v_mul_hi_u32 v1, s9, v3
	v_add_u32_e32 v1, v3, v1
	v_lshrrev_b32_e32 v1, s10, v1
	v_mul_lo_u32 v1, v1, s8
	v_sub_u32_e32 v1, v3, v1
	v_mad_u64_u32 v[12:13], s[2:3], v1, s12, v[12:13]
	v_mad_u64_u32 v[16:17], s[2:3], v1, s13, v[16:17]
	;; [unrolled: 1-line block ×3, first 2 shown]
.LBB39_82:
	s_and_b64 vcc, exec, s[0:1]
	s_cbranch_vccnz .LBB39_88
; %bb.83:
	s_cmp_lg_u32 s33, 0
	v_mov_b32_e32 v20, 0
	v_mov_b32_e32 v22, 0
	;; [unrolled: 1-line block ×3, first 2 shown]
	s_cbranch_scc0 .LBB39_89
; %bb.84:
	s_min_u32 s2, s34, 15
	s_add_i32 s0, s2, 1
	s_and_b32 s3, s0, 30
	s_add_u32 s0, s4, 0xffffffec
	s_addc_u32 s1, s5, -1
	v_mov_b32_e32 v18, 0
	v_mov_b32_e32 v1, v24
	;; [unrolled: 1-line block ×4, first 2 shown]
.LBB39_85:                              ; =>This Inner Loop Header: Depth=1
	s_mov_b64 s[6:7], s[0:1]
	s_load_dwordx4 s[8:11], s[6:7], 0x18
	s_load_dwordx2 s[16:17], s[6:7], 0x28
	s_load_dwordx2 s[18:19], s[6:7], 0xe8
	s_load_dwordx4 s[12:15], s[6:7], 0xd8
	s_add_u32 s0, s6, 24
	s_waitcnt lgkmcnt(0)
	v_mul_hi_u32 v3, s9, v1
	v_add_u32_e32 v3, v1, v3
	v_lshrrev_b32_e32 v3, s10, v3
	v_mul_lo_u32 v5, v3, s8
	v_mul_hi_u32 v7, s16, v3
	v_sub_u32_e32 v1, v1, v5
	v_add_u32_e32 v5, v3, v7
	v_mul_lo_u32 v7, v1, s12
	v_mul_lo_u32 v9, v1, s13
	;; [unrolled: 1-line block ×3, first 2 shown]
	v_lshrrev_b32_e32 v1, s17, v5
	v_mul_lo_u32 v5, v1, s11
	v_sub_u32_e32 v3, v3, v5
	s_addc_u32 s1, s7, 0
	s_add_i32 s3, s3, -2
	v_mul_lo_u32 v5, v3, s15
	v_mul_lo_u32 v13, v3, s18
	;; [unrolled: 1-line block ×3, first 2 shown]
	s_cmp_lg_u32 s3, 0
	v_add3_u32 v18, v7, v18, v5
	v_add3_u32 v20, v11, v20, v3
	;; [unrolled: 1-line block ×3, first 2 shown]
	s_cbranch_scc1 .LBB39_85
; %bb.86:
	s_bitcmp1_b32 s2, 0
	s_cselect_b64 s[2:3], -1, 0
	s_and_b64 vcc, exec, s[2:3]
	s_cbranch_vccnz .LBB39_89
; %bb.87:
	s_load_dwordx2 s[2:3], s[0:1], 0x18
	s_load_dword s8, s[0:1], 0x20
	s_load_dword s9, s[0:1], 0xe0
	s_load_dwordx2 s[6:7], s[0:1], 0xd8
	s_waitcnt lgkmcnt(0)
	v_mul_hi_u32 v3, s3, v1
	v_add_u32_e32 v3, v1, v3
	v_lshrrev_b32_e32 v3, s8, v3
	v_mul_lo_u32 v3, v3, s2
	v_sub_u32_e32 v1, v1, v3
	v_mad_u64_u32 v[18:19], s[0:1], v1, s6, v[18:19]
	v_mad_u64_u32 v[22:23], s[0:1], v1, s7, v[22:23]
	;; [unrolled: 1-line block ×3, first 2 shown]
	s_cbranch_execz .LBB39_90
	s_branch .LBB39_92
.LBB39_88:
                                        ; implicit-def: $vgpr20
                                        ; implicit-def: $vgpr22
                                        ; implicit-def: $vgpr18
	s_branch .LBB39_90
.LBB39_89:
	s_cbranch_execnz .LBB39_92
.LBB39_90:
	s_load_dwordx4 s[0:3], s[4:5], 0x4
	s_load_dwordx4 s[8:11], s[4:5], 0xc4
	s_cmp_lt_u32 s33, 2
	s_waitcnt lgkmcnt(0)
	v_mul_hi_u32 v1, s1, v24
	v_add_u32_e32 v1, v24, v1
	v_lshrrev_b32_e32 v1, s2, v1
	v_mul_lo_u32 v3, v1, s0
	v_sub_u32_e32 v3, v24, v3
	v_mul_lo_u32 v18, v3, s8
	v_mul_lo_u32 v20, v3, s10
	;; [unrolled: 1-line block ×3, first 2 shown]
	s_cbranch_scc1 .LBB39_92
; %bb.91:
	s_load_dwordx4 s[0:3], s[4:5], 0x10
	s_load_dwordx4 s[8:11], s[4:5], 0xd0
	s_waitcnt lgkmcnt(0)
	v_mul_hi_u32 v3, s1, v1
	v_add_u32_e32 v3, v1, v3
	v_lshrrev_b32_e32 v3, s2, v3
	v_mul_lo_u32 v3, v3, s0
	v_sub_u32_e32 v1, v1, v3
	v_mad_u64_u32 v[18:19], s[0:1], v1, s8, v[18:19]
	v_mad_u64_u32 v[22:23], s[0:1], v1, s9, v[22:23]
	;; [unrolled: 1-line block ×3, first 2 shown]
.LBB39_92:
	s_load_dwordx4 s[0:3], s[4:5], 0x188
	s_load_dwordx2 s[6:7], s[4:5], 0x198
	s_waitcnt lgkmcnt(0)
	global_load_ushort v1, v2, s[2:3]
	global_load_dword v3, v4, s[6:7]
	global_load_ushort v5, v10, s[2:3]
	global_load_dword v7, v8, s[6:7]
	;; [unrolled: 2-line block ×4, first 2 shown]
	s_waitcnt vmcnt(7)
	v_cmp_lt_f16_e32 vcc, 0, v1
	s_waitcnt vmcnt(6)
	v_fma_mixlo_f16 v2, v3, v1, 0 op_sel_hi:[0,1,0]
	v_cndmask_b32_e32 v1, v2, v1, vcc
	s_waitcnt vmcnt(4)
	v_fma_mixlo_f16 v3, v7, v5, 0 op_sel_hi:[0,1,0]
	v_cmp_lt_f16_e32 vcc, 0, v5
	s_waitcnt vmcnt(2)
	v_fma_mixlo_f16 v4, v11, v9, 0 op_sel_hi:[0,1,0]
	v_cndmask_b32_e32 v2, v3, v5, vcc
	v_cmp_lt_f16_e32 vcc, 0, v9
	s_waitcnt vmcnt(0)
	v_fma_mixlo_f16 v7, v15, v13, 0 op_sel_hi:[0,1,0]
	v_cndmask_b32_e32 v3, v4, v9, vcc
	v_cmp_lt_f16_e32 vcc, 0, v13
	v_cndmask_b32_e32 v4, v7, v13, vcc
	global_store_short v0, v1, s[0:1]
	global_store_short v6, v2, s[0:1]
	;; [unrolled: 1-line block ×4, first 2 shown]
	s_endpgm
	.section	.rodata,"a",@progbits
	.p2align	6, 0x0
	.amdhsa_kernel _ZN2at6native32elementwise_kernel_manual_unrollILi128ELi4EZNS0_12_GLOBAL__N_142type_specialized_broadcast_kernel_launcherILi5EE5applyIZZZNS0_12prelu_kernelERNS_14TensorIteratorEENKUlvE_clEvENKUlvE0_clEvEUlffE_St5arrayIPcLm3EESB_IN3c1010ScalarTypeELm3EE16OffsetCalculatorILi3EjLb0EEEEvlT_T0_T1_T2_EUlibE_EEviSL_
		.amdhsa_group_segment_fixed_size 0
		.amdhsa_private_segment_fixed_size 0
		.amdhsa_kernarg_size 432
		.amdhsa_user_sgpr_count 6
		.amdhsa_user_sgpr_private_segment_buffer 1
		.amdhsa_user_sgpr_dispatch_ptr 0
		.amdhsa_user_sgpr_queue_ptr 0
		.amdhsa_user_sgpr_kernarg_segment_ptr 1
		.amdhsa_user_sgpr_dispatch_id 0
		.amdhsa_user_sgpr_flat_scratch_init 0
		.amdhsa_user_sgpr_kernarg_preload_length 0
		.amdhsa_user_sgpr_kernarg_preload_offset 0
		.amdhsa_user_sgpr_private_segment_size 0
		.amdhsa_uses_dynamic_stack 0
		.amdhsa_system_sgpr_private_segment_wavefront_offset 0
		.amdhsa_system_sgpr_workgroup_id_x 1
		.amdhsa_system_sgpr_workgroup_id_y 0
		.amdhsa_system_sgpr_workgroup_id_z 0
		.amdhsa_system_sgpr_workgroup_info 0
		.amdhsa_system_vgpr_workitem_id 0
		.amdhsa_next_free_vgpr 25
		.amdhsa_next_free_sgpr 52
		.amdhsa_accum_offset 28
		.amdhsa_reserve_vcc 1
		.amdhsa_reserve_flat_scratch 0
		.amdhsa_float_round_mode_32 0
		.amdhsa_float_round_mode_16_64 0
		.amdhsa_float_denorm_mode_32 3
		.amdhsa_float_denorm_mode_16_64 3
		.amdhsa_dx10_clamp 1
		.amdhsa_ieee_mode 1
		.amdhsa_fp16_overflow 0
		.amdhsa_tg_split 0
		.amdhsa_exception_fp_ieee_invalid_op 0
		.amdhsa_exception_fp_denorm_src 0
		.amdhsa_exception_fp_ieee_div_zero 0
		.amdhsa_exception_fp_ieee_overflow 0
		.amdhsa_exception_fp_ieee_underflow 0
		.amdhsa_exception_fp_ieee_inexact 0
		.amdhsa_exception_int_div_zero 0
	.end_amdhsa_kernel
	.section	.text._ZN2at6native32elementwise_kernel_manual_unrollILi128ELi4EZNS0_12_GLOBAL__N_142type_specialized_broadcast_kernel_launcherILi5EE5applyIZZZNS0_12prelu_kernelERNS_14TensorIteratorEENKUlvE_clEvENKUlvE0_clEvEUlffE_St5arrayIPcLm3EESB_IN3c1010ScalarTypeELm3EE16OffsetCalculatorILi3EjLb0EEEEvlT_T0_T1_T2_EUlibE_EEviSL_,"axG",@progbits,_ZN2at6native32elementwise_kernel_manual_unrollILi128ELi4EZNS0_12_GLOBAL__N_142type_specialized_broadcast_kernel_launcherILi5EE5applyIZZZNS0_12prelu_kernelERNS_14TensorIteratorEENKUlvE_clEvENKUlvE0_clEvEUlffE_St5arrayIPcLm3EESB_IN3c1010ScalarTypeELm3EE16OffsetCalculatorILi3EjLb0EEEEvlT_T0_T1_T2_EUlibE_EEviSL_,comdat
.Lfunc_end39:
	.size	_ZN2at6native32elementwise_kernel_manual_unrollILi128ELi4EZNS0_12_GLOBAL__N_142type_specialized_broadcast_kernel_launcherILi5EE5applyIZZZNS0_12prelu_kernelERNS_14TensorIteratorEENKUlvE_clEvENKUlvE0_clEvEUlffE_St5arrayIPcLm3EESB_IN3c1010ScalarTypeELm3EE16OffsetCalculatorILi3EjLb0EEEEvlT_T0_T1_T2_EUlibE_EEviSL_, .Lfunc_end39-_ZN2at6native32elementwise_kernel_manual_unrollILi128ELi4EZNS0_12_GLOBAL__N_142type_specialized_broadcast_kernel_launcherILi5EE5applyIZZZNS0_12prelu_kernelERNS_14TensorIteratorEENKUlvE_clEvENKUlvE0_clEvEUlffE_St5arrayIPcLm3EESB_IN3c1010ScalarTypeELm3EE16OffsetCalculatorILi3EjLb0EEEEvlT_T0_T1_T2_EUlibE_EEviSL_
                                        ; -- End function
	.section	.AMDGPU.csdata,"",@progbits
; Kernel info:
; codeLenInByte = 4768
; NumSgprs: 56
; NumVgprs: 25
; NumAgprs: 0
; TotalNumVgprs: 25
; ScratchSize: 0
; MemoryBound: 0
; FloatMode: 240
; IeeeMode: 1
; LDSByteSize: 0 bytes/workgroup (compile time only)
; SGPRBlocks: 6
; VGPRBlocks: 3
; NumSGPRsForWavesPerEU: 56
; NumVGPRsForWavesPerEU: 25
; AccumOffset: 28
; Occupancy: 8
; WaveLimiterHint : 1
; COMPUTE_PGM_RSRC2:SCRATCH_EN: 0
; COMPUTE_PGM_RSRC2:USER_SGPR: 6
; COMPUTE_PGM_RSRC2:TRAP_HANDLER: 0
; COMPUTE_PGM_RSRC2:TGID_X_EN: 1
; COMPUTE_PGM_RSRC2:TGID_Y_EN: 0
; COMPUTE_PGM_RSRC2:TGID_Z_EN: 0
; COMPUTE_PGM_RSRC2:TIDIG_COMP_CNT: 0
; COMPUTE_PGM_RSRC3_GFX90A:ACCUM_OFFSET: 6
; COMPUTE_PGM_RSRC3_GFX90A:TG_SPLIT: 0
	.section	.text._ZN2at6native32elementwise_kernel_manual_unrollILi128ELi4EZNS0_15gpu_kernel_implIZZZNS0_12prelu_kernelERNS_14TensorIteratorEENKUlvE_clEvENKUlvE0_clEvEUlffE_EEvRNS_18TensorIteratorBaseERKT_EUlibE0_EEviT1_,"axG",@progbits,_ZN2at6native32elementwise_kernel_manual_unrollILi128ELi4EZNS0_15gpu_kernel_implIZZZNS0_12prelu_kernelERNS_14TensorIteratorEENKUlvE_clEvENKUlvE0_clEvEUlffE_EEvRNS_18TensorIteratorBaseERKT_EUlibE0_EEviT1_,comdat
	.globl	_ZN2at6native32elementwise_kernel_manual_unrollILi128ELi4EZNS0_15gpu_kernel_implIZZZNS0_12prelu_kernelERNS_14TensorIteratorEENKUlvE_clEvENKUlvE0_clEvEUlffE_EEvRNS_18TensorIteratorBaseERKT_EUlibE0_EEviT1_ ; -- Begin function _ZN2at6native32elementwise_kernel_manual_unrollILi128ELi4EZNS0_15gpu_kernel_implIZZZNS0_12prelu_kernelERNS_14TensorIteratorEENKUlvE_clEvENKUlvE0_clEvEUlffE_EEvRNS_18TensorIteratorBaseERKT_EUlibE0_EEviT1_
	.p2align	8
	.type	_ZN2at6native32elementwise_kernel_manual_unrollILi128ELi4EZNS0_15gpu_kernel_implIZZZNS0_12prelu_kernelERNS_14TensorIteratorEENKUlvE_clEvENKUlvE0_clEvEUlffE_EEvRNS_18TensorIteratorBaseERKT_EUlibE0_EEviT1_,@function
_ZN2at6native32elementwise_kernel_manual_unrollILi128ELi4EZNS0_15gpu_kernel_implIZZZNS0_12prelu_kernelERNS_14TensorIteratorEENKUlvE_clEvENKUlvE0_clEvEUlffE_EEvRNS_18TensorIteratorBaseERKT_EUlibE0_EEviT1_: ; @_ZN2at6native32elementwise_kernel_manual_unrollILi128ELi4EZNS0_15gpu_kernel_implIZZZNS0_12prelu_kernelERNS_14TensorIteratorEENKUlvE_clEvENKUlvE0_clEvEUlffE_EEvRNS_18TensorIteratorBaseERKT_EUlibE0_EEviT1_
; %bb.0:
	s_load_dword s66, s[4:5], 0x0
	s_load_dword s33, s[4:5], 0x8
	s_or_b32 s2, s4, 8
	v_lshl_or_b32 v8, s6, 9, v0
	v_or_b32_e32 v24, 0x180, v8
	s_mov_b32 s3, s5
	s_waitcnt lgkmcnt(0)
	s_add_i32 s68, s33, -1
	s_cmp_gt_u32 s68, 1
	v_cmp_le_i32_e32 vcc, s66, v24
	s_cselect_b64 s[20:21], -1, 0
	s_mov_b64 s[6:7], 0
	s_mov_b64 s[12:13], 0
	s_and_saveexec_b64 s[0:1], vcc
	s_xor_b64 s[22:23], exec, s[0:1]
	s_cbranch_execz .LBB40_1585
; %bb.1:
	v_mov_b32_e32 v0, 0
	global_load_ushort v6, v0, s[2:3] offset:417
	global_load_sbyte v7, v0, s[2:3] offset:419
	s_load_dwordx4 s[16:19], s[2:3], 0x4
	s_load_dwordx2 s[28:29], s[2:3], 0x14
	s_load_dwordx4 s[12:15], s[2:3], 0xc4
	s_load_dwordx2 s[26:27], s[2:3], 0xd4
	s_load_dwordx2 s[24:25], s[2:3], 0x198
	s_load_dwordx4 s[8:11], s[2:3], 0x188
	s_cmp_lg_u32 s33, 0
	s_cselect_b64 s[34:35], -1, 0
	s_min_u32 s69, s68, 15
	s_cmp_gt_u32 s33, 1
	v_cmp_gt_i32_e32 vcc, s66, v8
	s_mov_b64 s[0:1], -1
	s_mov_b64 s[46:47], 0
	s_mov_b64 s[40:41], 0
	;; [unrolled: 1-line block ×3, first 2 shown]
	s_cselect_b64 s[30:31], -1, 0
	s_mov_b64 s[36:37], 0
	s_waitcnt vmcnt(1)
	v_lshrrev_b32_e32 v9, 8, v6
	s_and_saveexec_b64 s[42:43], vcc
	s_cbranch_execz .LBB40_393
; %bb.2:
	s_andn2_b64 vcc, exec, s[20:21]
	s_cbranch_vccnz .LBB40_9
; %bb.3:
	s_andn2_b64 vcc, exec, s[34:35]
	v_mov_b32_e32 v2, 0
	v_mov_b32_e32 v4, 0
	;; [unrolled: 1-line block ×3, first 2 shown]
	s_cbranch_vccnz .LBB40_8
; %bb.4:
	s_add_i32 s0, s69, 1
	s_and_b32 s36, s0, 30
	s_add_u32 s0, s2, 0xffffffec
	s_addc_u32 s1, s3, -1
	v_mov_b32_e32 v0, 0
	v_mov_b32_e32 v1, v8
	;; [unrolled: 1-line block ×4, first 2 shown]
.LBB40_5:                               ; =>This Inner Loop Header: Depth=1
	s_mov_b64 s[38:39], s[0:1]
	s_load_dwordx4 s[48:51], s[38:39], 0x18
	s_load_dwordx2 s[40:41], s[38:39], 0x28
	s_load_dwordx2 s[44:45], s[38:39], 0xe8
	s_load_dwordx4 s[52:55], s[38:39], 0xd8
	s_add_u32 s0, s38, 24
	s_waitcnt lgkmcnt(0)
	v_mul_hi_u32 v3, s49, v1
	v_add_u32_e32 v3, v1, v3
	v_lshrrev_b32_e32 v3, s50, v3
	v_mul_lo_u32 v5, v3, s48
	v_mul_hi_u32 v10, s40, v3
	v_sub_u32_e32 v1, v1, v5
	v_add_u32_e32 v5, v3, v10
	v_mul_lo_u32 v10, v1, s52
	v_mul_lo_u32 v11, v1, s53
	;; [unrolled: 1-line block ×3, first 2 shown]
	v_lshrrev_b32_e32 v1, s41, v5
	v_mul_lo_u32 v5, v1, s51
	v_sub_u32_e32 v3, v3, v5
	s_addc_u32 s1, s39, 0
	s_add_i32 s36, s36, -2
	v_mul_lo_u32 v5, v3, s55
	v_mul_lo_u32 v13, v3, s44
	;; [unrolled: 1-line block ×3, first 2 shown]
	s_cmp_lg_u32 s36, 0
	v_add3_u32 v0, v10, v0, v5
	v_add3_u32 v2, v12, v2, v3
	;; [unrolled: 1-line block ×3, first 2 shown]
	s_cbranch_scc1 .LBB40_5
; %bb.6:
	s_bitcmp1_b32 s69, 0
	s_cselect_b64 s[36:37], -1, 0
	s_and_b64 vcc, exec, s[36:37]
	s_cbranch_vccnz .LBB40_8
; %bb.7:
	s_load_dwordx2 s[36:37], s[0:1], 0x18
	s_load_dword s38, s[0:1], 0x20
	s_load_dword s39, s[0:1], 0xe0
	s_nop 0
	s_load_dwordx2 s[0:1], s[0:1], 0xd8
	s_waitcnt lgkmcnt(0)
	v_mul_hi_u32 v3, s37, v1
	v_add_u32_e32 v3, v1, v3
	v_lshrrev_b32_e32 v3, s38, v3
	v_mul_lo_u32 v3, v3, s36
	v_sub_u32_e32 v3, v1, v3
	v_mad_u64_u32 v[0:1], s[36:37], v3, s0, v[0:1]
	v_mad_u64_u32 v[4:5], s[0:1], v3, s1, v[4:5]
	;; [unrolled: 1-line block ×3, first 2 shown]
.LBB40_8:
	s_cbranch_execz .LBB40_10
	s_branch .LBB40_12
.LBB40_9:
                                        ; implicit-def: $vgpr2
                                        ; implicit-def: $vgpr4
                                        ; implicit-def: $vgpr0
	s_andn2_b64 vcc, exec, s[0:1]
	s_cbranch_vccnz .LBB40_12
.LBB40_10:
	s_waitcnt lgkmcnt(0)
	v_mul_hi_u32 v0, s17, v8
	v_add_u32_e32 v0, v8, v0
	v_lshrrev_b32_e32 v1, s18, v0
	v_mul_lo_u32 v0, v1, s16
	v_sub_u32_e32 v3, v8, v0
	v_mul_lo_u32 v0, v3, s12
	v_mul_lo_u32 v2, v3, s14
	s_andn2_b64 vcc, exec, s[30:31]
	v_mul_lo_u32 v4, v3, s13
	s_cbranch_vccnz .LBB40_12
; %bb.11:
	v_mul_hi_u32 v3, s28, v1
	v_add_u32_e32 v3, v1, v3
	v_lshrrev_b32_e32 v3, s29, v3
	v_mul_lo_u32 v3, v3, s19
	v_sub_u32_e32 v3, v1, v3
	v_mad_u64_u32 v[0:1], s[0:1], v3, s15, v[0:1]
	v_mad_u64_u32 v[4:5], s[0:1], v3, s26, v[4:5]
	;; [unrolled: 1-line block ×3, first 2 shown]
.LBB40_12:
	s_waitcnt lgkmcnt(0)
	v_mov_b32_e32 v1, s11
	v_add_co_u32_e32 v4, vcc, s10, v4
	v_addc_co_u32_e32 v5, vcc, 0, v1, vcc
	v_mov_b32_e32 v1, 11
	v_cmp_lt_i16_sdwa s[0:1], v9, v1 src0_sel:BYTE_0 src1_sel:DWORD
	s_and_b64 vcc, exec, s[0:1]
	s_cbranch_vccnz .LBB40_19
; %bb.13:
	v_mov_b32_e32 v1, 25
	v_cmp_gt_i16_sdwa s[0:1], v9, v1 src0_sel:BYTE_0 src1_sel:DWORD
	s_and_b64 vcc, exec, s[0:1]
	s_cbranch_vccz .LBB40_28
; %bb.14:
	v_mov_b32_e32 v1, 28
	v_cmp_gt_i16_sdwa s[0:1], v9, v1 src0_sel:BYTE_0 src1_sel:DWORD
	s_and_b64 vcc, exec, s[0:1]
	s_cbranch_vccz .LBB40_38
	;; [unrolled: 5-line block ×4, first 2 shown]
; %bb.17:
	v_mov_b32_e32 v1, 46
	v_cmp_eq_u16_sdwa s[0:1], v9, v1 src0_sel:BYTE_0 src1_sel:DWORD
	s_mov_b64 s[36:37], 0
	s_and_b64 vcc, exec, s[0:1]
	s_cbranch_vccz .LBB40_47
; %bb.18:
	global_load_dword v1, v[4:5], off
	s_mov_b64 s[0:1], -1
	s_mov_b64 s[40:41], 0
	s_waitcnt vmcnt(0)
	v_lshlrev_b32_e32 v1, 16, v1
	s_branch .LBB40_49
.LBB40_19:
	s_mov_b64 s[40:41], 0
                                        ; implicit-def: $vgpr1
	s_mov_b64 s[0:1], 0
	s_cbranch_execnz .LBB40_115
.LBB40_20:
	s_andn2_b64 vcc, exec, s[0:1]
	s_cbranch_vccnz .LBB40_162
.LBB40_21:
	v_mov_b32_e32 v3, s25
	v_add_co_u32_e32 v2, vcc, s24, v2
	v_mov_b32_e32 v4, 11
	v_addc_co_u32_e32 v3, vcc, 0, v3, vcc
	s_waitcnt vmcnt(0)
	v_cmp_lt_i16_sdwa s[0:1], v7, v4 src0_sel:BYTE_0 src1_sel:DWORD
	s_and_b64 vcc, exec, s[0:1]
	s_cbranch_vccnz .LBB40_29
; %bb.22:
	v_mov_b32_e32 v4, 25
	v_cmp_gt_i16_sdwa s[0:1], v7, v4 src0_sel:BYTE_0 src1_sel:DWORD
	s_and_b64 vcc, exec, s[0:1]
	s_cbranch_vccz .LBB40_39
; %bb.23:
	v_mov_b32_e32 v4, 28
	v_cmp_gt_i16_sdwa s[0:1], v7, v4 src0_sel:BYTE_0 src1_sel:DWORD
	s_and_b64 vcc, exec, s[0:1]
	s_cbranch_vccz .LBB40_42
	;; [unrolled: 5-line block ×4, first 2 shown]
; %bb.26:
	v_mov_b32_e32 v4, 46
	v_cmp_eq_u16_sdwa s[0:1], v7, v4 src0_sel:BYTE_0 src1_sel:DWORD
	s_mov_b64 s[36:37], 0
	s_and_b64 vcc, exec, s[0:1]
	s_cbranch_vccz .LBB40_163
; %bb.27:
	global_load_dword v4, v[2:3], off
	s_mov_b64 s[0:1], -1
	s_mov_b64 s[38:39], 0
	s_waitcnt vmcnt(0)
	v_lshlrev_b32_e32 v4, 16, v4
	s_branch .LBB40_165
.LBB40_28:
	s_mov_b64 s[40:41], 0
	s_mov_b64 s[0:1], 0
                                        ; implicit-def: $vgpr1
	s_cbranch_execnz .LBB40_80
	s_branch .LBB40_114
.LBB40_29:
	s_mov_b64 s[38:39], 0
                                        ; implicit-def: $vgpr4
	s_mov_b64 s[0:1], 0
	s_cbranch_execnz .LBB40_342
.LBB40_30:
	s_andn2_b64 vcc, exec, s[0:1]
	s_cbranch_vccnz .LBB40_390
.LBB40_31:
	s_waitcnt vmcnt(0)
	v_mul_f32_e32 v2, v1, v4
	v_cmp_lt_f32_e32 vcc, 0, v1
	v_cndmask_b32_e32 v2, v2, v1, vcc
	v_mov_b32_e32 v1, s9
	v_add_co_u32_e32 v0, vcc, s8, v0
	v_mov_b32_e32 v3, 11
	v_addc_co_u32_e32 v1, vcc, 0, v1, vcc
	v_cmp_lt_i16_sdwa s[0:1], v6, v3 src0_sel:BYTE_0 src1_sel:DWORD
	s_and_b64 vcc, exec, s[0:1]
	s_cbranch_vccnz .LBB40_40
; %bb.32:
	v_mov_b32_e32 v3, 25
	v_cmp_gt_i16_sdwa s[0:1], v6, v3 src0_sel:BYTE_0 src1_sel:DWORD
	s_and_b64 vcc, exec, s[0:1]
	s_cbranch_vccz .LBB40_43
; %bb.33:
	v_mov_b32_e32 v3, 28
	v_cmp_gt_i16_sdwa s[0:1], v6, v3 src0_sel:BYTE_0 src1_sel:DWORD
	s_and_b64 vcc, exec, s[0:1]
	s_cbranch_vccz .LBB40_46
	;; [unrolled: 5-line block ×4, first 2 shown]
; %bb.36:
	v_mov_b32_e32 v3, 46
	v_cmp_eq_u16_sdwa s[36:37], v6, v3 src0_sel:BYTE_0 src1_sel:DWORD
	s_mov_b64 s[44:45], 0
	s_mov_b64 s[0:1], -1
	s_and_b64 vcc, exec, s[36:37]
	s_mov_b64 s[36:37], 0
	s_cbranch_vccz .LBB40_169
; %bb.37:
	v_bfe_u32 v3, v2, 16, 1
	s_movk_i32 s0, 0x7fff
	v_add3_u32 v3, v2, v3, s0
	v_lshrrev_b32_e32 v3, 16, v3
	v_mov_b32_e32 v4, 0x7fc0
	v_cmp_o_f32_e32 vcc, v2, v2
	v_cndmask_b32_e32 v3, v4, v3, vcc
	global_store_dword v[0:1], v3, off
	s_mov_b64 s[36:37], -1
	s_mov_b64 s[0:1], 0
	s_branch .LBB40_169
.LBB40_38:
	s_mov_b64 s[36:37], -1
	s_mov_b64 s[40:41], 0
	s_mov_b64 s[0:1], 0
                                        ; implicit-def: $vgpr1
	s_branch .LBB40_61
.LBB40_39:
	s_mov_b64 s[36:37], -1
	s_mov_b64 s[38:39], 0
	s_mov_b64 s[0:1], 0
                                        ; implicit-def: $vgpr4
	s_branch .LBB40_306
.LBB40_40:
	s_mov_b64 s[44:45], -1
	s_mov_b64 s[0:1], 0
	s_mov_b64 s[36:37], 0
	s_branch .LBB40_238
.LBB40_41:
	s_mov_b64 s[36:37], -1
	s_mov_b64 s[40:41], 0
	s_mov_b64 s[0:1], 0
                                        ; implicit-def: $vgpr1
	s_branch .LBB40_56
.LBB40_42:
	s_mov_b64 s[36:37], -1
	s_mov_b64 s[38:39], 0
	s_mov_b64 s[0:1], 0
                                        ; implicit-def: $vgpr4
	s_branch .LBB40_287
.LBB40_43:
	s_mov_b64 s[44:45], -1
	s_mov_b64 s[0:1], 0
	s_mov_b64 s[36:37], 0
	s_branch .LBB40_196
.LBB40_44:
	s_mov_b64 s[36:37], -1
	s_mov_b64 s[40:41], 0
	s_branch .LBB40_48
.LBB40_45:
	s_mov_b64 s[36:37], -1
	s_mov_b64 s[38:39], 0
	s_mov_b64 s[0:1], 0
                                        ; implicit-def: $vgpr4
	s_branch .LBB40_282
.LBB40_46:
	s_mov_b64 s[44:45], -1
	s_mov_b64 s[0:1], 0
	s_mov_b64 s[36:37], 0
	s_branch .LBB40_179
.LBB40_47:
	s_mov_b64 s[40:41], -1
.LBB40_48:
	s_mov_b64 s[0:1], 0
                                        ; implicit-def: $vgpr1
.LBB40_49:
	s_and_b64 vcc, exec, s[36:37]
	s_cbranch_vccz .LBB40_55
; %bb.50:
	v_mov_b32_e32 v1, 44
	v_cmp_eq_u16_sdwa s[36:37], v9, v1 src0_sel:BYTE_0 src1_sel:DWORD
	s_and_b64 vcc, exec, s[36:37]
	s_cbranch_vccz .LBB40_54
; %bb.51:
	global_load_ubyte v1, v[4:5], off
	s_movk_i32 s36, 0xff
	v_mov_b32_e32 v3, 0x7f800001
	v_mov_b32_e32 v10, 0x400000
	s_mov_b64 s[0:1], -1
	s_mov_b64 s[40:41], 0
	s_waitcnt vmcnt(0)
	v_lshlrev_b32_e32 v11, 23, v1
	v_cmp_ne_u32_e32 vcc, s36, v1
	v_cndmask_b32_e32 v3, v3, v11, vcc
	v_cmp_ne_u32_e32 vcc, 0, v1
	v_cndmask_b32_e32 v1, v10, v3, vcc
	s_branch .LBB40_55
.LBB40_52:
	s_mov_b64 s[36:37], -1
	s_mov_b64 s[38:39], 0
	s_branch .LBB40_164
.LBB40_53:
	s_mov_b64 s[44:45], -1
	s_mov_b64 s[0:1], 0
	s_mov_b64 s[36:37], 0
	s_branch .LBB40_175
.LBB40_54:
	s_mov_b64 s[40:41], -1
                                        ; implicit-def: $vgpr1
.LBB40_55:
	s_mov_b64 s[36:37], 0
.LBB40_56:
	s_and_b64 vcc, exec, s[36:37]
	s_cbranch_vccz .LBB40_60
; %bb.57:
	v_mov_b32_e32 v1, 29
	v_cmp_eq_u16_sdwa s[36:37], v9, v1 src0_sel:BYTE_0 src1_sel:DWORD
	s_and_b64 vcc, exec, s[36:37]
	s_cbranch_vccz .LBB40_59
; %bb.58:
	global_load_dwordx2 v[10:11], v[4:5], off
	s_mov_b64 s[0:1], -1
	s_mov_b64 s[40:41], 0
	s_mov_b64 s[36:37], 0
	s_waitcnt vmcnt(0)
	v_ffbh_u32_e32 v1, v11
	v_min_u32_e32 v1, 32, v1
	v_lshlrev_b64 v[10:11], v1, v[10:11]
	v_min_u32_e32 v3, 1, v10
	v_or_b32_e32 v3, v11, v3
	v_cvt_f32_u32_e32 v3, v3
	v_sub_u32_e32 v1, 32, v1
	v_ldexp_f32 v1, v3, v1
	s_branch .LBB40_61
.LBB40_59:
	s_mov_b64 s[40:41], -1
                                        ; implicit-def: $vgpr1
.LBB40_60:
	s_mov_b64 s[36:37], 0
.LBB40_61:
	s_and_b64 vcc, exec, s[36:37]
	s_cbranch_vccz .LBB40_79
; %bb.62:
	v_mov_b32_e32 v1, 27
	v_cmp_lt_i16_sdwa s[0:1], v9, v1 src0_sel:BYTE_0 src1_sel:DWORD
	s_and_b64 vcc, exec, s[0:1]
	s_cbranch_vccnz .LBB40_65
; %bb.63:
	v_cmp_gt_i16_sdwa s[0:1], v9, v1 src0_sel:BYTE_0 src1_sel:DWORD
	s_and_b64 vcc, exec, s[0:1]
	s_cbranch_vccz .LBB40_66
; %bb.64:
	global_load_dword v1, v[4:5], off
	s_mov_b64 s[0:1], 0
	s_waitcnt vmcnt(0)
	v_cvt_f32_u32_e32 v1, v1
	s_branch .LBB40_67
.LBB40_65:
	s_mov_b64 s[0:1], -1
                                        ; implicit-def: $vgpr1
	s_branch .LBB40_70
.LBB40_66:
	s_mov_b64 s[0:1], -1
                                        ; implicit-def: $vgpr1
.LBB40_67:
	s_andn2_b64 vcc, exec, s[0:1]
	s_cbranch_vccnz .LBB40_69
; %bb.68:
	global_load_ushort v1, v[4:5], off
	s_waitcnt vmcnt(0)
	v_cvt_f32_u32_e32 v1, v1
.LBB40_69:
	s_mov_b64 s[0:1], 0
.LBB40_70:
	s_andn2_b64 vcc, exec, s[0:1]
	s_cbranch_vccnz .LBB40_78
; %bb.71:
	global_load_ubyte v3, v[4:5], off
	s_movk_i32 s0, 0x7f
                                        ; implicit-def: $sgpr44
	s_waitcnt vmcnt(0)
	v_cmp_lt_i16_e32 vcc, s0, v3
	s_mov_b64 s[0:1], 0
	s_and_saveexec_b64 s[36:37], vcc
	s_xor_b64 s[36:37], exec, s[36:37]
	s_cbranch_execz .LBB40_91
; %bb.72:
	s_movk_i32 s0, 0x80
	v_cmp_eq_u16_e32 vcc, s0, v3
	s_mov_b64 s[0:1], -1
                                        ; implicit-def: $sgpr44
	s_and_saveexec_b64 s[38:39], vcc
; %bb.73:
	s_mov_b32 s44, 0x7f800001
	s_xor_b64 s[0:1], exec, -1
; %bb.74:
	s_or_b64 exec, exec, s[38:39]
	s_and_b64 s[0:1], s[0:1], exec
	s_or_saveexec_b64 s[36:37], s[36:37]
	v_mov_b32_e32 v1, s44
	s_xor_b64 exec, exec, s[36:37]
	s_cbranch_execnz .LBB40_92
.LBB40_75:
	s_or_b64 exec, exec, s[36:37]
	s_and_saveexec_b64 s[36:37], s[0:1]
	s_cbranch_execz .LBB40_77
.LBB40_76:
	v_lshlrev_b32_e32 v1, 24, v3
	v_and_b32_e32 v3, 0xffff, v3
	v_and_b32_e32 v10, 7, v3
	v_ffbh_u32_e32 v12, v10
	v_min_u32_e32 v12, 32, v12
	v_subrev_u32_e32 v13, 28, v12
	v_bfe_u32 v11, v3, 3, 4
	v_lshlrev_b32_e32 v3, v13, v3
	v_sub_u32_e32 v12, 29, v12
	v_and_b32_e32 v3, 7, v3
	v_cmp_eq_u32_e32 vcc, 0, v11
	v_cndmask_b32_e32 v11, v11, v12, vcc
	v_cndmask_b32_e32 v3, v10, v3, vcc
	v_mov_b32_e32 v10, 0x3b800000
	v_lshlrev_b32_e32 v3, 20, v3
	v_and_b32_e32 v1, 0x80000000, v1
	v_lshl_add_u32 v10, v11, 23, v10
	v_or3_b32 v1, v1, v10, v3
.LBB40_77:
	s_or_b64 exec, exec, s[36:37]
.LBB40_78:
	s_mov_b64 s[0:1], -1
.LBB40_79:
	s_branch .LBB40_114
.LBB40_80:
	v_mov_b32_e32 v1, 22
	v_cmp_gt_i16_sdwa s[36:37], v9, v1 src0_sel:BYTE_0 src1_sel:DWORD
	s_and_b64 vcc, exec, s[36:37]
	s_cbranch_vccz .LBB40_90
; %bb.81:
	v_mov_b32_e32 v1, 24
	v_cmp_lt_i16_sdwa s[0:1], v9, v1 src0_sel:BYTE_0 src1_sel:DWORD
	s_and_b64 vcc, exec, s[0:1]
	s_cbranch_vccnz .LBB40_93
; %bb.82:
	v_cmp_gt_i16_sdwa s[0:1], v9, v1 src0_sel:BYTE_0 src1_sel:DWORD
	s_and_b64 vcc, exec, s[0:1]
	s_cbranch_vccz .LBB40_94
; %bb.83:
	global_load_ubyte v3, v[4:5], off
	s_movk_i32 s0, 0x7f
                                        ; implicit-def: $sgpr44
	s_waitcnt vmcnt(0)
	v_cmp_lt_i16_e32 vcc, s0, v3
	s_mov_b64 s[0:1], 0
	s_and_saveexec_b64 s[36:37], vcc
	s_xor_b64 s[36:37], exec, s[36:37]
	s_cbranch_execz .LBB40_106
; %bb.84:
	s_movk_i32 s0, 0x80
	v_cmp_eq_u16_e32 vcc, s0, v3
	s_mov_b64 s[0:1], -1
                                        ; implicit-def: $sgpr44
	s_and_saveexec_b64 s[38:39], vcc
; %bb.85:
	s_mov_b32 s44, 0x7f800001
	s_xor_b64 s[0:1], exec, -1
; %bb.86:
	s_or_b64 exec, exec, s[38:39]
	s_and_b64 s[0:1], s[0:1], exec
	s_or_saveexec_b64 s[36:37], s[36:37]
	v_mov_b32_e32 v1, s44
	s_xor_b64 exec, exec, s[36:37]
	s_cbranch_execnz .LBB40_107
.LBB40_87:
	s_or_b64 exec, exec, s[36:37]
	s_and_saveexec_b64 s[36:37], s[0:1]
	s_cbranch_execz .LBB40_89
.LBB40_88:
	v_lshlrev_b32_e32 v1, 24, v3
	v_and_b32_e32 v3, 0xffff, v3
	v_and_b32_e32 v10, 3, v3
	v_ffbh_u32_e32 v12, v10
	v_min_u32_e32 v12, 32, v12
	v_subrev_u32_e32 v13, 29, v12
	v_bfe_u32 v11, v3, 2, 5
	v_lshlrev_b32_e32 v3, v13, v3
	v_sub_u32_e32 v12, 30, v12
	v_and_b32_e32 v3, 3, v3
	v_cmp_eq_u32_e32 vcc, 0, v11
	v_cndmask_b32_e32 v11, v11, v12, vcc
	v_cndmask_b32_e32 v3, v10, v3, vcc
	v_mov_b32_e32 v10, 0x37800000
	v_lshlrev_b32_e32 v3, 21, v3
	v_and_b32_e32 v1, 0x80000000, v1
	v_lshl_add_u32 v10, v11, 23, v10
	v_or3_b32 v1, v1, v10, v3
.LBB40_89:
	s_or_b64 exec, exec, s[36:37]
	s_mov_b64 s[0:1], 0
	s_branch .LBB40_95
.LBB40_90:
	s_mov_b64 s[36:37], -1
                                        ; implicit-def: $vgpr1
	s_branch .LBB40_101
.LBB40_91:
	s_or_saveexec_b64 s[36:37], s[36:37]
	v_mov_b32_e32 v1, s44
	s_xor_b64 exec, exec, s[36:37]
	s_cbranch_execz .LBB40_75
.LBB40_92:
	v_cmp_ne_u16_e32 vcc, 0, v3
	s_andn2_b64 s[0:1], s[0:1], exec
	s_and_b64 s[38:39], vcc, exec
	v_mov_b32_e32 v1, 0
	s_or_b64 s[0:1], s[0:1], s[38:39]
	s_or_b64 exec, exec, s[36:37]
	s_and_saveexec_b64 s[36:37], s[0:1]
	s_cbranch_execnz .LBB40_76
	s_branch .LBB40_77
.LBB40_93:
	s_mov_b64 s[0:1], -1
                                        ; implicit-def: $vgpr1
	s_branch .LBB40_98
.LBB40_94:
	s_mov_b64 s[0:1], -1
                                        ; implicit-def: $vgpr1
.LBB40_95:
	s_and_b64 vcc, exec, s[0:1]
	s_cbranch_vccz .LBB40_97
; %bb.96:
	global_load_ubyte v1, v[4:5], off
	s_mov_b32 s0, 0x7f800000
	s_waitcnt vmcnt(0)
	v_lshlrev_b32_e32 v1, 24, v1
	v_and_b32_e32 v3, 0x7f000000, v1
	v_ffbh_u32_e32 v10, v3
	v_min_u32_e32 v10, 32, v10
	v_sub_u32_e64 v10, v10, 4 clamp
	v_lshlrev_b32_e32 v12, v10, v3
	v_lshlrev_b32_e32 v10, 23, v10
	v_lshrrev_b32_e32 v12, 4, v12
	v_add_u32_e32 v11, 0x1000000, v3
	v_sub_u32_e32 v10, v12, v10
	v_ashrrev_i32_e32 v11, 8, v11
	v_add_u32_e32 v10, 0x3c000000, v10
	v_and_or_b32 v10, v11, s0, v10
	v_cmp_ne_u32_e32 vcc, 0, v3
	v_cndmask_b32_e32 v3, 0, v10, vcc
	s_brev_b32 s0, 1
	v_and_or_b32 v1, v1, s0, v3
.LBB40_97:
	s_mov_b64 s[0:1], 0
.LBB40_98:
	s_andn2_b64 vcc, exec, s[0:1]
	s_cbranch_vccnz .LBB40_100
; %bb.99:
	global_load_ubyte v1, v[4:5], off
	s_movk_i32 s0, 0x7f00
	s_brev_b32 s1, 16
	s_waitcnt vmcnt(0)
	v_lshlrev_b16_e32 v3, 8, v1
	v_lshlrev_b32_e32 v1, 25, v1
	v_lshrrev_b32_e32 v10, 4, v1
	v_and_or_b32 v11, v3, s0, 0.5
	v_or_b32_e32 v10, 0x70000000, v10
	v_add_f32_e32 v11, -0.5, v11
	v_mul_f32_e32 v10, 0x7800000, v10
	v_cmp_gt_u32_e32 vcc, s1, v1
	v_bfe_i32 v3, v3, 0, 16
	v_cndmask_b32_e32 v1, v10, v11, vcc
	s_brev_b32 s0, 1
	v_and_or_b32 v1, v3, s0, v1
.LBB40_100:
	s_mov_b64 s[36:37], 0
	s_mov_b64 s[0:1], -1
.LBB40_101:
	s_andn2_b64 vcc, exec, s[36:37]
	s_cbranch_vccnz .LBB40_114
; %bb.102:
	v_mov_b32_e32 v1, 14
	v_cmp_gt_i16_sdwa s[36:37], v9, v1 src0_sel:BYTE_0 src1_sel:DWORD
	s_and_b64 vcc, exec, s[36:37]
	s_cbranch_vccz .LBB40_105
; %bb.103:
	v_mov_b32_e32 v1, 15
	v_cmp_eq_u16_sdwa s[36:37], v9, v1 src0_sel:BYTE_0 src1_sel:DWORD
	s_and_b64 vcc, exec, s[36:37]
	s_cbranch_vccz .LBB40_108
; %bb.104:
	global_load_ushort v1, v[4:5], off
	s_mov_b64 s[0:1], -1
	s_mov_b64 s[40:41], 0
	s_waitcnt vmcnt(0)
	v_lshlrev_b32_e32 v1, 16, v1
	s_branch .LBB40_109
.LBB40_105:
	s_mov_b64 s[36:37], -1
                                        ; implicit-def: $vgpr1
	s_branch .LBB40_110
.LBB40_106:
	s_or_saveexec_b64 s[36:37], s[36:37]
	v_mov_b32_e32 v1, s44
	s_xor_b64 exec, exec, s[36:37]
	s_cbranch_execz .LBB40_87
.LBB40_107:
	v_cmp_ne_u16_e32 vcc, 0, v3
	s_andn2_b64 s[0:1], s[0:1], exec
	s_and_b64 s[38:39], vcc, exec
	v_mov_b32_e32 v1, 0
	s_or_b64 s[0:1], s[0:1], s[38:39]
	s_or_b64 exec, exec, s[36:37]
	s_and_saveexec_b64 s[36:37], s[0:1]
	s_cbranch_execnz .LBB40_88
	s_branch .LBB40_89
.LBB40_108:
	s_mov_b64 s[40:41], -1
                                        ; implicit-def: $vgpr1
.LBB40_109:
	s_mov_b64 s[36:37], 0
.LBB40_110:
	s_and_b64 vcc, exec, s[36:37]
	s_cbranch_vccz .LBB40_114
; %bb.111:
	v_mov_b32_e32 v1, 11
	v_cmp_eq_u16_sdwa s[36:37], v9, v1 src0_sel:BYTE_0 src1_sel:DWORD
	s_and_b64 vcc, exec, s[36:37]
	s_cbranch_vccz .LBB40_113
; %bb.112:
	global_load_ubyte v1, v[4:5], off
	s_mov_b64 s[0:1], -1
	s_mov_b64 s[40:41], 0
	s_waitcnt vmcnt(0)
	v_cmp_ne_u16_e32 vcc, 0, v1
	v_cndmask_b32_e64 v1, 0, 1.0, vcc
	s_branch .LBB40_114
.LBB40_113:
	s_mov_b64 s[40:41], -1
                                        ; implicit-def: $vgpr1
.LBB40_114:
	s_branch .LBB40_20
.LBB40_115:
	v_mov_b32_e32 v1, 5
	v_cmp_lt_i16_sdwa s[0:1], v9, v1 src0_sel:BYTE_0 src1_sel:DWORD
	s_and_b64 vcc, exec, s[0:1]
	s_cbranch_vccnz .LBB40_120
; %bb.116:
	v_mov_b32_e32 v1, 8
	v_cmp_lt_i16_sdwa s[0:1], v9, v1 src0_sel:BYTE_0 src1_sel:DWORD
	s_and_b64 vcc, exec, s[0:1]
	s_cbranch_vccnz .LBB40_121
; %bb.117:
	;; [unrolled: 5-line block ×3, first 2 shown]
	v_cmp_gt_i16_sdwa s[0:1], v9, v1 src0_sel:BYTE_0 src1_sel:DWORD
	s_and_b64 vcc, exec, s[0:1]
	s_cbranch_vccz .LBB40_123
; %bb.119:
	global_load_dwordx2 v[10:11], v[4:5], off
	s_mov_b64 s[0:1], 0
	s_waitcnt vmcnt(0)
	v_cvt_f32_f64_e32 v1, v[10:11]
	s_branch .LBB40_124
.LBB40_120:
                                        ; implicit-def: $vgpr1
	s_branch .LBB40_142
.LBB40_121:
	s_mov_b64 s[0:1], -1
                                        ; implicit-def: $vgpr1
	s_branch .LBB40_130
.LBB40_122:
	s_mov_b64 s[0:1], -1
                                        ; implicit-def: $vgpr1
	s_branch .LBB40_127
.LBB40_123:
	s_mov_b64 s[0:1], -1
                                        ; implicit-def: $vgpr1
.LBB40_124:
	s_andn2_b64 vcc, exec, s[0:1]
	s_cbranch_vccnz .LBB40_126
; %bb.125:
	global_load_dword v1, v[4:5], off
.LBB40_126:
	s_mov_b64 s[0:1], 0
.LBB40_127:
	s_andn2_b64 vcc, exec, s[0:1]
	s_cbranch_vccnz .LBB40_129
; %bb.128:
	global_load_dword v1, v[4:5], off
	s_waitcnt vmcnt(0)
	v_cvt_f32_f16_e32 v1, v1
.LBB40_129:
	s_mov_b64 s[0:1], 0
.LBB40_130:
	s_andn2_b64 vcc, exec, s[0:1]
	s_cbranch_vccnz .LBB40_141
; %bb.131:
	s_waitcnt vmcnt(0)
	v_mov_b32_e32 v1, 6
	v_cmp_lt_i16_sdwa s[0:1], v9, v1 src0_sel:BYTE_0 src1_sel:DWORD
	s_and_b64 vcc, exec, s[0:1]
	s_cbranch_vccnz .LBB40_134
; %bb.132:
	v_cmp_gt_i16_sdwa s[0:1], v9, v1 src0_sel:BYTE_0 src1_sel:DWORD
	s_and_b64 vcc, exec, s[0:1]
	s_cbranch_vccz .LBB40_135
; %bb.133:
	global_load_dwordx2 v[10:11], v[4:5], off
	s_mov_b64 s[0:1], 0
	s_waitcnt vmcnt(0)
	v_cvt_f32_f64_e32 v1, v[10:11]
	s_branch .LBB40_136
.LBB40_134:
	s_mov_b64 s[0:1], -1
                                        ; implicit-def: $vgpr1
	s_branch .LBB40_139
.LBB40_135:
	s_mov_b64 s[0:1], -1
                                        ; implicit-def: $vgpr1
.LBB40_136:
	s_andn2_b64 vcc, exec, s[0:1]
	s_cbranch_vccnz .LBB40_138
; %bb.137:
	global_load_dword v1, v[4:5], off
.LBB40_138:
	s_mov_b64 s[0:1], 0
.LBB40_139:
	s_andn2_b64 vcc, exec, s[0:1]
	s_cbranch_vccnz .LBB40_141
; %bb.140:
	global_load_ushort v1, v[4:5], off
	s_waitcnt vmcnt(0)
	v_cvt_f32_f16_e32 v1, v1
.LBB40_141:
	s_cbranch_execnz .LBB40_161
.LBB40_142:
	s_waitcnt vmcnt(0)
	v_mov_b32_e32 v1, 2
	v_cmp_lt_i16_sdwa s[0:1], v9, v1 src0_sel:BYTE_0 src1_sel:DWORD
	s_and_b64 vcc, exec, s[0:1]
	s_cbranch_vccnz .LBB40_146
; %bb.143:
	v_mov_b32_e32 v1, 3
	v_cmp_lt_i16_sdwa s[0:1], v9, v1 src0_sel:BYTE_0 src1_sel:DWORD
	s_and_b64 vcc, exec, s[0:1]
	s_cbranch_vccnz .LBB40_147
; %bb.144:
	v_cmp_gt_i16_sdwa s[0:1], v9, v1 src0_sel:BYTE_0 src1_sel:DWORD
	s_and_b64 vcc, exec, s[0:1]
	s_cbranch_vccz .LBB40_148
; %bb.145:
	global_load_dwordx2 v[10:11], v[4:5], off
	s_mov_b64 s[0:1], 0
	s_waitcnt vmcnt(0)
	v_xor_b32_e32 v3, v10, v11
	v_ffbh_i32_e32 v1, v11
	v_ashrrev_i32_e32 v3, 31, v3
	v_add_u32_e32 v1, -1, v1
	v_add_u32_e32 v3, 32, v3
	v_min_u32_e32 v1, v1, v3
	v_lshlrev_b64 v[10:11], v1, v[10:11]
	v_min_u32_e32 v3, 1, v10
	v_or_b32_e32 v3, v11, v3
	v_cvt_f32_i32_e32 v3, v3
	v_sub_u32_e32 v1, 32, v1
	v_ldexp_f32 v1, v3, v1
	s_branch .LBB40_149
.LBB40_146:
	s_mov_b64 s[0:1], -1
                                        ; implicit-def: $vgpr1
	s_branch .LBB40_155
.LBB40_147:
	s_mov_b64 s[0:1], -1
                                        ; implicit-def: $vgpr1
	s_branch .LBB40_152
.LBB40_148:
	s_mov_b64 s[0:1], -1
                                        ; implicit-def: $vgpr1
.LBB40_149:
	s_andn2_b64 vcc, exec, s[0:1]
	s_cbranch_vccnz .LBB40_151
; %bb.150:
	global_load_dword v1, v[4:5], off
	s_waitcnt vmcnt(0)
	v_cvt_f32_i32_e32 v1, v1
.LBB40_151:
	s_mov_b64 s[0:1], 0
.LBB40_152:
	s_andn2_b64 vcc, exec, s[0:1]
	s_cbranch_vccnz .LBB40_154
; %bb.153:
	global_load_sshort v1, v[4:5], off
	s_waitcnt vmcnt(0)
	v_cvt_f32_i32_e32 v1, v1
.LBB40_154:
	s_mov_b64 s[0:1], 0
.LBB40_155:
	s_andn2_b64 vcc, exec, s[0:1]
	s_cbranch_vccnz .LBB40_161
; %bb.156:
	v_mov_b32_e32 v1, 0
	v_cmp_gt_i16_sdwa s[0:1], v9, v1 src0_sel:BYTE_0 src1_sel:DWORD
	s_and_b64 vcc, exec, s[0:1]
	s_cbranch_vccz .LBB40_158
; %bb.157:
	global_load_sbyte v1, v[4:5], off
	s_mov_b64 s[0:1], 0
	s_waitcnt vmcnt(0)
	v_cvt_f32_i32_e32 v1, v1
	s_branch .LBB40_159
.LBB40_158:
	s_mov_b64 s[0:1], -1
                                        ; implicit-def: $vgpr1
.LBB40_159:
	s_andn2_b64 vcc, exec, s[0:1]
	s_cbranch_vccnz .LBB40_161
; %bb.160:
	global_load_ubyte v1, v[4:5], off
	s_waitcnt vmcnt(0)
	v_cvt_f32_ubyte0_e32 v1, v1
.LBB40_161:
	s_branch .LBB40_21
.LBB40_162:
	s_mov_b64 s[0:1], 0
	s_mov_b64 s[38:39], 0
	s_branch .LBB40_391
.LBB40_163:
	s_mov_b64 s[38:39], -1
.LBB40_164:
	s_mov_b64 s[0:1], 0
                                        ; implicit-def: $vgpr4
.LBB40_165:
	s_and_b64 vcc, exec, s[36:37]
	s_cbranch_vccz .LBB40_281
; %bb.166:
	v_mov_b32_e32 v4, 44
	v_cmp_eq_u16_sdwa s[36:37], v7, v4 src0_sel:BYTE_0 src1_sel:DWORD
	s_and_b64 vcc, exec, s[36:37]
	s_cbranch_vccz .LBB40_280
; %bb.167:
	global_load_ubyte v4, v[2:3], off
	s_movk_i32 s36, 0xff
	v_mov_b32_e32 v5, 0x7f800001
	v_mov_b32_e32 v10, 0x400000
	s_mov_b64 s[0:1], -1
	s_mov_b64 s[38:39], 0
	s_waitcnt vmcnt(0)
	v_lshlrev_b32_e32 v11, 23, v4
	v_cmp_ne_u32_e32 vcc, s36, v4
	v_cndmask_b32_e32 v5, v5, v11, vcc
	v_cmp_ne_u32_e32 vcc, 0, v4
	v_cndmask_b32_e32 v4, v10, v5, vcc
	s_branch .LBB40_281
.LBB40_168:
	s_mov_b64 s[44:45], -1
	s_mov_b64 s[0:1], 0
	s_mov_b64 s[36:37], 0
.LBB40_169:
	s_and_b64 vcc, exec, s[44:45]
	s_cbranch_vccz .LBB40_174
; %bb.170:
	v_mov_b32_e32 v3, 44
	v_cmp_eq_u16_sdwa s[44:45], v6, v3 src0_sel:BYTE_0 src1_sel:DWORD
	s_mov_b64 s[0:1], -1
	s_and_b64 vcc, exec, s[44:45]
	s_cbranch_vccz .LBB40_174
; %bb.171:
	v_bfe_u32 v3, v2, 23, 8
	s_movk_i32 s0, 0xff
	v_cmp_ne_u32_e32 vcc, s0, v3
	v_mov_b32_e32 v4, 0xff
	s_and_saveexec_b64 s[36:37], vcc
; %bb.172:
	s_mov_b32 s0, 0x3fffff
	v_and_b32_e32 v5, 0x400000, v2
	v_and_or_b32 v3, v2, s0, v3
	v_cmp_ne_u32_e32 vcc, 0, v5
	v_cmp_ne_u32_e64 s[0:1], 0, v3
	s_and_b64 s[0:1], vcc, s[0:1]
	v_lshrrev_b32_e32 v4, 23, v2
	v_cndmask_b32_e64 v3, 0, 1, s[0:1]
	v_add_u32_e32 v4, v4, v3
; %bb.173:
	s_or_b64 exec, exec, s[36:37]
	s_mov_b64 s[36:37], -1
	s_mov_b64 s[0:1], 0
	global_store_byte v[0:1], v4, off
.LBB40_174:
	s_mov_b64 s[44:45], 0
.LBB40_175:
	s_and_b64 vcc, exec, s[44:45]
	s_cbranch_vccz .LBB40_178
; %bb.176:
	v_mov_b32_e32 v3, 29
	v_cmp_eq_u16_sdwa s[44:45], v6, v3 src0_sel:BYTE_0 src1_sel:DWORD
	s_mov_b64 s[0:1], -1
	s_and_b64 vcc, exec, s[44:45]
	s_cbranch_vccz .LBB40_178
; %bb.177:
	v_trunc_f32_e32 v3, v2
	v_mul_f32_e32 v4, 0x2f800000, v3
	v_floor_f32_e32 v4, v4
	v_fmac_f32_e32 v3, 0xcf800000, v4
	v_cvt_u32_f32_e32 v5, v4
	v_cvt_u32_f32_e32 v4, v3
	s_mov_b64 s[36:37], -1
	s_mov_b64 s[0:1], 0
	s_mov_b64 s[44:45], 0
	global_store_dwordx2 v[0:1], v[4:5], off
	s_branch .LBB40_179
.LBB40_178:
	s_mov_b64 s[44:45], 0
.LBB40_179:
	s_and_b64 vcc, exec, s[44:45]
	s_cbranch_vccz .LBB40_195
; %bb.180:
	v_mov_b32_e32 v3, 27
	v_cmp_lt_i16_sdwa s[44:45], v6, v3 src0_sel:BYTE_0 src1_sel:DWORD
	s_mov_b64 s[36:37], -1
	s_and_b64 vcc, exec, s[44:45]
	s_cbranch_vccnz .LBB40_186
; %bb.181:
	v_cmp_gt_i16_sdwa s[44:45], v6, v3 src0_sel:BYTE_0 src1_sel:DWORD
	v_cvt_u32_f32_e32 v3, v2
	s_and_b64 vcc, exec, s[44:45]
	s_cbranch_vccz .LBB40_183
; %bb.182:
	s_mov_b64 s[36:37], 0
	global_store_dword v[0:1], v3, off
.LBB40_183:
	s_andn2_b64 vcc, exec, s[36:37]
	s_cbranch_vccnz .LBB40_185
; %bb.184:
	global_store_short v[0:1], v3, off
.LBB40_185:
	s_mov_b64 s[36:37], 0
.LBB40_186:
	s_andn2_b64 vcc, exec, s[36:37]
	s_cbranch_vccnz .LBB40_194
; %bb.187:
	v_and_b32_e32 v3, 0x7fffffff, v2
	s_mov_b32 s36, 0x43800000
	v_cmp_gt_u32_e32 vcc, s36, v3
	v_mov_b32_e32 v4, 0x80
	s_and_saveexec_b64 s[36:37], vcc
	s_cbranch_execz .LBB40_193
; %bb.188:
	s_mov_b32 s44, 0x3bffffff
	v_cmp_lt_u32_e32 vcc, s44, v3
	s_mov_b64 s[44:45], 0
                                        ; implicit-def: $vgpr3
	s_and_saveexec_b64 s[48:49], vcc
	s_xor_b64 s[48:49], exec, s[48:49]
	s_cbranch_execz .LBB40_432
; %bb.189:
	v_bfe_u32 v3, v2, 20, 1
	s_mov_b32 s50, 0x487ffff
	v_add3_u32 v3, v2, v3, s50
	s_mov_b64 s[44:45], exec
	v_lshrrev_b32_e32 v3, 20, v3
	s_or_saveexec_b64 s[48:49], s[48:49]
                                        ; implicit-def: $sgpr50
	s_xor_b64 exec, exec, s[48:49]
	s_cbranch_execnz .LBB40_433
.LBB40_190:
	s_or_b64 exec, exec, s[48:49]
	v_mov_b32_e32 v4, s50
	s_and_saveexec_b64 s[48:49], s[44:45]
.LBB40_191:
	v_lshrrev_b32_e32 v4, 24, v2
	s_movk_i32 s44, 0x80
	v_and_or_b32 v4, v4, s44, v3
.LBB40_192:
	s_or_b64 exec, exec, s[48:49]
.LBB40_193:
	s_or_b64 exec, exec, s[36:37]
	global_store_byte v[0:1], v4, off
.LBB40_194:
	s_mov_b64 s[36:37], -1
.LBB40_195:
	s_mov_b64 s[44:45], 0
.LBB40_196:
	s_and_b64 vcc, exec, s[44:45]
	s_cbranch_vccz .LBB40_237
; %bb.197:
	v_mov_b32_e32 v3, 22
	v_cmp_gt_i16_sdwa s[48:49], v6, v3 src0_sel:BYTE_0 src1_sel:DWORD
	s_mov_b64 s[44:45], -1
	s_and_b64 vcc, exec, s[48:49]
	s_cbranch_vccz .LBB40_229
; %bb.198:
	v_mov_b32_e32 v3, 24
	v_cmp_lt_i16_sdwa s[44:45], v6, v3 src0_sel:BYTE_0 src1_sel:DWORD
	s_mov_b64 s[36:37], -1
	s_and_b64 vcc, exec, s[44:45]
	s_cbranch_vccnz .LBB40_218
; %bb.199:
	v_cmp_gt_i16_sdwa s[44:45], v6, v3 src0_sel:BYTE_0 src1_sel:DWORD
	s_and_b64 vcc, exec, s[44:45]
	s_cbranch_vccz .LBB40_207
; %bb.200:
	v_and_b32_e32 v3, 0x7fffffff, v2
	s_mov_b32 s36, 0x47800000
	v_cmp_gt_u32_e32 vcc, s36, v3
	v_mov_b32_e32 v4, 0x80
	s_and_saveexec_b64 s[36:37], vcc
	s_cbranch_execz .LBB40_206
; %bb.201:
	s_mov_b32 s44, 0x37ffffff
	v_cmp_lt_u32_e32 vcc, s44, v3
	s_mov_b64 s[44:45], 0
                                        ; implicit-def: $vgpr3
	s_and_saveexec_b64 s[48:49], vcc
	s_xor_b64 s[48:49], exec, s[48:49]
	s_cbranch_execz .LBB40_551
; %bb.202:
	v_bfe_u32 v3, v2, 21, 1
	s_mov_b32 s50, 0x88fffff
	v_add3_u32 v3, v2, v3, s50
	s_mov_b64 s[44:45], exec
	v_lshrrev_b32_e32 v3, 21, v3
	s_or_saveexec_b64 s[48:49], s[48:49]
                                        ; implicit-def: $sgpr50
	s_xor_b64 exec, exec, s[48:49]
	s_cbranch_execnz .LBB40_552
.LBB40_203:
	s_or_b64 exec, exec, s[48:49]
	v_mov_b32_e32 v4, s50
	s_and_saveexec_b64 s[48:49], s[44:45]
.LBB40_204:
	v_lshrrev_b32_e32 v4, 24, v2
	s_movk_i32 s44, 0x80
	v_and_or_b32 v4, v4, s44, v3
.LBB40_205:
	s_or_b64 exec, exec, s[48:49]
.LBB40_206:
	s_or_b64 exec, exec, s[36:37]
	s_mov_b64 s[36:37], 0
	global_store_byte v[0:1], v4, off
.LBB40_207:
	s_and_b64 vcc, exec, s[36:37]
	s_cbranch_vccz .LBB40_217
; %bb.208:
	v_and_b32_e32 v4, 0x7fffffff, v2
	s_mov_b32 s36, 0x43f00000
	v_cmp_gt_u32_e32 vcc, s36, v4
                                        ; implicit-def: $vgpr3
	s_and_saveexec_b64 s[36:37], vcc
	s_xor_b64 s[36:37], exec, s[36:37]
	s_cbranch_execz .LBB40_214
; %bb.209:
	s_mov_b32 s44, 0x3c7fffff
	v_cmp_lt_u32_e32 vcc, s44, v4
                                        ; implicit-def: $vgpr3
	s_and_saveexec_b64 s[44:45], vcc
	s_xor_b64 s[44:45], exec, s[44:45]
; %bb.210:
	v_bfe_u32 v3, v2, 20, 1
	s_mov_b32 s48, 0x407ffff
	v_add3_u32 v3, v2, v3, s48
	v_lshrrev_b32_e32 v4, 20, v3
	v_and_b32_e32 v3, 0xff00000, v3
	s_mov_b32 s48, 0x7f00000
	v_mov_b32_e32 v5, 0x7e
	v_cmp_ne_u32_e32 vcc, s48, v3
	v_cndmask_b32_e32 v3, v5, v4, vcc
; %bb.211:
	s_andn2_saveexec_b64 s[44:45], s[44:45]
; %bb.212:
	s_mov_b32 s48, 0x46800000
	v_add_f32_e64 v3, |v2|, s48
; %bb.213:
	s_or_b64 exec, exec, s[44:45]
                                        ; implicit-def: $vgpr4
.LBB40_214:
	s_andn2_saveexec_b64 s[36:37], s[36:37]
; %bb.215:
	s_mov_b32 s44, 0x7f800000
	v_mov_b32_e32 v3, 0x7e
	v_mov_b32_e32 v5, 0x7f
	v_cmp_lt_u32_e32 vcc, s44, v4
	v_cndmask_b32_e32 v3, v3, v5, vcc
; %bb.216:
	s_or_b64 exec, exec, s[36:37]
	v_lshrrev_b32_e32 v4, 24, v2
	s_movk_i32 s36, 0x80
	v_and_or_b32 v3, v4, s36, v3
	global_store_byte v[0:1], v3, off
.LBB40_217:
	s_mov_b64 s[36:37], 0
.LBB40_218:
	s_andn2_b64 vcc, exec, s[36:37]
	s_cbranch_vccnz .LBB40_228
; %bb.219:
	v_and_b32_e32 v4, 0x7fffffff, v2
	s_mov_b32 s36, 0x47800000
	v_cmp_gt_u32_e32 vcc, s36, v4
                                        ; implicit-def: $vgpr3
	s_and_saveexec_b64 s[36:37], vcc
	s_xor_b64 s[36:37], exec, s[36:37]
	s_cbranch_execz .LBB40_225
; %bb.220:
	s_mov_b32 s44, 0x387fffff
	v_cmp_lt_u32_e32 vcc, s44, v4
                                        ; implicit-def: $vgpr3
	s_and_saveexec_b64 s[44:45], vcc
	s_xor_b64 s[44:45], exec, s[44:45]
; %bb.221:
	v_bfe_u32 v3, v2, 21, 1
	s_mov_b32 s48, 0x80fffff
	v_add3_u32 v3, v2, v3, s48
	v_lshrrev_b32_e32 v3, 21, v3
; %bb.222:
	s_andn2_saveexec_b64 s[44:45], s[44:45]
; %bb.223:
	s_mov_b32 s48, 0x43000000
	v_add_f32_e64 v3, |v2|, s48
; %bb.224:
	s_or_b64 exec, exec, s[44:45]
                                        ; implicit-def: $vgpr4
.LBB40_225:
	s_andn2_saveexec_b64 s[36:37], s[36:37]
; %bb.226:
	s_mov_b32 s44, 0x7f800000
	v_mov_b32_e32 v3, 0x7c
	v_mov_b32_e32 v5, 0x7f
	v_cmp_lt_u32_e32 vcc, s44, v4
	v_cndmask_b32_e32 v3, v3, v5, vcc
; %bb.227:
	s_or_b64 exec, exec, s[36:37]
	v_lshrrev_b32_e32 v4, 24, v2
	s_movk_i32 s36, 0x80
	v_and_or_b32 v3, v4, s36, v3
	global_store_byte v[0:1], v3, off
.LBB40_228:
	s_mov_b64 s[44:45], 0
	s_mov_b64 s[36:37], -1
.LBB40_229:
	s_andn2_b64 vcc, exec, s[44:45]
	s_cbranch_vccnz .LBB40_237
; %bb.230:
	v_mov_b32_e32 v3, 14
	v_cmp_gt_i16_sdwa s[48:49], v6, v3 src0_sel:BYTE_0 src1_sel:DWORD
	s_mov_b64 s[44:45], -1
	s_and_b64 vcc, exec, s[48:49]
	s_cbranch_vccz .LBB40_234
; %bb.231:
	v_mov_b32_e32 v3, 15
	v_cmp_eq_u16_sdwa s[44:45], v6, v3 src0_sel:BYTE_0 src1_sel:DWORD
	s_mov_b64 s[0:1], -1
	s_and_b64 vcc, exec, s[44:45]
	s_cbranch_vccz .LBB40_233
; %bb.232:
	v_bfe_u32 v3, v2, 16, 1
	s_movk_i32 s0, 0x7fff
	v_add3_u32 v3, v2, v3, s0
	v_lshrrev_b32_e32 v3, 16, v3
	v_mov_b32_e32 v4, 0x7fc0
	v_cmp_o_f32_e32 vcc, v2, v2
	v_cndmask_b32_e32 v3, v4, v3, vcc
	global_store_short v[0:1], v3, off
	s_mov_b64 s[36:37], -1
	s_mov_b64 s[0:1], 0
.LBB40_233:
	s_mov_b64 s[44:45], 0
.LBB40_234:
	s_and_b64 vcc, exec, s[44:45]
	s_cbranch_vccz .LBB40_237
; %bb.235:
	v_mov_b32_e32 v3, 11
	v_cmp_eq_u16_sdwa s[44:45], v6, v3 src0_sel:BYTE_0 src1_sel:DWORD
	s_mov_b64 s[0:1], -1
	s_and_b64 vcc, exec, s[44:45]
	s_cbranch_vccz .LBB40_237
; %bb.236:
	v_cmp_neq_f32_e32 vcc, 0, v2
	v_cndmask_b32_e64 v3, 0, 1, vcc
	s_mov_b64 s[36:37], -1
	s_mov_b64 s[0:1], 0
	global_store_byte v[0:1], v3, off
.LBB40_237:
	s_mov_b64 s[44:45], 0
.LBB40_238:
	s_and_b64 vcc, exec, s[44:45]
	s_cbranch_vccz .LBB40_277
; %bb.239:
	v_mov_b32_e32 v3, 5
	v_cmp_lt_i16_sdwa s[44:45], v6, v3 src0_sel:BYTE_0 src1_sel:DWORD
	s_mov_b64 s[36:37], -1
	s_and_b64 vcc, exec, s[44:45]
	s_cbranch_vccnz .LBB40_260
; %bb.240:
	v_mov_b32_e32 v3, 8
	v_cmp_lt_i16_sdwa s[44:45], v6, v3 src0_sel:BYTE_0 src1_sel:DWORD
	s_and_b64 vcc, exec, s[44:45]
	s_cbranch_vccnz .LBB40_250
; %bb.241:
	v_mov_b32_e32 v3, 9
	v_cmp_lt_i16_sdwa s[44:45], v6, v3 src0_sel:BYTE_0 src1_sel:DWORD
	s_and_b64 vcc, exec, s[44:45]
	s_cbranch_vccnz .LBB40_247
; %bb.242:
	v_cmp_gt_i16_sdwa s[44:45], v6, v3 src0_sel:BYTE_0 src1_sel:DWORD
	s_and_b64 vcc, exec, s[44:45]
	s_cbranch_vccz .LBB40_244
; %bb.243:
	v_mov_b32_e32 v12, 0
	v_cvt_f64_f32_e32 v[10:11], v2
	v_mov_b32_e32 v13, v12
	global_store_dwordx4 v[0:1], v[10:13], off
	s_mov_b64 s[36:37], 0
.LBB40_244:
	s_andn2_b64 vcc, exec, s[36:37]
	s_cbranch_vccnz .LBB40_246
; %bb.245:
	v_mov_b32_e32 v3, 0
	global_store_dwordx2 v[0:1], v[2:3], off
.LBB40_246:
	s_mov_b64 s[36:37], 0
.LBB40_247:
	s_andn2_b64 vcc, exec, s[36:37]
	s_cbranch_vccnz .LBB40_249
; %bb.248:
	v_cvt_f16_f32_e32 v3, v2
	global_store_dword v[0:1], v3, off
.LBB40_249:
	s_mov_b64 s[36:37], 0
.LBB40_250:
	s_andn2_b64 vcc, exec, s[36:37]
	s_cbranch_vccnz .LBB40_259
; %bb.251:
	v_mov_b32_e32 v3, 6
	v_cmp_lt_i16_sdwa s[44:45], v6, v3 src0_sel:BYTE_0 src1_sel:DWORD
	s_mov_b64 s[36:37], -1
	s_and_b64 vcc, exec, s[44:45]
	s_cbranch_vccnz .LBB40_257
; %bb.252:
	v_cmp_gt_i16_sdwa s[44:45], v6, v3 src0_sel:BYTE_0 src1_sel:DWORD
	s_and_b64 vcc, exec, s[44:45]
	s_cbranch_vccz .LBB40_254
; %bb.253:
	v_cvt_f64_f32_e32 v[4:5], v2
	global_store_dwordx2 v[0:1], v[4:5], off
	s_mov_b64 s[36:37], 0
.LBB40_254:
	s_andn2_b64 vcc, exec, s[36:37]
	s_cbranch_vccnz .LBB40_256
; %bb.255:
	global_store_dword v[0:1], v2, off
.LBB40_256:
	s_mov_b64 s[36:37], 0
.LBB40_257:
	s_andn2_b64 vcc, exec, s[36:37]
	s_cbranch_vccnz .LBB40_259
; %bb.258:
	v_cvt_f16_f32_e32 v3, v2
	global_store_short v[0:1], v3, off
.LBB40_259:
	s_mov_b64 s[36:37], 0
.LBB40_260:
	s_andn2_b64 vcc, exec, s[36:37]
	s_cbranch_vccnz .LBB40_276
; %bb.261:
	v_mov_b32_e32 v3, 2
	v_cmp_lt_i16_sdwa s[44:45], v6, v3 src0_sel:BYTE_0 src1_sel:DWORD
	s_mov_b64 s[36:37], -1
	s_and_b64 vcc, exec, s[44:45]
	s_cbranch_vccnz .LBB40_271
; %bb.262:
	v_mov_b32_e32 v3, 3
	v_cmp_lt_i16_sdwa s[44:45], v6, v3 src0_sel:BYTE_0 src1_sel:DWORD
	s_and_b64 vcc, exec, s[44:45]
	s_cbranch_vccnz .LBB40_268
; %bb.263:
	v_cmp_gt_i16_sdwa s[44:45], v6, v3 src0_sel:BYTE_0 src1_sel:DWORD
	s_and_b64 vcc, exec, s[44:45]
	s_cbranch_vccz .LBB40_265
; %bb.264:
	v_trunc_f32_e32 v3, v2
	s_mov_b32 s36, 0x2f800000
	v_mul_f32_e64 v4, |v3|, s36
	v_floor_f32_e32 v4, v4
	s_mov_b32 s36, 0xcf800000
	v_cvt_u32_f32_e32 v5, v4
	v_fma_f32 v4, v4, s36, |v3|
	v_cvt_u32_f32_e32 v4, v4
	v_ashrrev_i32_e32 v3, 31, v3
	v_xor_b32_e32 v5, v5, v3
	s_mov_b64 s[36:37], 0
	v_xor_b32_e32 v4, v4, v3
	v_sub_co_u32_e32 v4, vcc, v4, v3
	v_subb_co_u32_e32 v5, vcc, v5, v3, vcc
	global_store_dwordx2 v[0:1], v[4:5], off
.LBB40_265:
	s_andn2_b64 vcc, exec, s[36:37]
	s_cbranch_vccnz .LBB40_267
; %bb.266:
	v_cvt_i32_f32_e32 v3, v2
	global_store_dword v[0:1], v3, off
.LBB40_267:
	s_mov_b64 s[36:37], 0
.LBB40_268:
	s_andn2_b64 vcc, exec, s[36:37]
	s_cbranch_vccnz .LBB40_270
; %bb.269:
	v_cvt_i32_f32_e32 v3, v2
	global_store_short v[0:1], v3, off
.LBB40_270:
	s_mov_b64 s[36:37], 0
.LBB40_271:
	s_andn2_b64 vcc, exec, s[36:37]
	s_cbranch_vccnz .LBB40_276
; %bb.272:
	v_mov_b32_e32 v3, 0
	v_cmp_gt_i16_sdwa s[44:45], v6, v3 src0_sel:BYTE_0 src1_sel:DWORD
	s_mov_b64 s[36:37], -1
	s_and_b64 vcc, exec, s[44:45]
	s_cbranch_vccz .LBB40_274
; %bb.273:
	v_cvt_i32_f32_e32 v3, v2
	s_mov_b64 s[36:37], 0
	global_store_byte v[0:1], v3, off
.LBB40_274:
	s_andn2_b64 vcc, exec, s[36:37]
	s_cbranch_vccnz .LBB40_276
; %bb.275:
	v_trunc_f32_e32 v2, v2
	s_mov_b32 s36, 0x2f800000
	v_mul_f32_e64 v3, |v2|, s36
	v_floor_f32_e32 v3, v3
	s_mov_b32 s36, 0xcf800000
	v_fma_f32 v3, v3, s36, |v2|
	v_cvt_u32_f32_e32 v3, v3
	v_ashrrev_i32_e32 v2, 31, v2
	v_xor_b32_e32 v3, v3, v2
	v_sub_u32_e32 v2, v3, v2
	global_store_byte v[0:1], v2, off
.LBB40_276:
	s_mov_b64 s[36:37], -1
.LBB40_277:
	s_andn2_b64 vcc, exec, s[36:37]
	s_cbranch_vccnz .LBB40_279
; %bb.278:
	v_add_u32_e32 v8, 0x80, v8
	s_mov_b64 s[44:45], -1
	s_branch .LBB40_392
.LBB40_279:
	s_mov_b64 s[44:45], 0
                                        ; implicit-def: $vgpr8
	s_branch .LBB40_392
.LBB40_280:
	s_mov_b64 s[38:39], -1
                                        ; implicit-def: $vgpr4
.LBB40_281:
	s_mov_b64 s[36:37], 0
.LBB40_282:
	s_and_b64 vcc, exec, s[36:37]
	s_cbranch_vccz .LBB40_286
; %bb.283:
	v_mov_b32_e32 v4, 29
	v_cmp_eq_u16_sdwa s[36:37], v7, v4 src0_sel:BYTE_0 src1_sel:DWORD
	s_and_b64 vcc, exec, s[36:37]
	s_cbranch_vccz .LBB40_285
; %bb.284:
	global_load_dwordx2 v[4:5], v[2:3], off
	s_mov_b64 s[0:1], -1
	s_mov_b64 s[38:39], 0
	s_mov_b64 s[36:37], 0
	s_waitcnt vmcnt(0)
	v_ffbh_u32_e32 v10, v5
	v_min_u32_e32 v10, 32, v10
	v_lshlrev_b64 v[4:5], v10, v[4:5]
	v_min_u32_e32 v4, 1, v4
	v_or_b32_e32 v4, v5, v4
	v_cvt_f32_u32_e32 v4, v4
	v_sub_u32_e32 v5, 32, v10
	v_ldexp_f32 v4, v4, v5
	s_branch .LBB40_287
.LBB40_285:
	s_mov_b64 s[38:39], -1
                                        ; implicit-def: $vgpr4
.LBB40_286:
	s_mov_b64 s[36:37], 0
.LBB40_287:
	s_and_b64 vcc, exec, s[36:37]
	s_cbranch_vccz .LBB40_305
; %bb.288:
	v_mov_b32_e32 v4, 27
	v_cmp_lt_i16_sdwa s[0:1], v7, v4 src0_sel:BYTE_0 src1_sel:DWORD
	s_and_b64 vcc, exec, s[0:1]
	s_cbranch_vccnz .LBB40_291
; %bb.289:
	v_cmp_gt_i16_sdwa s[0:1], v7, v4 src0_sel:BYTE_0 src1_sel:DWORD
	s_and_b64 vcc, exec, s[0:1]
	s_cbranch_vccz .LBB40_292
; %bb.290:
	global_load_dword v4, v[2:3], off
	s_mov_b64 s[0:1], 0
	s_waitcnt vmcnt(0)
	v_cvt_f32_u32_e32 v4, v4
	s_branch .LBB40_293
.LBB40_291:
	s_mov_b64 s[0:1], -1
                                        ; implicit-def: $vgpr4
	s_branch .LBB40_296
.LBB40_292:
	s_mov_b64 s[0:1], -1
                                        ; implicit-def: $vgpr4
.LBB40_293:
	s_andn2_b64 vcc, exec, s[0:1]
	s_cbranch_vccnz .LBB40_295
; %bb.294:
	global_load_ushort v4, v[2:3], off
	s_waitcnt vmcnt(0)
	v_cvt_f32_u32_e32 v4, v4
.LBB40_295:
	s_mov_b64 s[0:1], 0
.LBB40_296:
	s_andn2_b64 vcc, exec, s[0:1]
	s_cbranch_vccnz .LBB40_304
; %bb.297:
	global_load_ubyte v5, v[2:3], off
	s_movk_i32 s0, 0x7f
                                        ; implicit-def: $sgpr48
	s_waitcnt vmcnt(0)
	v_cmp_lt_i16_e32 vcc, s0, v5
	s_mov_b64 s[0:1], 0
	s_and_saveexec_b64 s[36:37], vcc
	s_xor_b64 s[36:37], exec, s[36:37]
	s_cbranch_execz .LBB40_318
; %bb.298:
	s_movk_i32 s0, 0x80
	v_cmp_eq_u16_e32 vcc, s0, v5
	s_mov_b64 s[0:1], -1
                                        ; implicit-def: $sgpr48
	s_and_saveexec_b64 s[44:45], vcc
; %bb.299:
	s_mov_b32 s48, 0x7f800001
	s_xor_b64 s[0:1], exec, -1
; %bb.300:
	s_or_b64 exec, exec, s[44:45]
	s_and_b64 s[0:1], s[0:1], exec
	s_or_saveexec_b64 s[36:37], s[36:37]
	v_mov_b32_e32 v4, s48
	s_xor_b64 exec, exec, s[36:37]
	s_cbranch_execnz .LBB40_319
.LBB40_301:
	s_or_b64 exec, exec, s[36:37]
	s_and_saveexec_b64 s[36:37], s[0:1]
	s_cbranch_execz .LBB40_303
.LBB40_302:
	v_lshlrev_b32_e32 v4, 24, v5
	v_and_b32_e32 v5, 0xffff, v5
	v_and_b32_e32 v10, 7, v5
	v_ffbh_u32_e32 v12, v10
	v_min_u32_e32 v12, 32, v12
	v_subrev_u32_e32 v13, 28, v12
	v_bfe_u32 v11, v5, 3, 4
	v_lshlrev_b32_e32 v5, v13, v5
	v_sub_u32_e32 v12, 29, v12
	v_and_b32_e32 v5, 7, v5
	v_cmp_eq_u32_e32 vcc, 0, v11
	v_cndmask_b32_e32 v11, v11, v12, vcc
	v_cndmask_b32_e32 v5, v10, v5, vcc
	v_mov_b32_e32 v10, 0x3b800000
	v_lshlrev_b32_e32 v5, 20, v5
	v_and_b32_e32 v4, 0x80000000, v4
	v_lshl_add_u32 v10, v11, 23, v10
	v_or3_b32 v4, v4, v10, v5
.LBB40_303:
	s_or_b64 exec, exec, s[36:37]
.LBB40_304:
	s_mov_b64 s[0:1], -1
.LBB40_305:
	s_mov_b64 s[36:37], 0
.LBB40_306:
	s_and_b64 vcc, exec, s[36:37]
	s_cbranch_vccz .LBB40_341
; %bb.307:
	v_mov_b32_e32 v4, 22
	v_cmp_gt_i16_sdwa s[36:37], v7, v4 src0_sel:BYTE_0 src1_sel:DWORD
	s_and_b64 vcc, exec, s[36:37]
	s_cbranch_vccz .LBB40_317
; %bb.308:
	v_mov_b32_e32 v4, 24
	v_cmp_lt_i16_sdwa s[0:1], v7, v4 src0_sel:BYTE_0 src1_sel:DWORD
	s_and_b64 vcc, exec, s[0:1]
	s_cbranch_vccnz .LBB40_320
; %bb.309:
	v_cmp_gt_i16_sdwa s[0:1], v7, v4 src0_sel:BYTE_0 src1_sel:DWORD
	s_and_b64 vcc, exec, s[0:1]
	s_cbranch_vccz .LBB40_321
; %bb.310:
	global_load_ubyte v5, v[2:3], off
	s_movk_i32 s0, 0x7f
                                        ; implicit-def: $sgpr48
	s_waitcnt vmcnt(0)
	v_cmp_lt_i16_e32 vcc, s0, v5
	s_mov_b64 s[0:1], 0
	s_and_saveexec_b64 s[36:37], vcc
	s_xor_b64 s[36:37], exec, s[36:37]
	s_cbranch_execz .LBB40_333
; %bb.311:
	s_movk_i32 s0, 0x80
	v_cmp_eq_u16_e32 vcc, s0, v5
	s_mov_b64 s[0:1], -1
                                        ; implicit-def: $sgpr48
	s_and_saveexec_b64 s[44:45], vcc
; %bb.312:
	s_mov_b32 s48, 0x7f800001
	s_xor_b64 s[0:1], exec, -1
; %bb.313:
	s_or_b64 exec, exec, s[44:45]
	s_and_b64 s[0:1], s[0:1], exec
	s_or_saveexec_b64 s[36:37], s[36:37]
	v_mov_b32_e32 v4, s48
	s_xor_b64 exec, exec, s[36:37]
	s_cbranch_execnz .LBB40_334
.LBB40_314:
	s_or_b64 exec, exec, s[36:37]
	s_and_saveexec_b64 s[36:37], s[0:1]
	s_cbranch_execz .LBB40_316
.LBB40_315:
	v_lshlrev_b32_e32 v4, 24, v5
	v_and_b32_e32 v5, 0xffff, v5
	v_and_b32_e32 v10, 3, v5
	v_ffbh_u32_e32 v12, v10
	v_min_u32_e32 v12, 32, v12
	v_subrev_u32_e32 v13, 29, v12
	v_bfe_u32 v11, v5, 2, 5
	v_lshlrev_b32_e32 v5, v13, v5
	v_sub_u32_e32 v12, 30, v12
	v_and_b32_e32 v5, 3, v5
	v_cmp_eq_u32_e32 vcc, 0, v11
	v_cndmask_b32_e32 v11, v11, v12, vcc
	v_cndmask_b32_e32 v5, v10, v5, vcc
	v_mov_b32_e32 v10, 0x37800000
	v_lshlrev_b32_e32 v5, 21, v5
	v_and_b32_e32 v4, 0x80000000, v4
	v_lshl_add_u32 v10, v11, 23, v10
	v_or3_b32 v4, v4, v10, v5
.LBB40_316:
	s_or_b64 exec, exec, s[36:37]
	s_mov_b64 s[0:1], 0
	s_branch .LBB40_322
.LBB40_317:
	s_mov_b64 s[36:37], -1
                                        ; implicit-def: $vgpr4
	s_branch .LBB40_328
.LBB40_318:
	s_or_saveexec_b64 s[36:37], s[36:37]
	v_mov_b32_e32 v4, s48
	s_xor_b64 exec, exec, s[36:37]
	s_cbranch_execz .LBB40_301
.LBB40_319:
	v_cmp_ne_u16_e32 vcc, 0, v5
	s_andn2_b64 s[0:1], s[0:1], exec
	s_and_b64 s[44:45], vcc, exec
	v_mov_b32_e32 v4, 0
	s_or_b64 s[0:1], s[0:1], s[44:45]
	s_or_b64 exec, exec, s[36:37]
	s_and_saveexec_b64 s[36:37], s[0:1]
	s_cbranch_execnz .LBB40_302
	s_branch .LBB40_303
.LBB40_320:
	s_mov_b64 s[0:1], -1
                                        ; implicit-def: $vgpr4
	s_branch .LBB40_325
.LBB40_321:
	s_mov_b64 s[0:1], -1
                                        ; implicit-def: $vgpr4
.LBB40_322:
	s_and_b64 vcc, exec, s[0:1]
	s_cbranch_vccz .LBB40_324
; %bb.323:
	global_load_ubyte v4, v[2:3], off
	s_mov_b32 s0, 0x7f800000
	s_waitcnt vmcnt(0)
	v_lshlrev_b32_e32 v4, 24, v4
	v_and_b32_e32 v5, 0x7f000000, v4
	v_ffbh_u32_e32 v10, v5
	v_min_u32_e32 v10, 32, v10
	v_sub_u32_e64 v10, v10, 4 clamp
	v_lshlrev_b32_e32 v12, v10, v5
	v_lshlrev_b32_e32 v10, 23, v10
	v_lshrrev_b32_e32 v12, 4, v12
	v_add_u32_e32 v11, 0x1000000, v5
	v_sub_u32_e32 v10, v12, v10
	v_ashrrev_i32_e32 v11, 8, v11
	v_add_u32_e32 v10, 0x3c000000, v10
	v_and_or_b32 v10, v11, s0, v10
	v_cmp_ne_u32_e32 vcc, 0, v5
	v_cndmask_b32_e32 v5, 0, v10, vcc
	s_brev_b32 s0, 1
	v_and_or_b32 v4, v4, s0, v5
.LBB40_324:
	s_mov_b64 s[0:1], 0
.LBB40_325:
	s_andn2_b64 vcc, exec, s[0:1]
	s_cbranch_vccnz .LBB40_327
; %bb.326:
	global_load_ubyte v4, v[2:3], off
	s_movk_i32 s0, 0x7f00
	s_brev_b32 s1, 16
	s_waitcnt vmcnt(0)
	v_lshlrev_b16_e32 v5, 8, v4
	v_lshlrev_b32_e32 v4, 25, v4
	v_lshrrev_b32_e32 v10, 4, v4
	v_and_or_b32 v11, v5, s0, 0.5
	v_or_b32_e32 v10, 0x70000000, v10
	v_add_f32_e32 v11, -0.5, v11
	v_mul_f32_e32 v10, 0x7800000, v10
	v_cmp_gt_u32_e32 vcc, s1, v4
	v_bfe_i32 v5, v5, 0, 16
	v_cndmask_b32_e32 v4, v10, v11, vcc
	s_brev_b32 s0, 1
	v_and_or_b32 v4, v5, s0, v4
.LBB40_327:
	s_mov_b64 s[36:37], 0
	s_mov_b64 s[0:1], -1
.LBB40_328:
	s_andn2_b64 vcc, exec, s[36:37]
	s_cbranch_vccnz .LBB40_341
; %bb.329:
	v_mov_b32_e32 v4, 14
	v_cmp_gt_i16_sdwa s[36:37], v7, v4 src0_sel:BYTE_0 src1_sel:DWORD
	s_and_b64 vcc, exec, s[36:37]
	s_cbranch_vccz .LBB40_332
; %bb.330:
	v_mov_b32_e32 v4, 15
	v_cmp_eq_u16_sdwa s[36:37], v7, v4 src0_sel:BYTE_0 src1_sel:DWORD
	s_and_b64 vcc, exec, s[36:37]
	s_cbranch_vccz .LBB40_335
; %bb.331:
	global_load_ushort v4, v[2:3], off
	s_mov_b64 s[0:1], -1
	s_mov_b64 s[38:39], 0
	s_waitcnt vmcnt(0)
	v_lshlrev_b32_e32 v4, 16, v4
	s_branch .LBB40_336
.LBB40_332:
	s_mov_b64 s[36:37], -1
                                        ; implicit-def: $vgpr4
	s_branch .LBB40_337
.LBB40_333:
	s_or_saveexec_b64 s[36:37], s[36:37]
	v_mov_b32_e32 v4, s48
	s_xor_b64 exec, exec, s[36:37]
	s_cbranch_execz .LBB40_314
.LBB40_334:
	v_cmp_ne_u16_e32 vcc, 0, v5
	s_andn2_b64 s[0:1], s[0:1], exec
	s_and_b64 s[44:45], vcc, exec
	v_mov_b32_e32 v4, 0
	s_or_b64 s[0:1], s[0:1], s[44:45]
	s_or_b64 exec, exec, s[36:37]
	s_and_saveexec_b64 s[36:37], s[0:1]
	s_cbranch_execnz .LBB40_315
	s_branch .LBB40_316
.LBB40_335:
	s_mov_b64 s[38:39], -1
                                        ; implicit-def: $vgpr4
.LBB40_336:
	s_mov_b64 s[36:37], 0
.LBB40_337:
	s_and_b64 vcc, exec, s[36:37]
	s_cbranch_vccz .LBB40_341
; %bb.338:
	v_mov_b32_e32 v4, 11
	v_cmp_eq_u16_sdwa s[36:37], v7, v4 src0_sel:BYTE_0 src1_sel:DWORD
	s_and_b64 vcc, exec, s[36:37]
	s_cbranch_vccz .LBB40_340
; %bb.339:
	global_load_ubyte v4, v[2:3], off
	s_mov_b64 s[0:1], -1
	s_mov_b64 s[38:39], 0
	s_waitcnt vmcnt(0)
	v_cmp_ne_u16_e32 vcc, 0, v4
	v_cndmask_b32_e64 v4, 0, 1.0, vcc
	s_branch .LBB40_341
.LBB40_340:
	s_mov_b64 s[38:39], -1
                                        ; implicit-def: $vgpr4
.LBB40_341:
	s_branch .LBB40_30
.LBB40_342:
	v_mov_b32_e32 v4, 5
	v_cmp_lt_i16_sdwa s[0:1], v7, v4 src0_sel:BYTE_0 src1_sel:DWORD
	s_and_b64 vcc, exec, s[0:1]
	s_cbranch_vccnz .LBB40_347
; %bb.343:
	v_mov_b32_e32 v4, 8
	v_cmp_lt_i16_sdwa s[0:1], v7, v4 src0_sel:BYTE_0 src1_sel:DWORD
	s_and_b64 vcc, exec, s[0:1]
	s_cbranch_vccnz .LBB40_348
; %bb.344:
	;; [unrolled: 5-line block ×3, first 2 shown]
	v_cmp_gt_i16_sdwa s[0:1], v7, v4 src0_sel:BYTE_0 src1_sel:DWORD
	s_and_b64 vcc, exec, s[0:1]
	s_cbranch_vccz .LBB40_350
; %bb.346:
	global_load_dwordx2 v[4:5], v[2:3], off
	s_mov_b64 s[0:1], 0
	s_waitcnt vmcnt(0)
	v_cvt_f32_f64_e32 v4, v[4:5]
	s_branch .LBB40_351
.LBB40_347:
	s_mov_b64 s[0:1], -1
                                        ; implicit-def: $vgpr4
	s_branch .LBB40_369
.LBB40_348:
	s_mov_b64 s[0:1], -1
                                        ; implicit-def: $vgpr4
	s_branch .LBB40_357
.LBB40_349:
	s_mov_b64 s[0:1], -1
                                        ; implicit-def: $vgpr4
	s_branch .LBB40_354
.LBB40_350:
	s_mov_b64 s[0:1], -1
                                        ; implicit-def: $vgpr4
.LBB40_351:
	s_andn2_b64 vcc, exec, s[0:1]
	s_cbranch_vccnz .LBB40_353
; %bb.352:
	global_load_dword v4, v[2:3], off
.LBB40_353:
	s_mov_b64 s[0:1], 0
.LBB40_354:
	s_andn2_b64 vcc, exec, s[0:1]
	s_cbranch_vccnz .LBB40_356
; %bb.355:
	global_load_dword v4, v[2:3], off
	s_waitcnt vmcnt(0)
	v_cvt_f32_f16_e32 v4, v4
.LBB40_356:
	s_mov_b64 s[0:1], 0
.LBB40_357:
	s_andn2_b64 vcc, exec, s[0:1]
	s_cbranch_vccnz .LBB40_368
; %bb.358:
	s_waitcnt vmcnt(0)
	v_mov_b32_e32 v4, 6
	v_cmp_lt_i16_sdwa s[0:1], v7, v4 src0_sel:BYTE_0 src1_sel:DWORD
	s_and_b64 vcc, exec, s[0:1]
	s_cbranch_vccnz .LBB40_361
; %bb.359:
	v_cmp_gt_i16_sdwa s[0:1], v7, v4 src0_sel:BYTE_0 src1_sel:DWORD
	s_and_b64 vcc, exec, s[0:1]
	s_cbranch_vccz .LBB40_362
; %bb.360:
	global_load_dwordx2 v[4:5], v[2:3], off
	s_mov_b64 s[0:1], 0
	s_waitcnt vmcnt(0)
	v_cvt_f32_f64_e32 v4, v[4:5]
	s_branch .LBB40_363
.LBB40_361:
	s_mov_b64 s[0:1], -1
                                        ; implicit-def: $vgpr4
	s_branch .LBB40_366
.LBB40_362:
	s_mov_b64 s[0:1], -1
                                        ; implicit-def: $vgpr4
.LBB40_363:
	s_andn2_b64 vcc, exec, s[0:1]
	s_cbranch_vccnz .LBB40_365
; %bb.364:
	global_load_dword v4, v[2:3], off
.LBB40_365:
	s_mov_b64 s[0:1], 0
.LBB40_366:
	s_andn2_b64 vcc, exec, s[0:1]
	s_cbranch_vccnz .LBB40_368
; %bb.367:
	global_load_ushort v4, v[2:3], off
	s_waitcnt vmcnt(0)
	v_cvt_f32_f16_e32 v4, v4
.LBB40_368:
	s_mov_b64 s[0:1], 0
.LBB40_369:
	s_andn2_b64 vcc, exec, s[0:1]
	s_cbranch_vccnz .LBB40_389
; %bb.370:
	s_waitcnt vmcnt(0)
	v_mov_b32_e32 v4, 2
	v_cmp_lt_i16_sdwa s[0:1], v7, v4 src0_sel:BYTE_0 src1_sel:DWORD
	s_and_b64 vcc, exec, s[0:1]
	s_cbranch_vccnz .LBB40_374
; %bb.371:
	v_mov_b32_e32 v4, 3
	v_cmp_lt_i16_sdwa s[0:1], v7, v4 src0_sel:BYTE_0 src1_sel:DWORD
	s_and_b64 vcc, exec, s[0:1]
	s_cbranch_vccnz .LBB40_375
; %bb.372:
	v_cmp_gt_i16_sdwa s[0:1], v7, v4 src0_sel:BYTE_0 src1_sel:DWORD
	s_and_b64 vcc, exec, s[0:1]
	s_cbranch_vccz .LBB40_376
; %bb.373:
	global_load_dwordx2 v[4:5], v[2:3], off
	s_mov_b64 s[0:1], 0
	s_waitcnt vmcnt(0)
	v_xor_b32_e32 v11, v4, v5
	v_ffbh_i32_e32 v10, v5
	v_ashrrev_i32_e32 v11, 31, v11
	v_add_u32_e32 v10, -1, v10
	v_add_u32_e32 v11, 32, v11
	v_min_u32_e32 v10, v10, v11
	v_lshlrev_b64 v[4:5], v10, v[4:5]
	v_min_u32_e32 v4, 1, v4
	v_or_b32_e32 v4, v5, v4
	v_cvt_f32_i32_e32 v4, v4
	v_sub_u32_e32 v5, 32, v10
	v_ldexp_f32 v4, v4, v5
	s_branch .LBB40_377
.LBB40_374:
	s_mov_b64 s[0:1], -1
                                        ; implicit-def: $vgpr4
	s_branch .LBB40_383
.LBB40_375:
	s_mov_b64 s[0:1], -1
                                        ; implicit-def: $vgpr4
	s_branch .LBB40_380
.LBB40_376:
	s_mov_b64 s[0:1], -1
                                        ; implicit-def: $vgpr4
.LBB40_377:
	s_andn2_b64 vcc, exec, s[0:1]
	s_cbranch_vccnz .LBB40_379
; %bb.378:
	global_load_dword v4, v[2:3], off
	s_waitcnt vmcnt(0)
	v_cvt_f32_i32_e32 v4, v4
.LBB40_379:
	s_mov_b64 s[0:1], 0
.LBB40_380:
	s_andn2_b64 vcc, exec, s[0:1]
	s_cbranch_vccnz .LBB40_382
; %bb.381:
	global_load_sshort v4, v[2:3], off
	s_waitcnt vmcnt(0)
	v_cvt_f32_i32_e32 v4, v4
.LBB40_382:
	s_mov_b64 s[0:1], 0
.LBB40_383:
	s_andn2_b64 vcc, exec, s[0:1]
	s_cbranch_vccnz .LBB40_389
; %bb.384:
	v_mov_b32_e32 v4, 0
	v_cmp_gt_i16_sdwa s[0:1], v7, v4 src0_sel:BYTE_0 src1_sel:DWORD
	s_and_b64 vcc, exec, s[0:1]
	s_cbranch_vccz .LBB40_386
; %bb.385:
	global_load_sbyte v4, v[2:3], off
	s_mov_b64 s[0:1], 0
	s_waitcnt vmcnt(0)
	v_cvt_f32_i32_e32 v4, v4
	s_branch .LBB40_387
.LBB40_386:
	s_mov_b64 s[0:1], -1
                                        ; implicit-def: $vgpr4
.LBB40_387:
	s_andn2_b64 vcc, exec, s[0:1]
	s_cbranch_vccnz .LBB40_389
; %bb.388:
	global_load_ubyte v2, v[2:3], off
	s_waitcnt vmcnt(0)
	v_cvt_f32_ubyte0_e32 v4, v2
.LBB40_389:
	s_branch .LBB40_31
.LBB40_390:
	s_mov_b64 s[0:1], 0
.LBB40_391:
                                        ; implicit-def: $vgpr8
	s_mov_b64 s[44:45], 0
.LBB40_392:
	s_and_b64 s[36:37], s[0:1], exec
	s_and_b64 s[38:39], s[38:39], exec
	s_and_b64 s[40:41], s[40:41], exec
	s_orn2_b64 s[0:1], s[44:45], exec
.LBB40_393:
	s_or_b64 exec, exec, s[42:43]
	s_mov_b64 s[50:51], 0
	s_mov_b64 s[48:49], 0
                                        ; implicit-def: $vgpr3
                                        ; implicit-def: $vgpr4_vgpr5
                                        ; implicit-def: $vgpr2
                                        ; implicit-def: $vgpr0
                                        ; implicit-def: $vgpr1
	s_and_saveexec_b64 s[42:43], s[0:1]
	s_cbranch_execz .LBB40_402
; %bb.394:
	v_cmp_gt_i32_e32 vcc, s66, v8
	s_mov_b64 s[0:1], -1
	s_mov_b64 s[44:45], s[40:41]
	s_mov_b64 s[46:47], s[38:39]
	;; [unrolled: 1-line block ×3, first 2 shown]
	s_and_saveexec_b64 s[50:51], vcc
	s_cbranch_execz .LBB40_793
; %bb.395:
	s_andn2_b64 vcc, exec, s[20:21]
	s_cbranch_vccnz .LBB40_405
; %bb.396:
	s_andn2_b64 vcc, exec, s[34:35]
	v_mov_b32_e32 v2, 0
	s_waitcnt vmcnt(0)
	v_mov_b32_e32 v4, 0
	v_mov_b32_e32 v0, 0
	s_cbranch_vccnz .LBB40_401
; %bb.397:
	s_add_i32 s0, s69, 1
	s_and_b32 s44, s0, 30
	s_add_u32 s0, s2, 0xffffffec
	s_addc_u32 s1, s3, -1
	v_mov_b32_e32 v0, 0
	v_mov_b32_e32 v1, v8
	;; [unrolled: 1-line block ×4, first 2 shown]
.LBB40_398:                             ; =>This Inner Loop Header: Depth=1
	s_mov_b64 s[46:47], s[0:1]
	s_load_dwordx4 s[52:55], s[46:47], 0x18
	s_load_dwordx2 s[48:49], s[46:47], 0x28
	s_load_dwordx2 s[60:61], s[46:47], 0xe8
	s_load_dwordx4 s[56:59], s[46:47], 0xd8
	s_add_u32 s0, s46, 24
	s_waitcnt lgkmcnt(0)
	v_mul_hi_u32 v3, s53, v1
	v_add_u32_e32 v3, v1, v3
	v_lshrrev_b32_e32 v3, s54, v3
	v_mul_lo_u32 v5, v3, s52
	v_mul_hi_u32 v10, s48, v3
	v_sub_u32_e32 v1, v1, v5
	v_add_u32_e32 v5, v3, v10
	v_mul_lo_u32 v10, v1, s56
	v_mul_lo_u32 v11, v1, s57
	;; [unrolled: 1-line block ×3, first 2 shown]
	v_lshrrev_b32_e32 v1, s49, v5
	v_mul_lo_u32 v5, v1, s55
	v_sub_u32_e32 v3, v3, v5
	s_addc_u32 s1, s47, 0
	s_add_i32 s44, s44, -2
	v_mul_lo_u32 v5, v3, s59
	v_mul_lo_u32 v13, v3, s60
	;; [unrolled: 1-line block ×3, first 2 shown]
	s_cmp_eq_u32 s44, 0
	v_add3_u32 v0, v10, v0, v5
	v_add3_u32 v2, v12, v2, v3
	;; [unrolled: 1-line block ×3, first 2 shown]
	s_cbranch_scc0 .LBB40_398
; %bb.399:
	s_bitcmp1_b32 s69, 0
	s_cselect_b64 s[44:45], -1, 0
	s_and_b64 vcc, exec, s[44:45]
	s_cbranch_vccnz .LBB40_401
; %bb.400:
	s_load_dwordx2 s[44:45], s[0:1], 0x18
	s_load_dword s46, s[0:1], 0x20
	s_load_dword s47, s[0:1], 0xe0
	s_nop 0
	s_load_dwordx2 s[0:1], s[0:1], 0xd8
	s_waitcnt lgkmcnt(0)
	v_mul_hi_u32 v3, s45, v1
	v_add_u32_e32 v3, v1, v3
	v_lshrrev_b32_e32 v3, s46, v3
	v_mul_lo_u32 v3, v3, s44
	v_sub_u32_e32 v3, v1, v3
	v_mad_u64_u32 v[0:1], s[44:45], v3, s0, v[0:1]
	v_mad_u64_u32 v[4:5], s[0:1], v3, s1, v[4:5]
	;; [unrolled: 1-line block ×3, first 2 shown]
.LBB40_401:
	s_cbranch_execz .LBB40_406
	s_branch .LBB40_408
.LBB40_402:
	s_or_b64 exec, exec, s[42:43]
	s_waitcnt lgkmcnt(0)
	s_mov_b64 s[10:11], 0
	s_and_saveexec_b64 s[0:1], s[40:41]
	s_cbranch_execnz .LBB40_1289
.LBB40_403:
	s_or_b64 exec, exec, s[0:1]
	s_and_saveexec_b64 s[0:1], s[46:47]
	s_xor_b64 s[0:1], exec, s[0:1]
	s_cbranch_execz .LBB40_1290
.LBB40_404:
	s_waitcnt vmcnt(0)
	global_load_ubyte v1, v[4:5], off
	s_or_b64 s[48:49], s[48:49], exec
	s_waitcnt vmcnt(0)
	v_cmp_ne_u16_e32 vcc, 0, v1
	v_cndmask_b32_e64 v1, 0, 1.0, vcc
	s_or_b64 exec, exec, s[0:1]
	s_and_saveexec_b64 s[0:1], s[50:51]
	s_cbranch_execz .LBB40_1336
	s_branch .LBB40_1291
.LBB40_405:
                                        ; implicit-def: $vgpr2
                                        ; implicit-def: $vgpr4
                                        ; implicit-def: $vgpr0
	s_andn2_b64 vcc, exec, s[0:1]
	s_cbranch_vccnz .LBB40_408
.LBB40_406:
	s_waitcnt lgkmcnt(0)
	v_mul_hi_u32 v0, s17, v8
	v_add_u32_e32 v0, v8, v0
	s_waitcnt vmcnt(0)
	v_lshrrev_b32_e32 v1, s18, v0
	v_mul_lo_u32 v0, v1, s16
	v_sub_u32_e32 v3, v8, v0
	v_mul_lo_u32 v0, v3, s12
	v_mul_lo_u32 v2, v3, s14
	s_andn2_b64 vcc, exec, s[30:31]
	v_mul_lo_u32 v4, v3, s13
	s_cbranch_vccnz .LBB40_408
; %bb.407:
	v_mul_hi_u32 v3, s28, v1
	v_add_u32_e32 v3, v1, v3
	v_lshrrev_b32_e32 v3, s29, v3
	v_mul_lo_u32 v3, v3, s19
	v_sub_u32_e32 v3, v1, v3
	v_mad_u64_u32 v[0:1], s[0:1], v3, s15, v[0:1]
	v_mad_u64_u32 v[4:5], s[0:1], v3, s26, v[4:5]
	;; [unrolled: 1-line block ×3, first 2 shown]
.LBB40_408:
	s_waitcnt vmcnt(0) lgkmcnt(0)
	v_mov_b32_e32 v1, s11
	v_add_co_u32_e32 v4, vcc, s10, v4
	v_addc_co_u32_e32 v5, vcc, 0, v1, vcc
	v_mov_b32_e32 v1, 11
	v_cmp_lt_i16_sdwa s[0:1], v9, v1 src0_sel:BYTE_0 src1_sel:DWORD
	s_and_b64 vcc, exec, s[0:1]
	s_cbranch_vccnz .LBB40_415
; %bb.409:
	v_mov_b32_e32 v1, 25
	v_cmp_gt_i16_sdwa s[0:1], v9, v1 src0_sel:BYTE_0 src1_sel:DWORD
	s_and_b64 vcc, exec, s[0:1]
	s_cbranch_vccz .LBB40_424
; %bb.410:
	v_mov_b32_e32 v1, 28
	v_cmp_gt_i16_sdwa s[0:1], v9, v1 src0_sel:BYTE_0 src1_sel:DWORD
	s_and_b64 vcc, exec, s[0:1]
	s_cbranch_vccz .LBB40_426
	;; [unrolled: 5-line block ×4, first 2 shown]
; %bb.413:
	v_mov_b32_e32 v1, 46
	v_cmp_eq_u16_sdwa s[0:1], v9, v1 src0_sel:BYTE_0 src1_sel:DWORD
	s_mov_b64 s[46:47], 0
	s_and_b64 vcc, exec, s[0:1]
	s_cbranch_vccz .LBB40_434
; %bb.414:
	global_load_dword v1, v[4:5], off
	s_mov_b64 s[0:1], -1
	s_mov_b64 s[44:45], 0
	s_waitcnt vmcnt(0)
	v_lshlrev_b32_e32 v1, 16, v1
	s_branch .LBB40_435
.LBB40_415:
	s_mov_b64 s[0:1], 0
                                        ; implicit-def: $vgpr1
	s_mov_b64 s[44:45], s[40:41]
	s_cbranch_execnz .LBB40_501
.LBB40_416:
	s_andn2_b64 vcc, exec, s[0:1]
	s_cbranch_vccnz .LBB40_549
.LBB40_417:
	v_mov_b32_e32 v3, s25
	v_add_co_u32_e32 v2, vcc, s24, v2
	v_mov_b32_e32 v4, 11
	v_addc_co_u32_e32 v3, vcc, 0, v3, vcc
	v_cmp_lt_i16_sdwa s[0:1], v7, v4 src0_sel:BYTE_0 src1_sel:DWORD
	s_and_b64 vcc, exec, s[0:1]
	s_cbranch_vccnz .LBB40_425
; %bb.418:
	v_mov_b32_e32 v4, 25
	v_cmp_gt_i16_sdwa s[0:1], v7, v4 src0_sel:BYTE_0 src1_sel:DWORD
	s_and_b64 vcc, exec, s[0:1]
	s_cbranch_vccz .LBB40_427
; %bb.419:
	v_mov_b32_e32 v4, 28
	v_cmp_gt_i16_sdwa s[0:1], v7, v4 src0_sel:BYTE_0 src1_sel:DWORD
	s_and_b64 vcc, exec, s[0:1]
	s_cbranch_vccz .LBB40_429
	;; [unrolled: 5-line block ×4, first 2 shown]
; %bb.422:
	v_mov_b32_e32 v4, 46
	v_cmp_eq_u16_sdwa s[0:1], v7, v4 src0_sel:BYTE_0 src1_sel:DWORD
	s_mov_b64 s[48:49], 0
	s_and_b64 vcc, exec, s[0:1]
	s_cbranch_vccz .LBB40_553
; %bb.423:
	global_load_dword v4, v[2:3], off
	s_mov_b64 s[0:1], -1
	s_mov_b64 s[46:47], 0
	s_waitcnt vmcnt(0)
	v_lshlrev_b32_e32 v4, 16, v4
	s_branch .LBB40_554
.LBB40_424:
	s_mov_b64 s[46:47], -1
	s_mov_b64 s[0:1], 0
	s_mov_b64 s[44:45], s[40:41]
                                        ; implicit-def: $vgpr1
	s_branch .LBB40_465
.LBB40_425:
	s_mov_b64 s[48:49], -1
	s_mov_b64 s[0:1], 0
                                        ; implicit-def: $vgpr4
	s_mov_b64 s[46:47], s[38:39]
	s_branch .LBB40_619
.LBB40_426:
	s_mov_b64 s[46:47], -1
	s_mov_b64 s[0:1], 0
	s_mov_b64 s[44:45], s[40:41]
                                        ; implicit-def: $vgpr1
	s_branch .LBB40_446
.LBB40_427:
	s_mov_b64 s[48:49], -1
	s_mov_b64 s[0:1], 0
	s_mov_b64 s[46:47], s[38:39]
                                        ; implicit-def: $vgpr4
	s_branch .LBB40_583
.LBB40_428:
	s_mov_b64 s[46:47], -1
	s_mov_b64 s[0:1], 0
	s_mov_b64 s[44:45], s[40:41]
                                        ; implicit-def: $vgpr1
	s_branch .LBB40_441
.LBB40_429:
	s_mov_b64 s[48:49], -1
	s_mov_b64 s[0:1], 0
	s_mov_b64 s[46:47], s[38:39]
                                        ; implicit-def: $vgpr4
	s_branch .LBB40_564
.LBB40_430:
	s_mov_b64 s[46:47], -1
	s_mov_b64 s[0:1], 0
	s_mov_b64 s[44:45], s[40:41]
                                        ; implicit-def: $vgpr1
	s_branch .LBB40_435
.LBB40_431:
	s_mov_b64 s[48:49], -1
	s_mov_b64 s[0:1], 0
	s_mov_b64 s[46:47], s[38:39]
                                        ; implicit-def: $vgpr4
	s_branch .LBB40_559
.LBB40_432:
	s_or_saveexec_b64 s[48:49], s[48:49]
                                        ; implicit-def: $sgpr50
	s_xor_b64 exec, exec, s[48:49]
	s_cbranch_execz .LBB40_190
.LBB40_433:
	s_mov_b32 s50, 0x46000000
	v_add_f32_e64 v3, |v2|, s50
	v_and_b32_e32 v3, 0xff, v3
	v_cmp_ne_u32_e32 vcc, 0, v3
	s_andn2_b64 s[44:45], s[44:45], exec
	s_and_b64 s[52:53], vcc, exec
	s_mov_b32 s50, 0
	s_or_b64 s[44:45], s[44:45], s[52:53]
	s_or_b64 exec, exec, s[48:49]
	v_mov_b32_e32 v4, s50
	s_and_saveexec_b64 s[48:49], s[44:45]
	s_cbranch_execnz .LBB40_191
	s_branch .LBB40_192
.LBB40_434:
	s_mov_b64 s[44:45], -1
                                        ; implicit-def: $vgpr1
	s_mov_b64 s[0:1], 0
.LBB40_435:
	s_and_b64 vcc, exec, s[46:47]
	s_cbranch_vccz .LBB40_440
; %bb.436:
	v_mov_b32_e32 v1, 44
	v_cmp_eq_u16_sdwa s[44:45], v9, v1 src0_sel:BYTE_0 src1_sel:DWORD
	s_and_b64 vcc, exec, s[44:45]
	s_cbranch_vccz .LBB40_439
; %bb.437:
	global_load_ubyte v1, v[4:5], off
	s_movk_i32 s44, 0xff
	v_mov_b32_e32 v3, 0x7f800001
	v_mov_b32_e32 v10, 0x400000
	s_mov_b64 s[0:1], -1
	s_waitcnt vmcnt(0)
	v_lshlrev_b32_e32 v11, 23, v1
	v_cmp_ne_u32_e32 vcc, s44, v1
	v_cndmask_b32_e32 v3, v3, v11, vcc
	v_cmp_ne_u32_e32 vcc, 0, v1
	v_cndmask_b32_e32 v1, v10, v3, vcc
	s_mov_b64 s[44:45], 0
	s_branch .LBB40_440
.LBB40_438:
	s_mov_b64 s[48:49], -1
	s_mov_b64 s[0:1], 0
	s_mov_b64 s[46:47], s[38:39]
                                        ; implicit-def: $vgpr4
	s_branch .LBB40_554
.LBB40_439:
	s_mov_b64 s[44:45], -1
                                        ; implicit-def: $vgpr1
.LBB40_440:
	s_mov_b64 s[46:47], 0
.LBB40_441:
	s_and_b64 vcc, exec, s[46:47]
	s_cbranch_vccz .LBB40_445
; %bb.442:
	v_mov_b32_e32 v1, 29
	v_cmp_eq_u16_sdwa s[44:45], v9, v1 src0_sel:BYTE_0 src1_sel:DWORD
	s_and_b64 vcc, exec, s[44:45]
	s_cbranch_vccz .LBB40_444
; %bb.443:
	global_load_dwordx2 v[10:11], v[4:5], off
	s_mov_b64 s[0:1], -1
	s_mov_b64 s[44:45], 0
	s_mov_b64 s[46:47], 0
	s_waitcnt vmcnt(0)
	v_ffbh_u32_e32 v1, v11
	v_min_u32_e32 v1, 32, v1
	v_lshlrev_b64 v[10:11], v1, v[10:11]
	v_min_u32_e32 v3, 1, v10
	v_or_b32_e32 v3, v11, v3
	v_cvt_f32_u32_e32 v3, v3
	v_sub_u32_e32 v1, 32, v1
	v_ldexp_f32 v1, v3, v1
	s_branch .LBB40_446
.LBB40_444:
	s_mov_b64 s[44:45], -1
                                        ; implicit-def: $vgpr1
.LBB40_445:
	s_mov_b64 s[46:47], 0
.LBB40_446:
	s_and_b64 vcc, exec, s[46:47]
	s_cbranch_vccz .LBB40_464
; %bb.447:
	v_mov_b32_e32 v1, 27
	v_cmp_lt_i16_sdwa s[0:1], v9, v1 src0_sel:BYTE_0 src1_sel:DWORD
	s_and_b64 vcc, exec, s[0:1]
	s_cbranch_vccnz .LBB40_450
; %bb.448:
	v_cmp_gt_i16_sdwa s[0:1], v9, v1 src0_sel:BYTE_0 src1_sel:DWORD
	s_and_b64 vcc, exec, s[0:1]
	s_cbranch_vccz .LBB40_451
; %bb.449:
	global_load_dword v1, v[4:5], off
	s_mov_b64 s[0:1], 0
	s_waitcnt vmcnt(0)
	v_cvt_f32_u32_e32 v1, v1
	s_branch .LBB40_452
.LBB40_450:
	s_mov_b64 s[0:1], -1
                                        ; implicit-def: $vgpr1
	s_branch .LBB40_455
.LBB40_451:
	s_mov_b64 s[0:1], -1
                                        ; implicit-def: $vgpr1
.LBB40_452:
	s_andn2_b64 vcc, exec, s[0:1]
	s_cbranch_vccnz .LBB40_454
; %bb.453:
	global_load_ushort v1, v[4:5], off
	s_waitcnt vmcnt(0)
	v_cvt_f32_u32_e32 v1, v1
.LBB40_454:
	s_mov_b64 s[0:1], 0
.LBB40_455:
	s_andn2_b64 vcc, exec, s[0:1]
	s_cbranch_vccnz .LBB40_463
; %bb.456:
	global_load_ubyte v3, v[4:5], off
	s_movk_i32 s0, 0x7f
                                        ; implicit-def: $sgpr52
	s_waitcnt vmcnt(0)
	v_cmp_lt_i16_e32 vcc, s0, v3
	s_mov_b64 s[0:1], 0
	s_and_saveexec_b64 s[46:47], vcc
	s_xor_b64 s[46:47], exec, s[46:47]
	s_cbranch_execz .LBB40_477
; %bb.457:
	s_movk_i32 s0, 0x80
	v_cmp_eq_u16_e32 vcc, s0, v3
	s_mov_b64 s[0:1], -1
                                        ; implicit-def: $sgpr52
	s_and_saveexec_b64 s[48:49], vcc
; %bb.458:
	s_mov_b32 s52, 0x7f800001
	s_xor_b64 s[0:1], exec, -1
; %bb.459:
	s_or_b64 exec, exec, s[48:49]
	s_and_b64 s[0:1], s[0:1], exec
	s_or_saveexec_b64 s[46:47], s[46:47]
	v_mov_b32_e32 v1, s52
	s_xor_b64 exec, exec, s[46:47]
	s_cbranch_execnz .LBB40_478
.LBB40_460:
	s_or_b64 exec, exec, s[46:47]
	s_and_saveexec_b64 s[46:47], s[0:1]
	s_cbranch_execz .LBB40_462
.LBB40_461:
	v_lshlrev_b32_e32 v1, 24, v3
	v_and_b32_e32 v3, 0xffff, v3
	v_and_b32_e32 v10, 7, v3
	v_ffbh_u32_e32 v12, v10
	v_min_u32_e32 v12, 32, v12
	v_subrev_u32_e32 v13, 28, v12
	v_bfe_u32 v11, v3, 3, 4
	v_lshlrev_b32_e32 v3, v13, v3
	v_sub_u32_e32 v12, 29, v12
	v_and_b32_e32 v3, 7, v3
	v_cmp_eq_u32_e32 vcc, 0, v11
	v_cndmask_b32_e32 v11, v11, v12, vcc
	v_cndmask_b32_e32 v3, v10, v3, vcc
	v_mov_b32_e32 v10, 0x3b800000
	v_lshlrev_b32_e32 v3, 20, v3
	v_and_b32_e32 v1, 0x80000000, v1
	v_lshl_add_u32 v10, v11, 23, v10
	v_or3_b32 v1, v1, v10, v3
.LBB40_462:
	s_or_b64 exec, exec, s[46:47]
.LBB40_463:
	s_mov_b64 s[0:1], -1
.LBB40_464:
	s_mov_b64 s[46:47], 0
.LBB40_465:
	s_and_b64 vcc, exec, s[46:47]
	s_cbranch_vccz .LBB40_500
; %bb.466:
	v_mov_b32_e32 v1, 22
	v_cmp_gt_i16_sdwa s[46:47], v9, v1 src0_sel:BYTE_0 src1_sel:DWORD
	s_and_b64 vcc, exec, s[46:47]
	s_cbranch_vccz .LBB40_476
; %bb.467:
	v_mov_b32_e32 v1, 24
	v_cmp_lt_i16_sdwa s[0:1], v9, v1 src0_sel:BYTE_0 src1_sel:DWORD
	s_and_b64 vcc, exec, s[0:1]
	s_cbranch_vccnz .LBB40_479
; %bb.468:
	v_cmp_gt_i16_sdwa s[0:1], v9, v1 src0_sel:BYTE_0 src1_sel:DWORD
	s_and_b64 vcc, exec, s[0:1]
	s_cbranch_vccz .LBB40_480
; %bb.469:
	global_load_ubyte v3, v[4:5], off
	s_movk_i32 s0, 0x7f
                                        ; implicit-def: $sgpr52
	s_waitcnt vmcnt(0)
	v_cmp_lt_i16_e32 vcc, s0, v3
	s_mov_b64 s[0:1], 0
	s_and_saveexec_b64 s[46:47], vcc
	s_xor_b64 s[46:47], exec, s[46:47]
	s_cbranch_execz .LBB40_492
; %bb.470:
	s_movk_i32 s0, 0x80
	v_cmp_eq_u16_e32 vcc, s0, v3
	s_mov_b64 s[0:1], -1
                                        ; implicit-def: $sgpr52
	s_and_saveexec_b64 s[48:49], vcc
; %bb.471:
	s_mov_b32 s52, 0x7f800001
	s_xor_b64 s[0:1], exec, -1
; %bb.472:
	s_or_b64 exec, exec, s[48:49]
	s_and_b64 s[0:1], s[0:1], exec
	s_or_saveexec_b64 s[46:47], s[46:47]
	v_mov_b32_e32 v1, s52
	s_xor_b64 exec, exec, s[46:47]
	s_cbranch_execnz .LBB40_493
.LBB40_473:
	s_or_b64 exec, exec, s[46:47]
	s_and_saveexec_b64 s[46:47], s[0:1]
	s_cbranch_execz .LBB40_475
.LBB40_474:
	v_lshlrev_b32_e32 v1, 24, v3
	v_and_b32_e32 v3, 0xffff, v3
	v_and_b32_e32 v10, 3, v3
	v_ffbh_u32_e32 v12, v10
	v_min_u32_e32 v12, 32, v12
	v_subrev_u32_e32 v13, 29, v12
	v_bfe_u32 v11, v3, 2, 5
	v_lshlrev_b32_e32 v3, v13, v3
	v_sub_u32_e32 v12, 30, v12
	v_and_b32_e32 v3, 3, v3
	v_cmp_eq_u32_e32 vcc, 0, v11
	v_cndmask_b32_e32 v11, v11, v12, vcc
	v_cndmask_b32_e32 v3, v10, v3, vcc
	v_mov_b32_e32 v10, 0x37800000
	v_lshlrev_b32_e32 v3, 21, v3
	v_and_b32_e32 v1, 0x80000000, v1
	v_lshl_add_u32 v10, v11, 23, v10
	v_or3_b32 v1, v1, v10, v3
.LBB40_475:
	s_or_b64 exec, exec, s[46:47]
	s_mov_b64 s[0:1], 0
	s_branch .LBB40_481
.LBB40_476:
	s_mov_b64 s[46:47], -1
                                        ; implicit-def: $vgpr1
	s_branch .LBB40_487
.LBB40_477:
	s_or_saveexec_b64 s[46:47], s[46:47]
	v_mov_b32_e32 v1, s52
	s_xor_b64 exec, exec, s[46:47]
	s_cbranch_execz .LBB40_460
.LBB40_478:
	v_cmp_ne_u16_e32 vcc, 0, v3
	s_andn2_b64 s[0:1], s[0:1], exec
	s_and_b64 s[48:49], vcc, exec
	v_mov_b32_e32 v1, 0
	s_or_b64 s[0:1], s[0:1], s[48:49]
	s_or_b64 exec, exec, s[46:47]
	s_and_saveexec_b64 s[46:47], s[0:1]
	s_cbranch_execnz .LBB40_461
	s_branch .LBB40_462
.LBB40_479:
	s_mov_b64 s[0:1], -1
                                        ; implicit-def: $vgpr1
	s_branch .LBB40_484
.LBB40_480:
	s_mov_b64 s[0:1], -1
                                        ; implicit-def: $vgpr1
.LBB40_481:
	s_and_b64 vcc, exec, s[0:1]
	s_cbranch_vccz .LBB40_483
; %bb.482:
	global_load_ubyte v1, v[4:5], off
	s_mov_b32 s0, 0x7f800000
	s_waitcnt vmcnt(0)
	v_lshlrev_b32_e32 v1, 24, v1
	v_and_b32_e32 v3, 0x7f000000, v1
	v_ffbh_u32_e32 v10, v3
	v_min_u32_e32 v10, 32, v10
	v_sub_u32_e64 v10, v10, 4 clamp
	v_lshlrev_b32_e32 v12, v10, v3
	v_lshlrev_b32_e32 v10, 23, v10
	v_lshrrev_b32_e32 v12, 4, v12
	v_add_u32_e32 v11, 0x1000000, v3
	v_sub_u32_e32 v10, v12, v10
	v_ashrrev_i32_e32 v11, 8, v11
	v_add_u32_e32 v10, 0x3c000000, v10
	v_and_or_b32 v10, v11, s0, v10
	v_cmp_ne_u32_e32 vcc, 0, v3
	v_cndmask_b32_e32 v3, 0, v10, vcc
	s_brev_b32 s0, 1
	v_and_or_b32 v1, v1, s0, v3
.LBB40_483:
	s_mov_b64 s[0:1], 0
.LBB40_484:
	s_andn2_b64 vcc, exec, s[0:1]
	s_cbranch_vccnz .LBB40_486
; %bb.485:
	global_load_ubyte v1, v[4:5], off
	s_movk_i32 s0, 0x7f00
	s_brev_b32 s1, 16
	s_waitcnt vmcnt(0)
	v_lshlrev_b16_e32 v3, 8, v1
	v_lshlrev_b32_e32 v1, 25, v1
	v_lshrrev_b32_e32 v10, 4, v1
	v_and_or_b32 v11, v3, s0, 0.5
	v_or_b32_e32 v10, 0x70000000, v10
	v_add_f32_e32 v11, -0.5, v11
	v_mul_f32_e32 v10, 0x7800000, v10
	v_cmp_gt_u32_e32 vcc, s1, v1
	v_bfe_i32 v3, v3, 0, 16
	v_cndmask_b32_e32 v1, v10, v11, vcc
	s_brev_b32 s0, 1
	v_and_or_b32 v1, v3, s0, v1
.LBB40_486:
	s_mov_b64 s[46:47], 0
	s_mov_b64 s[0:1], -1
.LBB40_487:
	s_andn2_b64 vcc, exec, s[46:47]
	s_cbranch_vccnz .LBB40_500
; %bb.488:
	v_mov_b32_e32 v1, 14
	v_cmp_gt_i16_sdwa s[46:47], v9, v1 src0_sel:BYTE_0 src1_sel:DWORD
	s_and_b64 vcc, exec, s[46:47]
	s_cbranch_vccz .LBB40_491
; %bb.489:
	v_mov_b32_e32 v1, 15
	v_cmp_eq_u16_sdwa s[44:45], v9, v1 src0_sel:BYTE_0 src1_sel:DWORD
	s_and_b64 vcc, exec, s[44:45]
	s_cbranch_vccz .LBB40_494
; %bb.490:
	global_load_ushort v1, v[4:5], off
	s_mov_b64 s[0:1], -1
	s_mov_b64 s[44:45], 0
	s_waitcnt vmcnt(0)
	v_lshlrev_b32_e32 v1, 16, v1
	s_branch .LBB40_495
.LBB40_491:
	s_mov_b64 s[46:47], -1
                                        ; implicit-def: $vgpr1
	s_branch .LBB40_496
.LBB40_492:
	s_or_saveexec_b64 s[46:47], s[46:47]
	v_mov_b32_e32 v1, s52
	s_xor_b64 exec, exec, s[46:47]
	s_cbranch_execz .LBB40_473
.LBB40_493:
	v_cmp_ne_u16_e32 vcc, 0, v3
	s_andn2_b64 s[0:1], s[0:1], exec
	s_and_b64 s[48:49], vcc, exec
	v_mov_b32_e32 v1, 0
	s_or_b64 s[0:1], s[0:1], s[48:49]
	s_or_b64 exec, exec, s[46:47]
	s_and_saveexec_b64 s[46:47], s[0:1]
	s_cbranch_execnz .LBB40_474
	s_branch .LBB40_475
.LBB40_494:
	s_mov_b64 s[44:45], -1
                                        ; implicit-def: $vgpr1
.LBB40_495:
	s_mov_b64 s[46:47], 0
.LBB40_496:
	s_and_b64 vcc, exec, s[46:47]
	s_cbranch_vccz .LBB40_500
; %bb.497:
	v_mov_b32_e32 v1, 11
	v_cmp_eq_u16_sdwa s[44:45], v9, v1 src0_sel:BYTE_0 src1_sel:DWORD
	s_and_b64 vcc, exec, s[44:45]
	s_cbranch_vccz .LBB40_499
; %bb.498:
	global_load_ubyte v1, v[4:5], off
	s_mov_b64 s[0:1], -1
	s_mov_b64 s[44:45], 0
	s_waitcnt vmcnt(0)
	v_cmp_ne_u16_e32 vcc, 0, v1
	v_cndmask_b32_e64 v1, 0, 1.0, vcc
	s_branch .LBB40_500
.LBB40_499:
	s_mov_b64 s[44:45], -1
                                        ; implicit-def: $vgpr1
.LBB40_500:
	s_branch .LBB40_416
.LBB40_501:
	v_mov_b32_e32 v1, 5
	v_cmp_lt_i16_sdwa s[0:1], v9, v1 src0_sel:BYTE_0 src1_sel:DWORD
	s_and_b64 vcc, exec, s[0:1]
	s_cbranch_vccnz .LBB40_506
; %bb.502:
	v_mov_b32_e32 v1, 8
	v_cmp_lt_i16_sdwa s[0:1], v9, v1 src0_sel:BYTE_0 src1_sel:DWORD
	s_and_b64 vcc, exec, s[0:1]
	s_cbranch_vccnz .LBB40_507
; %bb.503:
	;; [unrolled: 5-line block ×3, first 2 shown]
	v_cmp_gt_i16_sdwa s[0:1], v9, v1 src0_sel:BYTE_0 src1_sel:DWORD
	s_and_b64 vcc, exec, s[0:1]
	s_cbranch_vccz .LBB40_509
; %bb.505:
	global_load_dwordx2 v[10:11], v[4:5], off
	s_mov_b64 s[0:1], 0
	s_waitcnt vmcnt(0)
	v_cvt_f32_f64_e32 v1, v[10:11]
	s_branch .LBB40_510
.LBB40_506:
	s_mov_b64 s[0:1], -1
                                        ; implicit-def: $vgpr1
	s_branch .LBB40_528
.LBB40_507:
	s_mov_b64 s[0:1], -1
                                        ; implicit-def: $vgpr1
	s_branch .LBB40_516
.LBB40_508:
	s_mov_b64 s[0:1], -1
                                        ; implicit-def: $vgpr1
	s_branch .LBB40_513
.LBB40_509:
	s_mov_b64 s[0:1], -1
                                        ; implicit-def: $vgpr1
.LBB40_510:
	s_andn2_b64 vcc, exec, s[0:1]
	s_cbranch_vccnz .LBB40_512
; %bb.511:
	global_load_dword v1, v[4:5], off
.LBB40_512:
	s_mov_b64 s[0:1], 0
.LBB40_513:
	s_andn2_b64 vcc, exec, s[0:1]
	s_cbranch_vccnz .LBB40_515
; %bb.514:
	global_load_dword v1, v[4:5], off
	s_waitcnt vmcnt(0)
	v_cvt_f32_f16_e32 v1, v1
.LBB40_515:
	s_mov_b64 s[0:1], 0
.LBB40_516:
	s_andn2_b64 vcc, exec, s[0:1]
	s_cbranch_vccnz .LBB40_527
; %bb.517:
	s_waitcnt vmcnt(0)
	v_mov_b32_e32 v1, 6
	v_cmp_lt_i16_sdwa s[0:1], v9, v1 src0_sel:BYTE_0 src1_sel:DWORD
	s_and_b64 vcc, exec, s[0:1]
	s_cbranch_vccnz .LBB40_520
; %bb.518:
	v_cmp_gt_i16_sdwa s[0:1], v9, v1 src0_sel:BYTE_0 src1_sel:DWORD
	s_and_b64 vcc, exec, s[0:1]
	s_cbranch_vccz .LBB40_521
; %bb.519:
	global_load_dwordx2 v[10:11], v[4:5], off
	s_mov_b64 s[0:1], 0
	s_waitcnt vmcnt(0)
	v_cvt_f32_f64_e32 v1, v[10:11]
	s_branch .LBB40_522
.LBB40_520:
	s_mov_b64 s[0:1], -1
                                        ; implicit-def: $vgpr1
	s_branch .LBB40_525
.LBB40_521:
	s_mov_b64 s[0:1], -1
                                        ; implicit-def: $vgpr1
.LBB40_522:
	s_andn2_b64 vcc, exec, s[0:1]
	s_cbranch_vccnz .LBB40_524
; %bb.523:
	global_load_dword v1, v[4:5], off
.LBB40_524:
	s_mov_b64 s[0:1], 0
.LBB40_525:
	s_andn2_b64 vcc, exec, s[0:1]
	s_cbranch_vccnz .LBB40_527
; %bb.526:
	global_load_ushort v1, v[4:5], off
	s_waitcnt vmcnt(0)
	v_cvt_f32_f16_e32 v1, v1
.LBB40_527:
	s_mov_b64 s[0:1], 0
.LBB40_528:
	s_andn2_b64 vcc, exec, s[0:1]
	s_cbranch_vccnz .LBB40_548
; %bb.529:
	s_waitcnt vmcnt(0)
	v_mov_b32_e32 v1, 2
	v_cmp_lt_i16_sdwa s[0:1], v9, v1 src0_sel:BYTE_0 src1_sel:DWORD
	s_and_b64 vcc, exec, s[0:1]
	s_cbranch_vccnz .LBB40_533
; %bb.530:
	v_mov_b32_e32 v1, 3
	v_cmp_lt_i16_sdwa s[0:1], v9, v1 src0_sel:BYTE_0 src1_sel:DWORD
	s_and_b64 vcc, exec, s[0:1]
	s_cbranch_vccnz .LBB40_534
; %bb.531:
	v_cmp_gt_i16_sdwa s[0:1], v9, v1 src0_sel:BYTE_0 src1_sel:DWORD
	s_and_b64 vcc, exec, s[0:1]
	s_cbranch_vccz .LBB40_535
; %bb.532:
	global_load_dwordx2 v[10:11], v[4:5], off
	s_mov_b64 s[0:1], 0
	s_waitcnt vmcnt(0)
	v_xor_b32_e32 v3, v10, v11
	v_ffbh_i32_e32 v1, v11
	v_ashrrev_i32_e32 v3, 31, v3
	v_add_u32_e32 v1, -1, v1
	v_add_u32_e32 v3, 32, v3
	v_min_u32_e32 v1, v1, v3
	v_lshlrev_b64 v[10:11], v1, v[10:11]
	v_min_u32_e32 v3, 1, v10
	v_or_b32_e32 v3, v11, v3
	v_cvt_f32_i32_e32 v3, v3
	v_sub_u32_e32 v1, 32, v1
	v_ldexp_f32 v1, v3, v1
	s_branch .LBB40_536
.LBB40_533:
	s_mov_b64 s[0:1], -1
                                        ; implicit-def: $vgpr1
	s_branch .LBB40_542
.LBB40_534:
	s_mov_b64 s[0:1], -1
                                        ; implicit-def: $vgpr1
	s_branch .LBB40_539
.LBB40_535:
	s_mov_b64 s[0:1], -1
                                        ; implicit-def: $vgpr1
.LBB40_536:
	s_andn2_b64 vcc, exec, s[0:1]
	s_cbranch_vccnz .LBB40_538
; %bb.537:
	global_load_dword v1, v[4:5], off
	s_waitcnt vmcnt(0)
	v_cvt_f32_i32_e32 v1, v1
.LBB40_538:
	s_mov_b64 s[0:1], 0
.LBB40_539:
	s_andn2_b64 vcc, exec, s[0:1]
	s_cbranch_vccnz .LBB40_541
; %bb.540:
	global_load_sshort v1, v[4:5], off
	s_waitcnt vmcnt(0)
	v_cvt_f32_i32_e32 v1, v1
.LBB40_541:
	s_mov_b64 s[0:1], 0
.LBB40_542:
	s_andn2_b64 vcc, exec, s[0:1]
	s_cbranch_vccnz .LBB40_548
; %bb.543:
	v_mov_b32_e32 v1, 0
	v_cmp_gt_i16_sdwa s[0:1], v9, v1 src0_sel:BYTE_0 src1_sel:DWORD
	s_and_b64 vcc, exec, s[0:1]
	s_cbranch_vccz .LBB40_545
; %bb.544:
	global_load_sbyte v1, v[4:5], off
	s_mov_b64 s[0:1], 0
	s_waitcnt vmcnt(0)
	v_cvt_f32_i32_e32 v1, v1
	s_branch .LBB40_546
.LBB40_545:
	s_mov_b64 s[0:1], -1
                                        ; implicit-def: $vgpr1
.LBB40_546:
	s_andn2_b64 vcc, exec, s[0:1]
	s_cbranch_vccnz .LBB40_548
; %bb.547:
	global_load_ubyte v1, v[4:5], off
	s_waitcnt vmcnt(0)
	v_cvt_f32_ubyte0_e32 v1, v1
.LBB40_548:
	s_branch .LBB40_417
.LBB40_549:
	s_mov_b64 s[52:53], 0
	s_mov_b64 s[0:1], s[36:37]
	;; [unrolled: 1-line block ×3, first 2 shown]
.LBB40_550:
                                        ; implicit-def: $vgpr8
	s_branch .LBB40_792
.LBB40_551:
	s_or_saveexec_b64 s[48:49], s[48:49]
                                        ; implicit-def: $sgpr50
	s_xor_b64 exec, exec, s[48:49]
	s_cbranch_execz .LBB40_203
.LBB40_552:
	s_mov_b32 s50, 0x42800000
	v_add_f32_e64 v3, |v2|, s50
	v_and_b32_e32 v3, 0xff, v3
	v_cmp_ne_u32_e32 vcc, 0, v3
	s_andn2_b64 s[44:45], s[44:45], exec
	s_and_b64 s[52:53], vcc, exec
	s_mov_b32 s50, 0
	s_or_b64 s[44:45], s[44:45], s[52:53]
	s_or_b64 exec, exec, s[48:49]
	v_mov_b32_e32 v4, s50
	s_and_saveexec_b64 s[48:49], s[44:45]
	s_cbranch_execnz .LBB40_204
	s_branch .LBB40_205
.LBB40_553:
	s_mov_b64 s[46:47], -1
                                        ; implicit-def: $vgpr4
	s_mov_b64 s[0:1], 0
.LBB40_554:
	s_and_b64 vcc, exec, s[48:49]
	s_cbranch_vccz .LBB40_558
; %bb.555:
	v_mov_b32_e32 v4, 44
	v_cmp_eq_u16_sdwa s[46:47], v7, v4 src0_sel:BYTE_0 src1_sel:DWORD
	s_and_b64 vcc, exec, s[46:47]
	s_cbranch_vccz .LBB40_557
; %bb.556:
	global_load_ubyte v4, v[2:3], off
	s_movk_i32 s46, 0xff
	v_mov_b32_e32 v5, 0x7f800001
	v_mov_b32_e32 v10, 0x400000
	s_mov_b64 s[0:1], -1
	s_waitcnt vmcnt(0)
	v_lshlrev_b32_e32 v11, 23, v4
	v_cmp_ne_u32_e32 vcc, s46, v4
	v_cndmask_b32_e32 v5, v5, v11, vcc
	v_cmp_ne_u32_e32 vcc, 0, v4
	v_cndmask_b32_e32 v4, v10, v5, vcc
	s_mov_b64 s[46:47], 0
	s_branch .LBB40_558
.LBB40_557:
	s_mov_b64 s[46:47], -1
                                        ; implicit-def: $vgpr4
.LBB40_558:
	s_mov_b64 s[48:49], 0
.LBB40_559:
	s_and_b64 vcc, exec, s[48:49]
	s_cbranch_vccz .LBB40_563
; %bb.560:
	v_mov_b32_e32 v4, 29
	v_cmp_eq_u16_sdwa s[46:47], v7, v4 src0_sel:BYTE_0 src1_sel:DWORD
	s_and_b64 vcc, exec, s[46:47]
	s_cbranch_vccz .LBB40_562
; %bb.561:
	global_load_dwordx2 v[4:5], v[2:3], off
	s_mov_b64 s[0:1], -1
	s_mov_b64 s[46:47], 0
	s_mov_b64 s[48:49], 0
	s_waitcnt vmcnt(0)
	v_ffbh_u32_e32 v10, v5
	v_min_u32_e32 v10, 32, v10
	v_lshlrev_b64 v[4:5], v10, v[4:5]
	v_min_u32_e32 v4, 1, v4
	v_or_b32_e32 v4, v5, v4
	v_cvt_f32_u32_e32 v4, v4
	v_sub_u32_e32 v5, 32, v10
	v_ldexp_f32 v4, v4, v5
	s_branch .LBB40_564
.LBB40_562:
	s_mov_b64 s[46:47], -1
                                        ; implicit-def: $vgpr4
.LBB40_563:
	s_mov_b64 s[48:49], 0
.LBB40_564:
	s_and_b64 vcc, exec, s[48:49]
	s_cbranch_vccz .LBB40_582
; %bb.565:
	v_mov_b32_e32 v4, 27
	v_cmp_lt_i16_sdwa s[0:1], v7, v4 src0_sel:BYTE_0 src1_sel:DWORD
	s_and_b64 vcc, exec, s[0:1]
	s_cbranch_vccnz .LBB40_568
; %bb.566:
	v_cmp_gt_i16_sdwa s[0:1], v7, v4 src0_sel:BYTE_0 src1_sel:DWORD
	s_and_b64 vcc, exec, s[0:1]
	s_cbranch_vccz .LBB40_569
; %bb.567:
	global_load_dword v4, v[2:3], off
	s_mov_b64 s[0:1], 0
	s_waitcnt vmcnt(0)
	v_cvt_f32_u32_e32 v4, v4
	s_branch .LBB40_570
.LBB40_568:
	s_mov_b64 s[0:1], -1
                                        ; implicit-def: $vgpr4
	s_branch .LBB40_573
.LBB40_569:
	s_mov_b64 s[0:1], -1
                                        ; implicit-def: $vgpr4
.LBB40_570:
	s_andn2_b64 vcc, exec, s[0:1]
	s_cbranch_vccnz .LBB40_572
; %bb.571:
	global_load_ushort v4, v[2:3], off
	s_waitcnt vmcnt(0)
	v_cvt_f32_u32_e32 v4, v4
.LBB40_572:
	s_mov_b64 s[0:1], 0
.LBB40_573:
	s_andn2_b64 vcc, exec, s[0:1]
	s_cbranch_vccnz .LBB40_581
; %bb.574:
	global_load_ubyte v5, v[2:3], off
	s_movk_i32 s0, 0x7f
                                        ; implicit-def: $sgpr54
	s_waitcnt vmcnt(0)
	v_cmp_lt_i16_e32 vcc, s0, v5
	s_mov_b64 s[0:1], 0
	s_and_saveexec_b64 s[48:49], vcc
	s_xor_b64 s[48:49], exec, s[48:49]
	s_cbranch_execz .LBB40_595
; %bb.575:
	s_movk_i32 s0, 0x80
	v_cmp_eq_u16_e32 vcc, s0, v5
	s_mov_b64 s[0:1], -1
                                        ; implicit-def: $sgpr54
	s_and_saveexec_b64 s[52:53], vcc
; %bb.576:
	s_mov_b32 s54, 0x7f800001
	s_xor_b64 s[0:1], exec, -1
; %bb.577:
	s_or_b64 exec, exec, s[52:53]
	s_and_b64 s[0:1], s[0:1], exec
	s_or_saveexec_b64 s[48:49], s[48:49]
	v_mov_b32_e32 v4, s54
	s_xor_b64 exec, exec, s[48:49]
	s_cbranch_execnz .LBB40_596
.LBB40_578:
	s_or_b64 exec, exec, s[48:49]
	s_and_saveexec_b64 s[48:49], s[0:1]
	s_cbranch_execz .LBB40_580
.LBB40_579:
	v_lshlrev_b32_e32 v4, 24, v5
	v_and_b32_e32 v5, 0xffff, v5
	v_and_b32_e32 v10, 7, v5
	v_ffbh_u32_e32 v12, v10
	v_min_u32_e32 v12, 32, v12
	v_subrev_u32_e32 v13, 28, v12
	v_bfe_u32 v11, v5, 3, 4
	v_lshlrev_b32_e32 v5, v13, v5
	v_sub_u32_e32 v12, 29, v12
	v_and_b32_e32 v5, 7, v5
	v_cmp_eq_u32_e32 vcc, 0, v11
	v_cndmask_b32_e32 v11, v11, v12, vcc
	v_cndmask_b32_e32 v5, v10, v5, vcc
	v_mov_b32_e32 v10, 0x3b800000
	v_lshlrev_b32_e32 v5, 20, v5
	v_and_b32_e32 v4, 0x80000000, v4
	v_lshl_add_u32 v10, v11, 23, v10
	v_or3_b32 v4, v4, v10, v5
.LBB40_580:
	s_or_b64 exec, exec, s[48:49]
.LBB40_581:
	s_mov_b64 s[0:1], -1
.LBB40_582:
	s_mov_b64 s[48:49], 0
.LBB40_583:
	s_and_b64 vcc, exec, s[48:49]
	s_cbranch_vccz .LBB40_618
; %bb.584:
	v_mov_b32_e32 v4, 22
	v_cmp_gt_i16_sdwa s[48:49], v7, v4 src0_sel:BYTE_0 src1_sel:DWORD
	s_and_b64 vcc, exec, s[48:49]
	s_cbranch_vccz .LBB40_594
; %bb.585:
	v_mov_b32_e32 v4, 24
	v_cmp_lt_i16_sdwa s[0:1], v7, v4 src0_sel:BYTE_0 src1_sel:DWORD
	s_and_b64 vcc, exec, s[0:1]
	s_cbranch_vccnz .LBB40_597
; %bb.586:
	v_cmp_gt_i16_sdwa s[0:1], v7, v4 src0_sel:BYTE_0 src1_sel:DWORD
	s_and_b64 vcc, exec, s[0:1]
	s_cbranch_vccz .LBB40_598
; %bb.587:
	global_load_ubyte v5, v[2:3], off
	s_movk_i32 s0, 0x7f
                                        ; implicit-def: $sgpr54
	s_waitcnt vmcnt(0)
	v_cmp_lt_i16_e32 vcc, s0, v5
	s_mov_b64 s[0:1], 0
	s_and_saveexec_b64 s[48:49], vcc
	s_xor_b64 s[48:49], exec, s[48:49]
	s_cbranch_execz .LBB40_610
; %bb.588:
	s_movk_i32 s0, 0x80
	v_cmp_eq_u16_e32 vcc, s0, v5
	s_mov_b64 s[0:1], -1
                                        ; implicit-def: $sgpr54
	s_and_saveexec_b64 s[52:53], vcc
; %bb.589:
	s_mov_b32 s54, 0x7f800001
	s_xor_b64 s[0:1], exec, -1
; %bb.590:
	s_or_b64 exec, exec, s[52:53]
	s_and_b64 s[0:1], s[0:1], exec
	s_or_saveexec_b64 s[48:49], s[48:49]
	v_mov_b32_e32 v4, s54
	s_xor_b64 exec, exec, s[48:49]
	s_cbranch_execnz .LBB40_611
.LBB40_591:
	s_or_b64 exec, exec, s[48:49]
	s_and_saveexec_b64 s[48:49], s[0:1]
	s_cbranch_execz .LBB40_593
.LBB40_592:
	v_lshlrev_b32_e32 v4, 24, v5
	v_and_b32_e32 v5, 0xffff, v5
	v_and_b32_e32 v10, 3, v5
	v_ffbh_u32_e32 v12, v10
	v_min_u32_e32 v12, 32, v12
	v_subrev_u32_e32 v13, 29, v12
	v_bfe_u32 v11, v5, 2, 5
	v_lshlrev_b32_e32 v5, v13, v5
	v_sub_u32_e32 v12, 30, v12
	v_and_b32_e32 v5, 3, v5
	v_cmp_eq_u32_e32 vcc, 0, v11
	v_cndmask_b32_e32 v11, v11, v12, vcc
	v_cndmask_b32_e32 v5, v10, v5, vcc
	v_mov_b32_e32 v10, 0x37800000
	v_lshlrev_b32_e32 v5, 21, v5
	v_and_b32_e32 v4, 0x80000000, v4
	v_lshl_add_u32 v10, v11, 23, v10
	v_or3_b32 v4, v4, v10, v5
.LBB40_593:
	s_or_b64 exec, exec, s[48:49]
	s_mov_b64 s[0:1], 0
	s_branch .LBB40_599
.LBB40_594:
	s_mov_b64 s[48:49], -1
                                        ; implicit-def: $vgpr4
	s_branch .LBB40_605
.LBB40_595:
	s_or_saveexec_b64 s[48:49], s[48:49]
	v_mov_b32_e32 v4, s54
	s_xor_b64 exec, exec, s[48:49]
	s_cbranch_execz .LBB40_578
.LBB40_596:
	v_cmp_ne_u16_e32 vcc, 0, v5
	s_andn2_b64 s[0:1], s[0:1], exec
	s_and_b64 s[52:53], vcc, exec
	v_mov_b32_e32 v4, 0
	s_or_b64 s[0:1], s[0:1], s[52:53]
	s_or_b64 exec, exec, s[48:49]
	s_and_saveexec_b64 s[48:49], s[0:1]
	s_cbranch_execnz .LBB40_579
	s_branch .LBB40_580
.LBB40_597:
	s_mov_b64 s[0:1], -1
                                        ; implicit-def: $vgpr4
	s_branch .LBB40_602
.LBB40_598:
	s_mov_b64 s[0:1], -1
                                        ; implicit-def: $vgpr4
.LBB40_599:
	s_and_b64 vcc, exec, s[0:1]
	s_cbranch_vccz .LBB40_601
; %bb.600:
	global_load_ubyte v4, v[2:3], off
	s_mov_b32 s0, 0x7f800000
	s_waitcnt vmcnt(0)
	v_lshlrev_b32_e32 v4, 24, v4
	v_and_b32_e32 v5, 0x7f000000, v4
	v_ffbh_u32_e32 v10, v5
	v_min_u32_e32 v10, 32, v10
	v_sub_u32_e64 v10, v10, 4 clamp
	v_lshlrev_b32_e32 v12, v10, v5
	v_lshlrev_b32_e32 v10, 23, v10
	v_lshrrev_b32_e32 v12, 4, v12
	v_add_u32_e32 v11, 0x1000000, v5
	v_sub_u32_e32 v10, v12, v10
	v_ashrrev_i32_e32 v11, 8, v11
	v_add_u32_e32 v10, 0x3c000000, v10
	v_and_or_b32 v10, v11, s0, v10
	v_cmp_ne_u32_e32 vcc, 0, v5
	v_cndmask_b32_e32 v5, 0, v10, vcc
	s_brev_b32 s0, 1
	v_and_or_b32 v4, v4, s0, v5
.LBB40_601:
	s_mov_b64 s[0:1], 0
.LBB40_602:
	s_andn2_b64 vcc, exec, s[0:1]
	s_cbranch_vccnz .LBB40_604
; %bb.603:
	global_load_ubyte v4, v[2:3], off
	s_movk_i32 s0, 0x7f00
	s_brev_b32 s1, 16
	s_waitcnt vmcnt(0)
	v_lshlrev_b16_e32 v5, 8, v4
	v_lshlrev_b32_e32 v4, 25, v4
	v_lshrrev_b32_e32 v10, 4, v4
	v_and_or_b32 v11, v5, s0, 0.5
	v_or_b32_e32 v10, 0x70000000, v10
	v_add_f32_e32 v11, -0.5, v11
	v_mul_f32_e32 v10, 0x7800000, v10
	v_cmp_gt_u32_e32 vcc, s1, v4
	v_bfe_i32 v5, v5, 0, 16
	v_cndmask_b32_e32 v4, v10, v11, vcc
	s_brev_b32 s0, 1
	v_and_or_b32 v4, v5, s0, v4
.LBB40_604:
	s_mov_b64 s[48:49], 0
	s_mov_b64 s[0:1], -1
.LBB40_605:
	s_andn2_b64 vcc, exec, s[48:49]
	s_cbranch_vccnz .LBB40_618
; %bb.606:
	v_mov_b32_e32 v4, 14
	v_cmp_gt_i16_sdwa s[48:49], v7, v4 src0_sel:BYTE_0 src1_sel:DWORD
	s_and_b64 vcc, exec, s[48:49]
	s_cbranch_vccz .LBB40_609
; %bb.607:
	v_mov_b32_e32 v4, 15
	v_cmp_eq_u16_sdwa s[46:47], v7, v4 src0_sel:BYTE_0 src1_sel:DWORD
	s_and_b64 vcc, exec, s[46:47]
	s_cbranch_vccz .LBB40_612
; %bb.608:
	global_load_ushort v4, v[2:3], off
	s_mov_b64 s[0:1], -1
	s_mov_b64 s[46:47], 0
	s_waitcnt vmcnt(0)
	v_lshlrev_b32_e32 v4, 16, v4
	s_branch .LBB40_613
.LBB40_609:
	s_mov_b64 s[48:49], -1
                                        ; implicit-def: $vgpr4
	s_branch .LBB40_614
.LBB40_610:
	s_or_saveexec_b64 s[48:49], s[48:49]
	v_mov_b32_e32 v4, s54
	s_xor_b64 exec, exec, s[48:49]
	s_cbranch_execz .LBB40_591
.LBB40_611:
	v_cmp_ne_u16_e32 vcc, 0, v5
	s_andn2_b64 s[0:1], s[0:1], exec
	s_and_b64 s[52:53], vcc, exec
	v_mov_b32_e32 v4, 0
	s_or_b64 s[0:1], s[0:1], s[52:53]
	s_or_b64 exec, exec, s[48:49]
	s_and_saveexec_b64 s[48:49], s[0:1]
	s_cbranch_execnz .LBB40_592
	s_branch .LBB40_593
.LBB40_612:
	s_mov_b64 s[46:47], -1
                                        ; implicit-def: $vgpr4
.LBB40_613:
	s_mov_b64 s[48:49], 0
.LBB40_614:
	s_and_b64 vcc, exec, s[48:49]
	s_cbranch_vccz .LBB40_618
; %bb.615:
	v_mov_b32_e32 v4, 11
	v_cmp_eq_u16_sdwa s[46:47], v7, v4 src0_sel:BYTE_0 src1_sel:DWORD
	s_and_b64 vcc, exec, s[46:47]
	s_cbranch_vccz .LBB40_617
; %bb.616:
	global_load_ubyte v4, v[2:3], off
	s_mov_b64 s[0:1], -1
	s_mov_b64 s[46:47], 0
	s_waitcnt vmcnt(0)
	v_cmp_ne_u16_e32 vcc, 0, v4
	v_cndmask_b32_e64 v4, 0, 1.0, vcc
	s_branch .LBB40_618
.LBB40_617:
	s_mov_b64 s[46:47], -1
                                        ; implicit-def: $vgpr4
.LBB40_618:
	s_mov_b64 s[48:49], 0
.LBB40_619:
	s_and_b64 vcc, exec, s[48:49]
	s_cbranch_vccz .LBB40_668
; %bb.620:
	v_mov_b32_e32 v4, 5
	v_cmp_lt_i16_sdwa s[0:1], v7, v4 src0_sel:BYTE_0 src1_sel:DWORD
	s_and_b64 vcc, exec, s[0:1]
	s_cbranch_vccnz .LBB40_625
; %bb.621:
	v_mov_b32_e32 v4, 8
	v_cmp_lt_i16_sdwa s[0:1], v7, v4 src0_sel:BYTE_0 src1_sel:DWORD
	s_and_b64 vcc, exec, s[0:1]
	s_cbranch_vccnz .LBB40_626
	;; [unrolled: 5-line block ×3, first 2 shown]
; %bb.623:
	v_cmp_gt_i16_sdwa s[0:1], v7, v4 src0_sel:BYTE_0 src1_sel:DWORD
	s_and_b64 vcc, exec, s[0:1]
	s_cbranch_vccz .LBB40_628
; %bb.624:
	global_load_dwordx2 v[4:5], v[2:3], off
	s_mov_b64 s[0:1], 0
	s_waitcnt vmcnt(0)
	v_cvt_f32_f64_e32 v4, v[4:5]
	s_branch .LBB40_629
.LBB40_625:
	s_mov_b64 s[0:1], -1
                                        ; implicit-def: $vgpr4
	s_branch .LBB40_647
.LBB40_626:
	s_mov_b64 s[0:1], -1
                                        ; implicit-def: $vgpr4
	s_branch .LBB40_635
.LBB40_627:
	s_mov_b64 s[0:1], -1
                                        ; implicit-def: $vgpr4
	s_branch .LBB40_632
.LBB40_628:
	s_mov_b64 s[0:1], -1
                                        ; implicit-def: $vgpr4
.LBB40_629:
	s_andn2_b64 vcc, exec, s[0:1]
	s_cbranch_vccnz .LBB40_631
; %bb.630:
	global_load_dword v4, v[2:3], off
.LBB40_631:
	s_mov_b64 s[0:1], 0
.LBB40_632:
	s_andn2_b64 vcc, exec, s[0:1]
	s_cbranch_vccnz .LBB40_634
; %bb.633:
	global_load_dword v4, v[2:3], off
	s_waitcnt vmcnt(0)
	v_cvt_f32_f16_e32 v4, v4
.LBB40_634:
	s_mov_b64 s[0:1], 0
.LBB40_635:
	s_andn2_b64 vcc, exec, s[0:1]
	s_cbranch_vccnz .LBB40_646
; %bb.636:
	s_waitcnt vmcnt(0)
	v_mov_b32_e32 v4, 6
	v_cmp_lt_i16_sdwa s[0:1], v7, v4 src0_sel:BYTE_0 src1_sel:DWORD
	s_and_b64 vcc, exec, s[0:1]
	s_cbranch_vccnz .LBB40_639
; %bb.637:
	v_cmp_gt_i16_sdwa s[0:1], v7, v4 src0_sel:BYTE_0 src1_sel:DWORD
	s_and_b64 vcc, exec, s[0:1]
	s_cbranch_vccz .LBB40_640
; %bb.638:
	global_load_dwordx2 v[4:5], v[2:3], off
	s_mov_b64 s[0:1], 0
	s_waitcnt vmcnt(0)
	v_cvt_f32_f64_e32 v4, v[4:5]
	s_branch .LBB40_641
.LBB40_639:
	s_mov_b64 s[0:1], -1
                                        ; implicit-def: $vgpr4
	s_branch .LBB40_644
.LBB40_640:
	s_mov_b64 s[0:1], -1
                                        ; implicit-def: $vgpr4
.LBB40_641:
	s_andn2_b64 vcc, exec, s[0:1]
	s_cbranch_vccnz .LBB40_643
; %bb.642:
	global_load_dword v4, v[2:3], off
.LBB40_643:
	s_mov_b64 s[0:1], 0
.LBB40_644:
	s_andn2_b64 vcc, exec, s[0:1]
	s_cbranch_vccnz .LBB40_646
; %bb.645:
	global_load_ushort v4, v[2:3], off
	s_waitcnt vmcnt(0)
	v_cvt_f32_f16_e32 v4, v4
.LBB40_646:
	s_mov_b64 s[0:1], 0
.LBB40_647:
	s_andn2_b64 vcc, exec, s[0:1]
	s_cbranch_vccnz .LBB40_667
; %bb.648:
	s_waitcnt vmcnt(0)
	v_mov_b32_e32 v4, 2
	v_cmp_lt_i16_sdwa s[0:1], v7, v4 src0_sel:BYTE_0 src1_sel:DWORD
	s_and_b64 vcc, exec, s[0:1]
	s_cbranch_vccnz .LBB40_652
; %bb.649:
	v_mov_b32_e32 v4, 3
	v_cmp_lt_i16_sdwa s[0:1], v7, v4 src0_sel:BYTE_0 src1_sel:DWORD
	s_and_b64 vcc, exec, s[0:1]
	s_cbranch_vccnz .LBB40_653
; %bb.650:
	v_cmp_gt_i16_sdwa s[0:1], v7, v4 src0_sel:BYTE_0 src1_sel:DWORD
	s_and_b64 vcc, exec, s[0:1]
	s_cbranch_vccz .LBB40_654
; %bb.651:
	global_load_dwordx2 v[4:5], v[2:3], off
	s_mov_b64 s[0:1], 0
	s_waitcnt vmcnt(0)
	v_xor_b32_e32 v11, v4, v5
	v_ffbh_i32_e32 v10, v5
	v_ashrrev_i32_e32 v11, 31, v11
	v_add_u32_e32 v10, -1, v10
	v_add_u32_e32 v11, 32, v11
	v_min_u32_e32 v10, v10, v11
	v_lshlrev_b64 v[4:5], v10, v[4:5]
	v_min_u32_e32 v4, 1, v4
	v_or_b32_e32 v4, v5, v4
	v_cvt_f32_i32_e32 v4, v4
	v_sub_u32_e32 v5, 32, v10
	v_ldexp_f32 v4, v4, v5
	s_branch .LBB40_655
.LBB40_652:
	s_mov_b64 s[0:1], -1
                                        ; implicit-def: $vgpr4
	s_branch .LBB40_661
.LBB40_653:
	s_mov_b64 s[0:1], -1
                                        ; implicit-def: $vgpr4
	s_branch .LBB40_658
.LBB40_654:
	s_mov_b64 s[0:1], -1
                                        ; implicit-def: $vgpr4
.LBB40_655:
	s_andn2_b64 vcc, exec, s[0:1]
	s_cbranch_vccnz .LBB40_657
; %bb.656:
	global_load_dword v4, v[2:3], off
	s_waitcnt vmcnt(0)
	v_cvt_f32_i32_e32 v4, v4
.LBB40_657:
	s_mov_b64 s[0:1], 0
.LBB40_658:
	s_andn2_b64 vcc, exec, s[0:1]
	s_cbranch_vccnz .LBB40_660
; %bb.659:
	global_load_sshort v4, v[2:3], off
	s_waitcnt vmcnt(0)
	v_cvt_f32_i32_e32 v4, v4
.LBB40_660:
	s_mov_b64 s[0:1], 0
.LBB40_661:
	s_andn2_b64 vcc, exec, s[0:1]
	s_cbranch_vccnz .LBB40_667
; %bb.662:
	v_mov_b32_e32 v4, 0
	v_cmp_gt_i16_sdwa s[0:1], v7, v4 src0_sel:BYTE_0 src1_sel:DWORD
	s_and_b64 vcc, exec, s[0:1]
	s_cbranch_vccz .LBB40_664
; %bb.663:
	global_load_sbyte v4, v[2:3], off
	s_mov_b64 s[0:1], 0
	s_waitcnt vmcnt(0)
	v_cvt_f32_i32_e32 v4, v4
	s_branch .LBB40_665
.LBB40_664:
	s_mov_b64 s[0:1], -1
                                        ; implicit-def: $vgpr4
.LBB40_665:
	s_andn2_b64 vcc, exec, s[0:1]
	s_cbranch_vccnz .LBB40_667
; %bb.666:
	global_load_ubyte v2, v[2:3], off
	s_waitcnt vmcnt(0)
	v_cvt_f32_ubyte0_e32 v4, v2
.LBB40_667:
	s_mov_b64 s[0:1], -1
.LBB40_668:
	s_andn2_b64 vcc, exec, s[0:1]
	s_cbranch_vccnz .LBB40_676
; %bb.669:
	s_waitcnt vmcnt(0)
	v_mul_f32_e32 v2, v1, v4
	v_cmp_lt_f32_e32 vcc, 0, v1
	v_cndmask_b32_e32 v2, v2, v1, vcc
	v_mov_b32_e32 v1, s9
	v_add_co_u32_e32 v0, vcc, s8, v0
	v_mov_b32_e32 v3, 11
	v_addc_co_u32_e32 v1, vcc, 0, v1, vcc
	v_cmp_lt_i16_sdwa s[0:1], v6, v3 src0_sel:BYTE_0 src1_sel:DWORD
	s_and_b64 vcc, exec, s[0:1]
	s_cbranch_vccnz .LBB40_677
; %bb.670:
	v_mov_b32_e32 v3, 25
	v_cmp_gt_i16_sdwa s[0:1], v6, v3 src0_sel:BYTE_0 src1_sel:DWORD
	s_and_b64 vcc, exec, s[0:1]
	s_cbranch_vccz .LBB40_678
; %bb.671:
	v_mov_b32_e32 v3, 28
	v_cmp_gt_i16_sdwa s[0:1], v6, v3 src0_sel:BYTE_0 src1_sel:DWORD
	s_and_b64 vcc, exec, s[0:1]
	s_cbranch_vccz .LBB40_679
	;; [unrolled: 5-line block ×4, first 2 shown]
; %bb.674:
	v_mov_b32_e32 v3, 46
	v_cmp_eq_u16_sdwa s[48:49], v6, v3 src0_sel:BYTE_0 src1_sel:DWORD
	s_mov_b64 s[52:53], 0
	s_mov_b64 s[0:1], -1
	s_and_b64 vcc, exec, s[48:49]
	s_mov_b64 s[48:49], 0
	s_cbranch_vccz .LBB40_682
; %bb.675:
	v_bfe_u32 v3, v2, 16, 1
	s_movk_i32 s0, 0x7fff
	v_add3_u32 v3, v2, v3, s0
	v_lshrrev_b32_e32 v3, 16, v3
	v_mov_b32_e32 v4, 0x7fc0
	v_cmp_o_f32_e32 vcc, v2, v2
	v_cndmask_b32_e32 v3, v4, v3, vcc
	global_store_dword v[0:1], v3, off
	s_mov_b64 s[48:49], -1
	s_mov_b64 s[0:1], 0
	s_branch .LBB40_682
.LBB40_676:
	s_mov_b64 s[52:53], 0
                                        ; implicit-def: $vgpr8
	s_mov_b64 s[0:1], s[36:37]
	s_branch .LBB40_792
.LBB40_677:
	s_mov_b64 s[52:53], -1
	s_mov_b64 s[48:49], 0
	s_mov_b64 s[0:1], s[36:37]
	s_branch .LBB40_751
.LBB40_678:
	s_mov_b64 s[52:53], -1
	s_mov_b64 s[48:49], 0
	s_mov_b64 s[0:1], s[36:37]
	s_branch .LBB40_709
.LBB40_679:
	s_mov_b64 s[52:53], -1
	s_mov_b64 s[48:49], 0
	s_mov_b64 s[0:1], s[36:37]
	s_branch .LBB40_692
.LBB40_680:
	s_mov_b64 s[52:53], -1
	s_mov_b64 s[48:49], 0
	s_mov_b64 s[0:1], s[36:37]
	s_branch .LBB40_688
.LBB40_681:
	s_mov_b64 s[52:53], -1
	s_mov_b64 s[48:49], 0
	s_mov_b64 s[0:1], s[36:37]
.LBB40_682:
	s_and_b64 vcc, exec, s[52:53]
	s_cbranch_vccz .LBB40_687
; %bb.683:
	v_mov_b32_e32 v3, 44
	v_cmp_eq_u16_sdwa s[52:53], v6, v3 src0_sel:BYTE_0 src1_sel:DWORD
	s_mov_b64 s[0:1], -1
	s_and_b64 vcc, exec, s[52:53]
	s_cbranch_vccz .LBB40_687
; %bb.684:
	v_bfe_u32 v3, v2, 23, 8
	s_movk_i32 s0, 0xff
	v_cmp_ne_u32_e32 vcc, s0, v3
	v_mov_b32_e32 v4, 0xff
	s_and_saveexec_b64 s[48:49], vcc
; %bb.685:
	s_mov_b32 s0, 0x3fffff
	v_and_b32_e32 v5, 0x400000, v2
	v_and_or_b32 v3, v2, s0, v3
	v_cmp_ne_u32_e32 vcc, 0, v5
	v_cmp_ne_u32_e64 s[0:1], 0, v3
	s_and_b64 s[0:1], vcc, s[0:1]
	v_lshrrev_b32_e32 v4, 23, v2
	v_cndmask_b32_e64 v3, 0, 1, s[0:1]
	v_add_u32_e32 v4, v4, v3
; %bb.686:
	s_or_b64 exec, exec, s[48:49]
	s_mov_b64 s[48:49], -1
	s_mov_b64 s[0:1], 0
	global_store_byte v[0:1], v4, off
.LBB40_687:
	s_mov_b64 s[52:53], 0
.LBB40_688:
	s_and_b64 vcc, exec, s[52:53]
	s_cbranch_vccz .LBB40_691
; %bb.689:
	v_mov_b32_e32 v3, 29
	v_cmp_eq_u16_sdwa s[52:53], v6, v3 src0_sel:BYTE_0 src1_sel:DWORD
	s_mov_b64 s[0:1], -1
	s_and_b64 vcc, exec, s[52:53]
	s_cbranch_vccz .LBB40_691
; %bb.690:
	v_trunc_f32_e32 v3, v2
	v_mul_f32_e32 v4, 0x2f800000, v3
	v_floor_f32_e32 v4, v4
	v_fmac_f32_e32 v3, 0xcf800000, v4
	v_cvt_u32_f32_e32 v5, v4
	v_cvt_u32_f32_e32 v4, v3
	s_mov_b64 s[48:49], -1
	s_mov_b64 s[0:1], 0
	s_mov_b64 s[52:53], 0
	global_store_dwordx2 v[0:1], v[4:5], off
	s_branch .LBB40_692
.LBB40_691:
	s_mov_b64 s[52:53], 0
.LBB40_692:
	s_and_b64 vcc, exec, s[52:53]
	s_cbranch_vccz .LBB40_708
; %bb.693:
	v_mov_b32_e32 v3, 27
	v_cmp_lt_i16_sdwa s[52:53], v6, v3 src0_sel:BYTE_0 src1_sel:DWORD
	s_mov_b64 s[48:49], -1
	s_and_b64 vcc, exec, s[52:53]
	s_cbranch_vccnz .LBB40_699
; %bb.694:
	v_cmp_gt_i16_sdwa s[52:53], v6, v3 src0_sel:BYTE_0 src1_sel:DWORD
	v_cvt_u32_f32_e32 v3, v2
	s_and_b64 vcc, exec, s[52:53]
	s_cbranch_vccz .LBB40_696
; %bb.695:
	s_mov_b64 s[48:49], 0
	global_store_dword v[0:1], v3, off
.LBB40_696:
	s_andn2_b64 vcc, exec, s[48:49]
	s_cbranch_vccnz .LBB40_698
; %bb.697:
	global_store_short v[0:1], v3, off
.LBB40_698:
	s_mov_b64 s[48:49], 0
.LBB40_699:
	s_andn2_b64 vcc, exec, s[48:49]
	s_cbranch_vccnz .LBB40_707
; %bb.700:
	v_and_b32_e32 v3, 0x7fffffff, v2
	s_mov_b32 s48, 0x43800000
	v_cmp_gt_u32_e32 vcc, s48, v3
	v_mov_b32_e32 v4, 0x80
	s_and_saveexec_b64 s[48:49], vcc
	s_cbranch_execz .LBB40_706
; %bb.701:
	s_mov_b32 s52, 0x3bffffff
	v_cmp_lt_u32_e32 vcc, s52, v3
	s_mov_b64 s[52:53], 0
                                        ; implicit-def: $vgpr3
	s_and_saveexec_b64 s[54:55], vcc
	s_xor_b64 s[54:55], exec, s[54:55]
	s_cbranch_execz .LBB40_819
; %bb.702:
	v_bfe_u32 v3, v2, 20, 1
	s_mov_b32 s56, 0x487ffff
	v_add3_u32 v3, v2, v3, s56
	s_mov_b64 s[52:53], exec
	v_lshrrev_b32_e32 v3, 20, v3
	s_or_saveexec_b64 s[54:55], s[54:55]
                                        ; implicit-def: $sgpr56
	s_xor_b64 exec, exec, s[54:55]
	s_cbranch_execnz .LBB40_820
.LBB40_703:
	s_or_b64 exec, exec, s[54:55]
	v_mov_b32_e32 v4, s56
	s_and_saveexec_b64 s[54:55], s[52:53]
.LBB40_704:
	v_lshrrev_b32_e32 v4, 24, v2
	s_movk_i32 s52, 0x80
	v_and_or_b32 v4, v4, s52, v3
.LBB40_705:
	s_or_b64 exec, exec, s[54:55]
.LBB40_706:
	s_or_b64 exec, exec, s[48:49]
	global_store_byte v[0:1], v4, off
.LBB40_707:
	s_mov_b64 s[48:49], -1
.LBB40_708:
	s_mov_b64 s[52:53], 0
.LBB40_709:
	s_and_b64 vcc, exec, s[52:53]
	s_cbranch_vccz .LBB40_750
; %bb.710:
	v_mov_b32_e32 v3, 22
	v_cmp_gt_i16_sdwa s[54:55], v6, v3 src0_sel:BYTE_0 src1_sel:DWORD
	s_mov_b64 s[52:53], -1
	s_and_b64 vcc, exec, s[54:55]
	s_cbranch_vccz .LBB40_742
; %bb.711:
	v_mov_b32_e32 v3, 24
	v_cmp_lt_i16_sdwa s[52:53], v6, v3 src0_sel:BYTE_0 src1_sel:DWORD
	s_mov_b64 s[48:49], -1
	s_and_b64 vcc, exec, s[52:53]
	s_cbranch_vccnz .LBB40_731
; %bb.712:
	v_cmp_gt_i16_sdwa s[52:53], v6, v3 src0_sel:BYTE_0 src1_sel:DWORD
	s_and_b64 vcc, exec, s[52:53]
	s_cbranch_vccz .LBB40_720
; %bb.713:
	v_and_b32_e32 v3, 0x7fffffff, v2
	s_mov_b32 s48, 0x47800000
	v_cmp_gt_u32_e32 vcc, s48, v3
	v_mov_b32_e32 v4, 0x80
	s_and_saveexec_b64 s[48:49], vcc
	s_cbranch_execz .LBB40_719
; %bb.714:
	s_mov_b32 s52, 0x37ffffff
	v_cmp_lt_u32_e32 vcc, s52, v3
	s_mov_b64 s[52:53], 0
                                        ; implicit-def: $vgpr3
	s_and_saveexec_b64 s[54:55], vcc
	s_xor_b64 s[54:55], exec, s[54:55]
	s_cbranch_execz .LBB40_951
; %bb.715:
	v_bfe_u32 v3, v2, 21, 1
	s_mov_b32 s56, 0x88fffff
	v_add3_u32 v3, v2, v3, s56
	s_mov_b64 s[52:53], exec
	v_lshrrev_b32_e32 v3, 21, v3
	s_or_saveexec_b64 s[54:55], s[54:55]
                                        ; implicit-def: $sgpr56
	s_xor_b64 exec, exec, s[54:55]
	s_cbranch_execnz .LBB40_952
.LBB40_716:
	s_or_b64 exec, exec, s[54:55]
	v_mov_b32_e32 v4, s56
	s_and_saveexec_b64 s[54:55], s[52:53]
.LBB40_717:
	v_lshrrev_b32_e32 v4, 24, v2
	s_movk_i32 s52, 0x80
	v_and_or_b32 v4, v4, s52, v3
.LBB40_718:
	s_or_b64 exec, exec, s[54:55]
.LBB40_719:
	s_or_b64 exec, exec, s[48:49]
	s_mov_b64 s[48:49], 0
	global_store_byte v[0:1], v4, off
.LBB40_720:
	s_and_b64 vcc, exec, s[48:49]
	s_cbranch_vccz .LBB40_730
; %bb.721:
	v_and_b32_e32 v4, 0x7fffffff, v2
	s_mov_b32 s48, 0x43f00000
	v_cmp_gt_u32_e32 vcc, s48, v4
                                        ; implicit-def: $vgpr3
	s_and_saveexec_b64 s[48:49], vcc
	s_xor_b64 s[48:49], exec, s[48:49]
	s_cbranch_execz .LBB40_727
; %bb.722:
	s_mov_b32 s52, 0x3c7fffff
	v_cmp_lt_u32_e32 vcc, s52, v4
                                        ; implicit-def: $vgpr3
	s_and_saveexec_b64 s[52:53], vcc
	s_xor_b64 s[52:53], exec, s[52:53]
; %bb.723:
	v_bfe_u32 v3, v2, 20, 1
	s_mov_b32 s54, 0x407ffff
	v_add3_u32 v3, v2, v3, s54
	v_lshrrev_b32_e32 v4, 20, v3
	v_and_b32_e32 v3, 0xff00000, v3
	s_mov_b32 s54, 0x7f00000
	v_mov_b32_e32 v5, 0x7e
	v_cmp_ne_u32_e32 vcc, s54, v3
	v_cndmask_b32_e32 v3, v5, v4, vcc
; %bb.724:
	s_andn2_saveexec_b64 s[52:53], s[52:53]
; %bb.725:
	s_mov_b32 s54, 0x46800000
	v_add_f32_e64 v3, |v2|, s54
; %bb.726:
	s_or_b64 exec, exec, s[52:53]
                                        ; implicit-def: $vgpr4
.LBB40_727:
	s_andn2_saveexec_b64 s[48:49], s[48:49]
; %bb.728:
	s_mov_b32 s52, 0x7f800000
	v_mov_b32_e32 v3, 0x7e
	v_mov_b32_e32 v5, 0x7f
	v_cmp_lt_u32_e32 vcc, s52, v4
	v_cndmask_b32_e32 v3, v3, v5, vcc
; %bb.729:
	s_or_b64 exec, exec, s[48:49]
	v_lshrrev_b32_e32 v4, 24, v2
	s_movk_i32 s48, 0x80
	v_and_or_b32 v3, v4, s48, v3
	global_store_byte v[0:1], v3, off
.LBB40_730:
	s_mov_b64 s[48:49], 0
.LBB40_731:
	s_andn2_b64 vcc, exec, s[48:49]
	s_cbranch_vccnz .LBB40_741
; %bb.732:
	v_and_b32_e32 v4, 0x7fffffff, v2
	s_mov_b32 s48, 0x47800000
	v_cmp_gt_u32_e32 vcc, s48, v4
                                        ; implicit-def: $vgpr3
	s_and_saveexec_b64 s[48:49], vcc
	s_xor_b64 s[48:49], exec, s[48:49]
	s_cbranch_execz .LBB40_738
; %bb.733:
	s_mov_b32 s52, 0x387fffff
	v_cmp_lt_u32_e32 vcc, s52, v4
                                        ; implicit-def: $vgpr3
	s_and_saveexec_b64 s[52:53], vcc
	s_xor_b64 s[52:53], exec, s[52:53]
; %bb.734:
	v_bfe_u32 v3, v2, 21, 1
	s_mov_b32 s54, 0x80fffff
	v_add3_u32 v3, v2, v3, s54
	v_lshrrev_b32_e32 v3, 21, v3
; %bb.735:
	s_andn2_saveexec_b64 s[52:53], s[52:53]
; %bb.736:
	s_mov_b32 s54, 0x43000000
	v_add_f32_e64 v3, |v2|, s54
; %bb.737:
	s_or_b64 exec, exec, s[52:53]
                                        ; implicit-def: $vgpr4
.LBB40_738:
	s_andn2_saveexec_b64 s[48:49], s[48:49]
; %bb.739:
	s_mov_b32 s52, 0x7f800000
	v_mov_b32_e32 v3, 0x7c
	v_mov_b32_e32 v5, 0x7f
	v_cmp_lt_u32_e32 vcc, s52, v4
	v_cndmask_b32_e32 v3, v3, v5, vcc
; %bb.740:
	s_or_b64 exec, exec, s[48:49]
	v_lshrrev_b32_e32 v4, 24, v2
	s_movk_i32 s48, 0x80
	v_and_or_b32 v3, v4, s48, v3
	global_store_byte v[0:1], v3, off
.LBB40_741:
	s_mov_b64 s[52:53], 0
	s_mov_b64 s[48:49], -1
.LBB40_742:
	s_andn2_b64 vcc, exec, s[52:53]
	s_cbranch_vccnz .LBB40_750
; %bb.743:
	v_mov_b32_e32 v3, 14
	v_cmp_gt_i16_sdwa s[54:55], v6, v3 src0_sel:BYTE_0 src1_sel:DWORD
	s_mov_b64 s[52:53], -1
	s_and_b64 vcc, exec, s[54:55]
	s_cbranch_vccz .LBB40_747
; %bb.744:
	v_mov_b32_e32 v3, 15
	v_cmp_eq_u16_sdwa s[52:53], v6, v3 src0_sel:BYTE_0 src1_sel:DWORD
	s_mov_b64 s[0:1], -1
	s_and_b64 vcc, exec, s[52:53]
	s_cbranch_vccz .LBB40_746
; %bb.745:
	v_bfe_u32 v3, v2, 16, 1
	s_movk_i32 s0, 0x7fff
	v_add3_u32 v3, v2, v3, s0
	v_lshrrev_b32_e32 v3, 16, v3
	v_mov_b32_e32 v4, 0x7fc0
	v_cmp_o_f32_e32 vcc, v2, v2
	v_cndmask_b32_e32 v3, v4, v3, vcc
	global_store_short v[0:1], v3, off
	s_mov_b64 s[48:49], -1
	s_mov_b64 s[0:1], 0
.LBB40_746:
	s_mov_b64 s[52:53], 0
.LBB40_747:
	s_and_b64 vcc, exec, s[52:53]
	s_cbranch_vccz .LBB40_750
; %bb.748:
	v_mov_b32_e32 v3, 11
	v_cmp_eq_u16_sdwa s[52:53], v6, v3 src0_sel:BYTE_0 src1_sel:DWORD
	s_mov_b64 s[0:1], -1
	s_and_b64 vcc, exec, s[52:53]
	s_cbranch_vccz .LBB40_750
; %bb.749:
	v_cmp_neq_f32_e32 vcc, 0, v2
	v_cndmask_b32_e64 v3, 0, 1, vcc
	s_mov_b64 s[48:49], -1
	s_mov_b64 s[0:1], 0
	global_store_byte v[0:1], v3, off
.LBB40_750:
	s_mov_b64 s[52:53], 0
.LBB40_751:
	s_and_b64 vcc, exec, s[52:53]
	s_cbranch_vccz .LBB40_790
; %bb.752:
	v_mov_b32_e32 v3, 5
	v_cmp_lt_i16_sdwa s[52:53], v6, v3 src0_sel:BYTE_0 src1_sel:DWORD
	s_mov_b64 s[48:49], -1
	s_and_b64 vcc, exec, s[52:53]
	s_cbranch_vccnz .LBB40_773
; %bb.753:
	v_mov_b32_e32 v3, 8
	v_cmp_lt_i16_sdwa s[52:53], v6, v3 src0_sel:BYTE_0 src1_sel:DWORD
	s_and_b64 vcc, exec, s[52:53]
	s_cbranch_vccnz .LBB40_763
; %bb.754:
	v_mov_b32_e32 v3, 9
	v_cmp_lt_i16_sdwa s[52:53], v6, v3 src0_sel:BYTE_0 src1_sel:DWORD
	s_and_b64 vcc, exec, s[52:53]
	s_cbranch_vccnz .LBB40_760
; %bb.755:
	v_cmp_gt_i16_sdwa s[52:53], v6, v3 src0_sel:BYTE_0 src1_sel:DWORD
	s_and_b64 vcc, exec, s[52:53]
	s_cbranch_vccz .LBB40_757
; %bb.756:
	v_mov_b32_e32 v12, 0
	v_cvt_f64_f32_e32 v[10:11], v2
	v_mov_b32_e32 v13, v12
	s_mov_b64 s[48:49], 0
	global_store_dwordx4 v[0:1], v[10:13], off
.LBB40_757:
	s_andn2_b64 vcc, exec, s[48:49]
	s_cbranch_vccnz .LBB40_759
; %bb.758:
	v_mov_b32_e32 v3, 0
	global_store_dwordx2 v[0:1], v[2:3], off
.LBB40_759:
	s_mov_b64 s[48:49], 0
.LBB40_760:
	s_andn2_b64 vcc, exec, s[48:49]
	s_cbranch_vccnz .LBB40_762
; %bb.761:
	v_cvt_f16_f32_e32 v3, v2
	global_store_dword v[0:1], v3, off
.LBB40_762:
	s_mov_b64 s[48:49], 0
.LBB40_763:
	s_andn2_b64 vcc, exec, s[48:49]
	s_cbranch_vccnz .LBB40_772
; %bb.764:
	v_mov_b32_e32 v3, 6
	v_cmp_lt_i16_sdwa s[52:53], v6, v3 src0_sel:BYTE_0 src1_sel:DWORD
	s_mov_b64 s[48:49], -1
	s_and_b64 vcc, exec, s[52:53]
	s_cbranch_vccnz .LBB40_770
; %bb.765:
	v_cmp_gt_i16_sdwa s[52:53], v6, v3 src0_sel:BYTE_0 src1_sel:DWORD
	s_and_b64 vcc, exec, s[52:53]
	s_cbranch_vccz .LBB40_767
; %bb.766:
	v_cvt_f64_f32_e32 v[4:5], v2
	s_mov_b64 s[48:49], 0
	global_store_dwordx2 v[0:1], v[4:5], off
.LBB40_767:
	s_andn2_b64 vcc, exec, s[48:49]
	s_cbranch_vccnz .LBB40_769
; %bb.768:
	global_store_dword v[0:1], v2, off
.LBB40_769:
	s_mov_b64 s[48:49], 0
.LBB40_770:
	s_andn2_b64 vcc, exec, s[48:49]
	s_cbranch_vccnz .LBB40_772
; %bb.771:
	v_cvt_f16_f32_e32 v3, v2
	global_store_short v[0:1], v3, off
.LBB40_772:
	s_mov_b64 s[48:49], 0
.LBB40_773:
	s_andn2_b64 vcc, exec, s[48:49]
	s_cbranch_vccnz .LBB40_789
; %bb.774:
	v_mov_b32_e32 v3, 2
	v_cmp_lt_i16_sdwa s[52:53], v6, v3 src0_sel:BYTE_0 src1_sel:DWORD
	s_mov_b64 s[48:49], -1
	s_and_b64 vcc, exec, s[52:53]
	s_cbranch_vccnz .LBB40_784
; %bb.775:
	v_mov_b32_e32 v3, 3
	v_cmp_lt_i16_sdwa s[52:53], v6, v3 src0_sel:BYTE_0 src1_sel:DWORD
	s_and_b64 vcc, exec, s[52:53]
	s_cbranch_vccnz .LBB40_781
; %bb.776:
	v_cmp_gt_i16_sdwa s[52:53], v6, v3 src0_sel:BYTE_0 src1_sel:DWORD
	s_and_b64 vcc, exec, s[52:53]
	s_cbranch_vccz .LBB40_778
; %bb.777:
	v_trunc_f32_e32 v3, v2
	s_mov_b32 s48, 0x2f800000
	v_mul_f32_e64 v4, |v3|, s48
	v_floor_f32_e32 v4, v4
	s_mov_b32 s48, 0xcf800000
	v_cvt_u32_f32_e32 v5, v4
	v_fma_f32 v4, v4, s48, |v3|
	v_cvt_u32_f32_e32 v4, v4
	v_ashrrev_i32_e32 v3, 31, v3
	v_xor_b32_e32 v5, v5, v3
	s_mov_b64 s[48:49], 0
	v_xor_b32_e32 v4, v4, v3
	v_sub_co_u32_e32 v4, vcc, v4, v3
	v_subb_co_u32_e32 v5, vcc, v5, v3, vcc
	global_store_dwordx2 v[0:1], v[4:5], off
.LBB40_778:
	s_andn2_b64 vcc, exec, s[48:49]
	s_cbranch_vccnz .LBB40_780
; %bb.779:
	v_cvt_i32_f32_e32 v3, v2
	global_store_dword v[0:1], v3, off
.LBB40_780:
	s_mov_b64 s[48:49], 0
.LBB40_781:
	s_andn2_b64 vcc, exec, s[48:49]
	s_cbranch_vccnz .LBB40_783
; %bb.782:
	v_cvt_i32_f32_e32 v3, v2
	global_store_short v[0:1], v3, off
.LBB40_783:
	s_mov_b64 s[48:49], 0
.LBB40_784:
	s_andn2_b64 vcc, exec, s[48:49]
	s_cbranch_vccnz .LBB40_789
; %bb.785:
	v_mov_b32_e32 v3, 0
	v_cmp_gt_i16_sdwa s[52:53], v6, v3 src0_sel:BYTE_0 src1_sel:DWORD
	s_mov_b64 s[48:49], -1
	s_and_b64 vcc, exec, s[52:53]
	s_cbranch_vccz .LBB40_787
; %bb.786:
	v_cvt_i32_f32_e32 v3, v2
	s_mov_b64 s[48:49], 0
	global_store_byte v[0:1], v3, off
.LBB40_787:
	s_andn2_b64 vcc, exec, s[48:49]
	s_cbranch_vccnz .LBB40_789
; %bb.788:
	v_trunc_f32_e32 v2, v2
	s_mov_b32 s48, 0x2f800000
	v_mul_f32_e64 v3, |v2|, s48
	v_floor_f32_e32 v3, v3
	s_mov_b32 s48, 0xcf800000
	v_fma_f32 v3, v3, s48, |v2|
	v_cvt_u32_f32_e32 v3, v3
	v_ashrrev_i32_e32 v2, 31, v2
	v_xor_b32_e32 v3, v3, v2
	v_sub_u32_e32 v2, v3, v2
	global_store_byte v[0:1], v2, off
.LBB40_789:
	s_mov_b64 s[48:49], -1
.LBB40_790:
	s_andn2_b64 vcc, exec, s[48:49]
	s_cbranch_vccnz .LBB40_814
; %bb.791:
	v_add_u32_e32 v8, 0x80, v8
	s_mov_b64 s[52:53], -1
.LBB40_792:
	s_andn2_b64 s[48:49], s[36:37], exec
	s_and_b64 s[0:1], s[0:1], exec
	s_or_b64 s[48:49], s[48:49], s[0:1]
	s_andn2_b64 s[0:1], s[38:39], exec
	s_and_b64 s[46:47], s[46:47], exec
	s_or_b64 s[46:47], s[0:1], s[46:47]
	s_andn2_b64 s[0:1], s[40:41], exec
	s_and_b64 s[44:45], s[44:45], exec
	s_or_b64 s[44:45], s[0:1], s[44:45]
	s_orn2_b64 s[0:1], s[52:53], exec
.LBB40_793:
	s_or_b64 exec, exec, s[50:51]
	s_mov_b64 s[52:53], 0
	s_mov_b64 s[54:55], 0
	;; [unrolled: 1-line block ×3, first 2 shown]
                                        ; implicit-def: $vgpr3
                                        ; implicit-def: $vgpr4_vgpr5
                                        ; implicit-def: $vgpr2
                                        ; implicit-def: $vgpr0
                                        ; implicit-def: $vgpr1
	s_and_saveexec_b64 s[50:51], s[0:1]
	s_cbranch_execz .LBB40_1288
; %bb.794:
	v_cmp_gt_i32_e32 vcc, s66, v8
	s_mov_b64 s[64:65], -1
	s_mov_b64 s[0:1], s[44:45]
	s_mov_b64 s[56:57], s[46:47]
	s_mov_b64 s[58:59], s[48:49]
	s_and_saveexec_b64 s[52:53], vcc
	s_cbranch_execz .LBB40_1193
; %bb.795:
	s_andn2_b64 vcc, exec, s[20:21]
	s_cbranch_vccnz .LBB40_802
; %bb.796:
	s_andn2_b64 vcc, exec, s[34:35]
	v_mov_b32_e32 v2, 0
	s_waitcnt vmcnt(0)
	v_mov_b32_e32 v4, 0
	v_mov_b32_e32 v0, 0
	s_cbranch_vccnz .LBB40_801
; %bb.797:
	s_add_i32 s0, s69, 1
	s_and_b32 s54, s0, 30
	s_add_u32 s0, s2, 0xffffffec
	s_addc_u32 s1, s3, -1
	v_mov_b32_e32 v0, 0
	v_mov_b32_e32 v1, v8
	;; [unrolled: 1-line block ×4, first 2 shown]
.LBB40_798:                             ; =>This Inner Loop Header: Depth=1
	s_mov_b64 s[64:65], s[0:1]
	s_load_dwordx4 s[56:59], s[64:65], 0x18
	s_load_dwordx2 s[70:71], s[64:65], 0x28
	s_load_dwordx2 s[72:73], s[64:65], 0xe8
	s_load_dwordx4 s[60:63], s[64:65], 0xd8
	s_add_u32 s0, s64, 24
	s_waitcnt lgkmcnt(0)
	v_mul_hi_u32 v3, s57, v1
	v_add_u32_e32 v3, v1, v3
	v_lshrrev_b32_e32 v3, s58, v3
	v_mul_lo_u32 v5, v3, s56
	v_mul_hi_u32 v10, s70, v3
	v_sub_u32_e32 v1, v1, v5
	v_add_u32_e32 v5, v3, v10
	v_mul_lo_u32 v10, v1, s60
	v_mul_lo_u32 v11, v1, s61
	;; [unrolled: 1-line block ×3, first 2 shown]
	v_lshrrev_b32_e32 v1, s71, v5
	v_mul_lo_u32 v5, v1, s59
	v_sub_u32_e32 v3, v3, v5
	s_addc_u32 s1, s65, 0
	s_add_i32 s54, s54, -2
	v_mul_lo_u32 v5, v3, s63
	v_mul_lo_u32 v13, v3, s72
	;; [unrolled: 1-line block ×3, first 2 shown]
	s_cmp_eq_u32 s54, 0
	v_add3_u32 v0, v10, v0, v5
	v_add3_u32 v2, v12, v2, v3
	;; [unrolled: 1-line block ×3, first 2 shown]
	s_cbranch_scc0 .LBB40_798
; %bb.799:
	s_bitcmp1_b32 s69, 0
	s_cselect_b64 s[54:55], -1, 0
	s_and_b64 vcc, exec, s[54:55]
	s_cbranch_vccnz .LBB40_801
; %bb.800:
	s_load_dwordx2 s[54:55], s[0:1], 0x18
	s_load_dword s56, s[0:1], 0x20
	s_load_dword s57, s[0:1], 0xe0
	s_nop 0
	s_load_dwordx2 s[0:1], s[0:1], 0xd8
	s_waitcnt lgkmcnt(0)
	v_mul_hi_u32 v3, s55, v1
	v_add_u32_e32 v3, v1, v3
	v_lshrrev_b32_e32 v3, s56, v3
	v_mul_lo_u32 v3, v3, s54
	v_sub_u32_e32 v3, v1, v3
	v_mad_u64_u32 v[0:1], s[54:55], v3, s0, v[0:1]
	v_mad_u64_u32 v[4:5], s[0:1], v3, s1, v[4:5]
	;; [unrolled: 1-line block ×3, first 2 shown]
.LBB40_801:
	s_mov_b64 s[0:1], 0
	s_branch .LBB40_803
.LBB40_802:
	s_mov_b64 s[0:1], -1
                                        ; implicit-def: $vgpr2
                                        ; implicit-def: $vgpr4
                                        ; implicit-def: $vgpr0
.LBB40_803:
	s_andn2_b64 vcc, exec, s[0:1]
	s_cbranch_vccnz .LBB40_806
; %bb.804:
	s_waitcnt lgkmcnt(0)
	v_mul_hi_u32 v0, s17, v8
	v_add_u32_e32 v0, v8, v0
	s_waitcnt vmcnt(0)
	v_lshrrev_b32_e32 v1, s18, v0
	v_mul_lo_u32 v0, v1, s16
	v_sub_u32_e32 v3, v8, v0
	v_mul_lo_u32 v0, v3, s12
	v_mul_lo_u32 v2, v3, s14
	s_andn2_b64 vcc, exec, s[30:31]
	v_mul_lo_u32 v4, v3, s13
	s_cbranch_vccnz .LBB40_806
; %bb.805:
	v_mul_hi_u32 v3, s28, v1
	v_add_u32_e32 v3, v1, v3
	v_lshrrev_b32_e32 v3, s29, v3
	v_mul_lo_u32 v3, v3, s19
	v_sub_u32_e32 v3, v1, v3
	v_mad_u64_u32 v[0:1], s[0:1], v3, s15, v[0:1]
	v_mad_u64_u32 v[4:5], s[0:1], v3, s26, v[4:5]
	v_mad_u64_u32 v[2:3], s[0:1], v3, s27, v[2:3]
.LBB40_806:
	s_waitcnt vmcnt(0) lgkmcnt(0)
	v_mov_b32_e32 v1, s11
	v_add_co_u32_e32 v4, vcc, s10, v4
	v_addc_co_u32_e32 v5, vcc, 0, v1, vcc
	v_mov_b32_e32 v1, 11
	v_cmp_lt_i16_sdwa s[0:1], v9, v1 src0_sel:BYTE_0 src1_sel:DWORD
	s_and_b64 vcc, exec, s[0:1]
	s_cbranch_vccnz .LBB40_813
; %bb.807:
	v_mov_b32_e32 v1, 25
	v_cmp_gt_i16_sdwa s[0:1], v9, v1 src0_sel:BYTE_0 src1_sel:DWORD
	s_and_b64 vcc, exec, s[0:1]
	s_cbranch_vccz .LBB40_815
; %bb.808:
	v_mov_b32_e32 v1, 28
	v_cmp_gt_i16_sdwa s[0:1], v9, v1 src0_sel:BYTE_0 src1_sel:DWORD
	s_and_b64 vcc, exec, s[0:1]
	s_cbranch_vccz .LBB40_816
	;; [unrolled: 5-line block ×4, first 2 shown]
; %bb.811:
	v_mov_b32_e32 v1, 46
	v_cmp_eq_u16_sdwa s[0:1], v9, v1 src0_sel:BYTE_0 src1_sel:DWORD
	s_mov_b64 s[56:57], 0
	s_and_b64 vcc, exec, s[0:1]
	s_cbranch_vccz .LBB40_821
; %bb.812:
	global_load_dword v1, v[4:5], off
	s_mov_b64 s[0:1], -1
	s_mov_b64 s[54:55], 0
	s_waitcnt vmcnt(0)
	v_lshlrev_b32_e32 v1, 16, v1
	s_branch .LBB40_822
.LBB40_813:
	s_mov_b64 s[56:57], -1
	s_mov_b64 s[0:1], 0
                                        ; implicit-def: $vgpr1
	s_mov_b64 s[54:55], s[44:45]
	s_branch .LBB40_887
.LBB40_814:
	s_mov_b64 s[52:53], 0
	s_branch .LBB40_550
.LBB40_815:
	s_mov_b64 s[56:57], -1
	s_mov_b64 s[0:1], 0
	s_mov_b64 s[54:55], s[44:45]
                                        ; implicit-def: $vgpr1
	s_branch .LBB40_851
.LBB40_816:
	s_mov_b64 s[56:57], -1
	s_mov_b64 s[0:1], 0
	s_mov_b64 s[54:55], s[44:45]
                                        ; implicit-def: $vgpr1
	s_branch .LBB40_832
.LBB40_817:
	s_mov_b64 s[56:57], -1
	s_mov_b64 s[0:1], 0
	s_mov_b64 s[54:55], s[44:45]
                                        ; implicit-def: $vgpr1
	s_branch .LBB40_827
.LBB40_818:
	s_mov_b64 s[56:57], -1
	s_mov_b64 s[0:1], 0
	s_mov_b64 s[54:55], s[44:45]
                                        ; implicit-def: $vgpr1
	s_branch .LBB40_822
.LBB40_819:
	s_or_saveexec_b64 s[54:55], s[54:55]
                                        ; implicit-def: $sgpr56
	s_xor_b64 exec, exec, s[54:55]
	s_cbranch_execz .LBB40_703
.LBB40_820:
	s_mov_b32 s56, 0x46000000
	v_add_f32_e64 v3, |v2|, s56
	v_and_b32_e32 v3, 0xff, v3
	v_cmp_ne_u32_e32 vcc, 0, v3
	s_andn2_b64 s[52:53], s[52:53], exec
	s_and_b64 s[58:59], vcc, exec
	s_mov_b32 s56, 0
	s_or_b64 s[52:53], s[52:53], s[58:59]
	s_or_b64 exec, exec, s[54:55]
	v_mov_b32_e32 v4, s56
	s_and_saveexec_b64 s[54:55], s[52:53]
	s_cbranch_execnz .LBB40_704
	s_branch .LBB40_705
.LBB40_821:
	s_mov_b64 s[54:55], -1
                                        ; implicit-def: $vgpr1
	s_mov_b64 s[0:1], 0
.LBB40_822:
	s_and_b64 vcc, exec, s[56:57]
	s_cbranch_vccz .LBB40_826
; %bb.823:
	v_mov_b32_e32 v1, 44
	v_cmp_eq_u16_sdwa s[54:55], v9, v1 src0_sel:BYTE_0 src1_sel:DWORD
	s_and_b64 vcc, exec, s[54:55]
	s_cbranch_vccz .LBB40_825
; %bb.824:
	global_load_ubyte v1, v[4:5], off
	s_movk_i32 s54, 0xff
	v_mov_b32_e32 v3, 0x7f800001
	v_mov_b32_e32 v10, 0x400000
	s_mov_b64 s[0:1], -1
	s_waitcnt vmcnt(0)
	v_lshlrev_b32_e32 v11, 23, v1
	v_cmp_ne_u32_e32 vcc, s54, v1
	v_cndmask_b32_e32 v3, v3, v11, vcc
	v_cmp_ne_u32_e32 vcc, 0, v1
	v_cndmask_b32_e32 v1, v10, v3, vcc
	s_mov_b64 s[54:55], 0
	s_branch .LBB40_826
.LBB40_825:
	s_mov_b64 s[54:55], -1
                                        ; implicit-def: $vgpr1
.LBB40_826:
	s_mov_b64 s[56:57], 0
.LBB40_827:
	s_and_b64 vcc, exec, s[56:57]
	s_cbranch_vccz .LBB40_831
; %bb.828:
	v_mov_b32_e32 v1, 29
	v_cmp_eq_u16_sdwa s[54:55], v9, v1 src0_sel:BYTE_0 src1_sel:DWORD
	s_and_b64 vcc, exec, s[54:55]
	s_cbranch_vccz .LBB40_830
; %bb.829:
	global_load_dwordx2 v[10:11], v[4:5], off
	s_mov_b64 s[0:1], -1
	s_mov_b64 s[54:55], 0
	s_mov_b64 s[56:57], 0
	s_waitcnt vmcnt(0)
	v_ffbh_u32_e32 v1, v11
	v_min_u32_e32 v1, 32, v1
	v_lshlrev_b64 v[10:11], v1, v[10:11]
	v_min_u32_e32 v3, 1, v10
	v_or_b32_e32 v3, v11, v3
	v_cvt_f32_u32_e32 v3, v3
	v_sub_u32_e32 v1, 32, v1
	v_ldexp_f32 v1, v3, v1
	s_branch .LBB40_832
.LBB40_830:
	s_mov_b64 s[54:55], -1
                                        ; implicit-def: $vgpr1
.LBB40_831:
	s_mov_b64 s[56:57], 0
.LBB40_832:
	s_and_b64 vcc, exec, s[56:57]
	s_cbranch_vccz .LBB40_850
; %bb.833:
	v_mov_b32_e32 v1, 27
	v_cmp_lt_i16_sdwa s[0:1], v9, v1 src0_sel:BYTE_0 src1_sel:DWORD
	s_and_b64 vcc, exec, s[0:1]
	s_cbranch_vccnz .LBB40_836
; %bb.834:
	v_cmp_gt_i16_sdwa s[0:1], v9, v1 src0_sel:BYTE_0 src1_sel:DWORD
	s_and_b64 vcc, exec, s[0:1]
	s_cbranch_vccz .LBB40_837
; %bb.835:
	global_load_dword v1, v[4:5], off
	s_mov_b64 s[0:1], 0
	s_waitcnt vmcnt(0)
	v_cvt_f32_u32_e32 v1, v1
	s_branch .LBB40_838
.LBB40_836:
	s_mov_b64 s[0:1], -1
                                        ; implicit-def: $vgpr1
	s_branch .LBB40_841
.LBB40_837:
	s_mov_b64 s[0:1], -1
                                        ; implicit-def: $vgpr1
.LBB40_838:
	s_andn2_b64 vcc, exec, s[0:1]
	s_cbranch_vccnz .LBB40_840
; %bb.839:
	global_load_ushort v1, v[4:5], off
	s_waitcnt vmcnt(0)
	v_cvt_f32_u32_e32 v1, v1
.LBB40_840:
	s_mov_b64 s[0:1], 0
.LBB40_841:
	s_andn2_b64 vcc, exec, s[0:1]
	s_cbranch_vccnz .LBB40_849
; %bb.842:
	global_load_ubyte v3, v[4:5], off
	s_movk_i32 s0, 0x7f
                                        ; implicit-def: $sgpr60
	s_waitcnt vmcnt(0)
	v_cmp_lt_i16_e32 vcc, s0, v3
	s_mov_b64 s[0:1], 0
	s_and_saveexec_b64 s[56:57], vcc
	s_xor_b64 s[56:57], exec, s[56:57]
	s_cbranch_execz .LBB40_863
; %bb.843:
	s_movk_i32 s0, 0x80
	v_cmp_eq_u16_e32 vcc, s0, v3
	s_mov_b64 s[0:1], -1
                                        ; implicit-def: $sgpr60
	s_and_saveexec_b64 s[58:59], vcc
; %bb.844:
	s_mov_b32 s60, 0x7f800001
	s_xor_b64 s[0:1], exec, -1
; %bb.845:
	s_or_b64 exec, exec, s[58:59]
	s_and_b64 s[0:1], s[0:1], exec
	s_or_saveexec_b64 s[56:57], s[56:57]
	v_mov_b32_e32 v1, s60
	s_xor_b64 exec, exec, s[56:57]
	s_cbranch_execnz .LBB40_864
.LBB40_846:
	s_or_b64 exec, exec, s[56:57]
	s_and_saveexec_b64 s[56:57], s[0:1]
	s_cbranch_execz .LBB40_848
.LBB40_847:
	v_lshlrev_b32_e32 v1, 24, v3
	v_and_b32_e32 v3, 0xffff, v3
	v_and_b32_e32 v10, 7, v3
	v_ffbh_u32_e32 v12, v10
	v_min_u32_e32 v12, 32, v12
	v_subrev_u32_e32 v13, 28, v12
	v_bfe_u32 v11, v3, 3, 4
	v_lshlrev_b32_e32 v3, v13, v3
	v_sub_u32_e32 v12, 29, v12
	v_and_b32_e32 v3, 7, v3
	v_cmp_eq_u32_e32 vcc, 0, v11
	v_cndmask_b32_e32 v11, v11, v12, vcc
	v_cndmask_b32_e32 v3, v10, v3, vcc
	v_mov_b32_e32 v10, 0x3b800000
	v_lshlrev_b32_e32 v3, 20, v3
	v_and_b32_e32 v1, 0x80000000, v1
	v_lshl_add_u32 v10, v11, 23, v10
	v_or3_b32 v1, v1, v10, v3
.LBB40_848:
	s_or_b64 exec, exec, s[56:57]
.LBB40_849:
	s_mov_b64 s[0:1], -1
.LBB40_850:
	s_mov_b64 s[56:57], 0
.LBB40_851:
	s_and_b64 vcc, exec, s[56:57]
	s_cbranch_vccz .LBB40_886
; %bb.852:
	v_mov_b32_e32 v1, 22
	v_cmp_gt_i16_sdwa s[56:57], v9, v1 src0_sel:BYTE_0 src1_sel:DWORD
	s_and_b64 vcc, exec, s[56:57]
	s_cbranch_vccz .LBB40_862
; %bb.853:
	v_mov_b32_e32 v1, 24
	v_cmp_lt_i16_sdwa s[0:1], v9, v1 src0_sel:BYTE_0 src1_sel:DWORD
	s_and_b64 vcc, exec, s[0:1]
	s_cbranch_vccnz .LBB40_865
; %bb.854:
	v_cmp_gt_i16_sdwa s[0:1], v9, v1 src0_sel:BYTE_0 src1_sel:DWORD
	s_and_b64 vcc, exec, s[0:1]
	s_cbranch_vccz .LBB40_866
; %bb.855:
	global_load_ubyte v3, v[4:5], off
	s_movk_i32 s0, 0x7f
                                        ; implicit-def: $sgpr60
	s_waitcnt vmcnt(0)
	v_cmp_lt_i16_e32 vcc, s0, v3
	s_mov_b64 s[0:1], 0
	s_and_saveexec_b64 s[56:57], vcc
	s_xor_b64 s[56:57], exec, s[56:57]
	s_cbranch_execz .LBB40_878
; %bb.856:
	s_movk_i32 s0, 0x80
	v_cmp_eq_u16_e32 vcc, s0, v3
	s_mov_b64 s[0:1], -1
                                        ; implicit-def: $sgpr60
	s_and_saveexec_b64 s[58:59], vcc
; %bb.857:
	s_mov_b32 s60, 0x7f800001
	s_xor_b64 s[0:1], exec, -1
; %bb.858:
	s_or_b64 exec, exec, s[58:59]
	s_and_b64 s[0:1], s[0:1], exec
	s_or_saveexec_b64 s[56:57], s[56:57]
	v_mov_b32_e32 v1, s60
	s_xor_b64 exec, exec, s[56:57]
	s_cbranch_execnz .LBB40_879
.LBB40_859:
	s_or_b64 exec, exec, s[56:57]
	s_and_saveexec_b64 s[56:57], s[0:1]
	s_cbranch_execz .LBB40_861
.LBB40_860:
	v_lshlrev_b32_e32 v1, 24, v3
	v_and_b32_e32 v3, 0xffff, v3
	v_and_b32_e32 v10, 3, v3
	v_ffbh_u32_e32 v12, v10
	v_min_u32_e32 v12, 32, v12
	v_subrev_u32_e32 v13, 29, v12
	v_bfe_u32 v11, v3, 2, 5
	v_lshlrev_b32_e32 v3, v13, v3
	v_sub_u32_e32 v12, 30, v12
	v_and_b32_e32 v3, 3, v3
	v_cmp_eq_u32_e32 vcc, 0, v11
	v_cndmask_b32_e32 v11, v11, v12, vcc
	v_cndmask_b32_e32 v3, v10, v3, vcc
	v_mov_b32_e32 v10, 0x37800000
	v_lshlrev_b32_e32 v3, 21, v3
	v_and_b32_e32 v1, 0x80000000, v1
	v_lshl_add_u32 v10, v11, 23, v10
	v_or3_b32 v1, v1, v10, v3
.LBB40_861:
	s_or_b64 exec, exec, s[56:57]
	s_mov_b64 s[0:1], 0
	s_branch .LBB40_867
.LBB40_862:
	s_mov_b64 s[56:57], -1
                                        ; implicit-def: $vgpr1
	s_branch .LBB40_873
.LBB40_863:
	s_or_saveexec_b64 s[56:57], s[56:57]
	v_mov_b32_e32 v1, s60
	s_xor_b64 exec, exec, s[56:57]
	s_cbranch_execz .LBB40_846
.LBB40_864:
	v_cmp_ne_u16_e32 vcc, 0, v3
	s_andn2_b64 s[0:1], s[0:1], exec
	s_and_b64 s[58:59], vcc, exec
	v_mov_b32_e32 v1, 0
	s_or_b64 s[0:1], s[0:1], s[58:59]
	s_or_b64 exec, exec, s[56:57]
	s_and_saveexec_b64 s[56:57], s[0:1]
	s_cbranch_execnz .LBB40_847
	s_branch .LBB40_848
.LBB40_865:
	s_mov_b64 s[0:1], -1
                                        ; implicit-def: $vgpr1
	s_branch .LBB40_870
.LBB40_866:
	s_mov_b64 s[0:1], -1
                                        ; implicit-def: $vgpr1
.LBB40_867:
	s_and_b64 vcc, exec, s[0:1]
	s_cbranch_vccz .LBB40_869
; %bb.868:
	global_load_ubyte v1, v[4:5], off
	s_mov_b32 s0, 0x7f800000
	s_waitcnt vmcnt(0)
	v_lshlrev_b32_e32 v1, 24, v1
	v_and_b32_e32 v3, 0x7f000000, v1
	v_ffbh_u32_e32 v10, v3
	v_min_u32_e32 v10, 32, v10
	v_sub_u32_e64 v10, v10, 4 clamp
	v_lshlrev_b32_e32 v12, v10, v3
	v_lshlrev_b32_e32 v10, 23, v10
	v_lshrrev_b32_e32 v12, 4, v12
	v_add_u32_e32 v11, 0x1000000, v3
	v_sub_u32_e32 v10, v12, v10
	v_ashrrev_i32_e32 v11, 8, v11
	v_add_u32_e32 v10, 0x3c000000, v10
	v_and_or_b32 v10, v11, s0, v10
	v_cmp_ne_u32_e32 vcc, 0, v3
	v_cndmask_b32_e32 v3, 0, v10, vcc
	s_brev_b32 s0, 1
	v_and_or_b32 v1, v1, s0, v3
.LBB40_869:
	s_mov_b64 s[0:1], 0
.LBB40_870:
	s_andn2_b64 vcc, exec, s[0:1]
	s_cbranch_vccnz .LBB40_872
; %bb.871:
	global_load_ubyte v1, v[4:5], off
	s_movk_i32 s0, 0x7f00
	s_brev_b32 s1, 16
	s_waitcnt vmcnt(0)
	v_lshlrev_b16_e32 v3, 8, v1
	v_lshlrev_b32_e32 v1, 25, v1
	v_lshrrev_b32_e32 v10, 4, v1
	v_and_or_b32 v11, v3, s0, 0.5
	v_or_b32_e32 v10, 0x70000000, v10
	v_add_f32_e32 v11, -0.5, v11
	v_mul_f32_e32 v10, 0x7800000, v10
	v_cmp_gt_u32_e32 vcc, s1, v1
	v_bfe_i32 v3, v3, 0, 16
	v_cndmask_b32_e32 v1, v10, v11, vcc
	s_brev_b32 s0, 1
	v_and_or_b32 v1, v3, s0, v1
.LBB40_872:
	s_mov_b64 s[56:57], 0
	s_mov_b64 s[0:1], -1
.LBB40_873:
	s_andn2_b64 vcc, exec, s[56:57]
	s_cbranch_vccnz .LBB40_886
; %bb.874:
	v_mov_b32_e32 v1, 14
	v_cmp_gt_i16_sdwa s[56:57], v9, v1 src0_sel:BYTE_0 src1_sel:DWORD
	s_and_b64 vcc, exec, s[56:57]
	s_cbranch_vccz .LBB40_877
; %bb.875:
	v_mov_b32_e32 v1, 15
	v_cmp_eq_u16_sdwa s[54:55], v9, v1 src0_sel:BYTE_0 src1_sel:DWORD
	s_and_b64 vcc, exec, s[54:55]
	s_cbranch_vccz .LBB40_880
; %bb.876:
	global_load_ushort v1, v[4:5], off
	s_mov_b64 s[0:1], -1
	s_mov_b64 s[54:55], 0
	s_waitcnt vmcnt(0)
	v_lshlrev_b32_e32 v1, 16, v1
	s_branch .LBB40_881
.LBB40_877:
	s_mov_b64 s[56:57], -1
                                        ; implicit-def: $vgpr1
	s_branch .LBB40_882
.LBB40_878:
	s_or_saveexec_b64 s[56:57], s[56:57]
	v_mov_b32_e32 v1, s60
	s_xor_b64 exec, exec, s[56:57]
	s_cbranch_execz .LBB40_859
.LBB40_879:
	v_cmp_ne_u16_e32 vcc, 0, v3
	s_andn2_b64 s[0:1], s[0:1], exec
	s_and_b64 s[58:59], vcc, exec
	v_mov_b32_e32 v1, 0
	s_or_b64 s[0:1], s[0:1], s[58:59]
	s_or_b64 exec, exec, s[56:57]
	s_and_saveexec_b64 s[56:57], s[0:1]
	s_cbranch_execnz .LBB40_860
	s_branch .LBB40_861
.LBB40_880:
	s_mov_b64 s[54:55], -1
                                        ; implicit-def: $vgpr1
.LBB40_881:
	s_mov_b64 s[56:57], 0
.LBB40_882:
	s_and_b64 vcc, exec, s[56:57]
	s_cbranch_vccz .LBB40_886
; %bb.883:
	v_mov_b32_e32 v1, 11
	v_cmp_eq_u16_sdwa s[54:55], v9, v1 src0_sel:BYTE_0 src1_sel:DWORD
	s_and_b64 vcc, exec, s[54:55]
	s_cbranch_vccz .LBB40_885
; %bb.884:
	global_load_ubyte v1, v[4:5], off
	s_mov_b64 s[0:1], -1
	s_mov_b64 s[54:55], 0
	s_waitcnt vmcnt(0)
	v_cmp_ne_u16_e32 vcc, 0, v1
	v_cndmask_b32_e64 v1, 0, 1.0, vcc
	s_branch .LBB40_886
.LBB40_885:
	s_mov_b64 s[54:55], -1
                                        ; implicit-def: $vgpr1
.LBB40_886:
	s_mov_b64 s[56:57], 0
.LBB40_887:
	s_and_b64 vcc, exec, s[56:57]
	s_cbranch_vccz .LBB40_936
; %bb.888:
	v_mov_b32_e32 v1, 5
	v_cmp_lt_i16_sdwa s[0:1], v9, v1 src0_sel:BYTE_0 src1_sel:DWORD
	s_and_b64 vcc, exec, s[0:1]
	s_cbranch_vccnz .LBB40_893
; %bb.889:
	v_mov_b32_e32 v1, 8
	v_cmp_lt_i16_sdwa s[0:1], v9, v1 src0_sel:BYTE_0 src1_sel:DWORD
	s_and_b64 vcc, exec, s[0:1]
	s_cbranch_vccnz .LBB40_894
	;; [unrolled: 5-line block ×3, first 2 shown]
; %bb.891:
	v_cmp_gt_i16_sdwa s[0:1], v9, v1 src0_sel:BYTE_0 src1_sel:DWORD
	s_and_b64 vcc, exec, s[0:1]
	s_cbranch_vccz .LBB40_896
; %bb.892:
	global_load_dwordx2 v[10:11], v[4:5], off
	s_mov_b64 s[0:1], 0
	s_waitcnt vmcnt(0)
	v_cvt_f32_f64_e32 v1, v[10:11]
	s_branch .LBB40_897
.LBB40_893:
	s_mov_b64 s[0:1], -1
                                        ; implicit-def: $vgpr1
	s_branch .LBB40_915
.LBB40_894:
	s_mov_b64 s[0:1], -1
                                        ; implicit-def: $vgpr1
	s_branch .LBB40_903
.LBB40_895:
	s_mov_b64 s[0:1], -1
                                        ; implicit-def: $vgpr1
	s_branch .LBB40_900
.LBB40_896:
	s_mov_b64 s[0:1], -1
                                        ; implicit-def: $vgpr1
.LBB40_897:
	s_andn2_b64 vcc, exec, s[0:1]
	s_cbranch_vccnz .LBB40_899
; %bb.898:
	global_load_dword v1, v[4:5], off
.LBB40_899:
	s_mov_b64 s[0:1], 0
.LBB40_900:
	s_andn2_b64 vcc, exec, s[0:1]
	s_cbranch_vccnz .LBB40_902
; %bb.901:
	global_load_dword v1, v[4:5], off
	s_waitcnt vmcnt(0)
	v_cvt_f32_f16_e32 v1, v1
.LBB40_902:
	s_mov_b64 s[0:1], 0
.LBB40_903:
	s_andn2_b64 vcc, exec, s[0:1]
	s_cbranch_vccnz .LBB40_914
; %bb.904:
	s_waitcnt vmcnt(0)
	v_mov_b32_e32 v1, 6
	v_cmp_lt_i16_sdwa s[0:1], v9, v1 src0_sel:BYTE_0 src1_sel:DWORD
	s_and_b64 vcc, exec, s[0:1]
	s_cbranch_vccnz .LBB40_907
; %bb.905:
	v_cmp_gt_i16_sdwa s[0:1], v9, v1 src0_sel:BYTE_0 src1_sel:DWORD
	s_and_b64 vcc, exec, s[0:1]
	s_cbranch_vccz .LBB40_908
; %bb.906:
	global_load_dwordx2 v[10:11], v[4:5], off
	s_mov_b64 s[0:1], 0
	s_waitcnt vmcnt(0)
	v_cvt_f32_f64_e32 v1, v[10:11]
	s_branch .LBB40_909
.LBB40_907:
	s_mov_b64 s[0:1], -1
                                        ; implicit-def: $vgpr1
	s_branch .LBB40_912
.LBB40_908:
	s_mov_b64 s[0:1], -1
                                        ; implicit-def: $vgpr1
.LBB40_909:
	s_andn2_b64 vcc, exec, s[0:1]
	s_cbranch_vccnz .LBB40_911
; %bb.910:
	global_load_dword v1, v[4:5], off
.LBB40_911:
	s_mov_b64 s[0:1], 0
.LBB40_912:
	s_andn2_b64 vcc, exec, s[0:1]
	s_cbranch_vccnz .LBB40_914
; %bb.913:
	global_load_ushort v1, v[4:5], off
	s_waitcnt vmcnt(0)
	v_cvt_f32_f16_e32 v1, v1
.LBB40_914:
	s_mov_b64 s[0:1], 0
.LBB40_915:
	s_andn2_b64 vcc, exec, s[0:1]
	s_cbranch_vccnz .LBB40_935
; %bb.916:
	s_waitcnt vmcnt(0)
	v_mov_b32_e32 v1, 2
	v_cmp_lt_i16_sdwa s[0:1], v9, v1 src0_sel:BYTE_0 src1_sel:DWORD
	s_and_b64 vcc, exec, s[0:1]
	s_cbranch_vccnz .LBB40_920
; %bb.917:
	v_mov_b32_e32 v1, 3
	v_cmp_lt_i16_sdwa s[0:1], v9, v1 src0_sel:BYTE_0 src1_sel:DWORD
	s_and_b64 vcc, exec, s[0:1]
	s_cbranch_vccnz .LBB40_921
; %bb.918:
	v_cmp_gt_i16_sdwa s[0:1], v9, v1 src0_sel:BYTE_0 src1_sel:DWORD
	s_and_b64 vcc, exec, s[0:1]
	s_cbranch_vccz .LBB40_922
; %bb.919:
	global_load_dwordx2 v[10:11], v[4:5], off
	s_mov_b64 s[0:1], 0
	s_waitcnt vmcnt(0)
	v_xor_b32_e32 v3, v10, v11
	v_ffbh_i32_e32 v1, v11
	v_ashrrev_i32_e32 v3, 31, v3
	v_add_u32_e32 v1, -1, v1
	v_add_u32_e32 v3, 32, v3
	v_min_u32_e32 v1, v1, v3
	v_lshlrev_b64 v[10:11], v1, v[10:11]
	v_min_u32_e32 v3, 1, v10
	v_or_b32_e32 v3, v11, v3
	v_cvt_f32_i32_e32 v3, v3
	v_sub_u32_e32 v1, 32, v1
	v_ldexp_f32 v1, v3, v1
	s_branch .LBB40_923
.LBB40_920:
	s_mov_b64 s[0:1], -1
                                        ; implicit-def: $vgpr1
	s_branch .LBB40_929
.LBB40_921:
	s_mov_b64 s[0:1], -1
                                        ; implicit-def: $vgpr1
	s_branch .LBB40_926
.LBB40_922:
	s_mov_b64 s[0:1], -1
                                        ; implicit-def: $vgpr1
.LBB40_923:
	s_andn2_b64 vcc, exec, s[0:1]
	s_cbranch_vccnz .LBB40_925
; %bb.924:
	global_load_dword v1, v[4:5], off
	s_waitcnt vmcnt(0)
	v_cvt_f32_i32_e32 v1, v1
.LBB40_925:
	s_mov_b64 s[0:1], 0
.LBB40_926:
	s_andn2_b64 vcc, exec, s[0:1]
	s_cbranch_vccnz .LBB40_928
; %bb.927:
	global_load_sshort v1, v[4:5], off
	s_waitcnt vmcnt(0)
	v_cvt_f32_i32_e32 v1, v1
.LBB40_928:
	s_mov_b64 s[0:1], 0
.LBB40_929:
	s_andn2_b64 vcc, exec, s[0:1]
	s_cbranch_vccnz .LBB40_935
; %bb.930:
	v_mov_b32_e32 v1, 0
	v_cmp_gt_i16_sdwa s[0:1], v9, v1 src0_sel:BYTE_0 src1_sel:DWORD
	s_and_b64 vcc, exec, s[0:1]
	s_cbranch_vccz .LBB40_932
; %bb.931:
	global_load_sbyte v1, v[4:5], off
	s_mov_b64 s[0:1], 0
	s_waitcnt vmcnt(0)
	v_cvt_f32_i32_e32 v1, v1
	s_branch .LBB40_933
.LBB40_932:
	s_mov_b64 s[0:1], -1
                                        ; implicit-def: $vgpr1
.LBB40_933:
	s_andn2_b64 vcc, exec, s[0:1]
	s_cbranch_vccnz .LBB40_935
; %bb.934:
	global_load_ubyte v1, v[4:5], off
	s_waitcnt vmcnt(0)
	v_cvt_f32_ubyte0_e32 v1, v1
.LBB40_935:
	s_mov_b64 s[0:1], -1
.LBB40_936:
	s_andn2_b64 vcc, exec, s[0:1]
	s_cbranch_vccnz .LBB40_944
; %bb.937:
	v_mov_b32_e32 v3, s25
	v_add_co_u32_e32 v2, vcc, s24, v2
	v_mov_b32_e32 v4, 11
	v_addc_co_u32_e32 v3, vcc, 0, v3, vcc
	v_cmp_lt_i16_sdwa s[0:1], v7, v4 src0_sel:BYTE_0 src1_sel:DWORD
	s_and_b64 vcc, exec, s[0:1]
	s_cbranch_vccnz .LBB40_946
; %bb.938:
	v_mov_b32_e32 v4, 25
	v_cmp_gt_i16_sdwa s[0:1], v7, v4 src0_sel:BYTE_0 src1_sel:DWORD
	s_and_b64 vcc, exec, s[0:1]
	s_cbranch_vccz .LBB40_947
; %bb.939:
	v_mov_b32_e32 v4, 28
	v_cmp_gt_i16_sdwa s[0:1], v7, v4 src0_sel:BYTE_0 src1_sel:DWORD
	s_and_b64 vcc, exec, s[0:1]
	s_cbranch_vccz .LBB40_948
	;; [unrolled: 5-line block ×4, first 2 shown]
; %bb.942:
	v_mov_b32_e32 v4, 46
	v_cmp_eq_u16_sdwa s[0:1], v7, v4 src0_sel:BYTE_0 src1_sel:DWORD
	s_mov_b64 s[58:59], 0
	s_and_b64 vcc, exec, s[0:1]
	s_cbranch_vccz .LBB40_953
; %bb.943:
	global_load_dword v4, v[2:3], off
	s_mov_b64 s[0:1], -1
	s_mov_b64 s[56:57], 0
	s_waitcnt vmcnt(0)
	v_lshlrev_b32_e32 v4, 16, v4
	s_branch .LBB40_954
.LBB40_944:
	s_mov_b64 s[60:61], 0
	s_mov_b64 s[0:1], s[48:49]
	;; [unrolled: 1-line block ×3, first 2 shown]
.LBB40_945:
                                        ; implicit-def: $vgpr8
	s_branch .LBB40_1192
.LBB40_946:
	s_mov_b64 s[58:59], -1
	s_mov_b64 s[0:1], 0
                                        ; implicit-def: $vgpr4
	s_mov_b64 s[56:57], s[46:47]
	s_branch .LBB40_1019
.LBB40_947:
	s_mov_b64 s[58:59], -1
	s_mov_b64 s[0:1], 0
	s_mov_b64 s[56:57], s[46:47]
                                        ; implicit-def: $vgpr4
	s_branch .LBB40_983
.LBB40_948:
	s_mov_b64 s[58:59], -1
	s_mov_b64 s[0:1], 0
	s_mov_b64 s[56:57], s[46:47]
                                        ; implicit-def: $vgpr4
	s_branch .LBB40_964
.LBB40_949:
	s_mov_b64 s[58:59], -1
	s_mov_b64 s[0:1], 0
	s_mov_b64 s[56:57], s[46:47]
                                        ; implicit-def: $vgpr4
	s_branch .LBB40_959
.LBB40_950:
	s_mov_b64 s[58:59], -1
	s_mov_b64 s[0:1], 0
	s_mov_b64 s[56:57], s[46:47]
                                        ; implicit-def: $vgpr4
	s_branch .LBB40_954
.LBB40_951:
	s_or_saveexec_b64 s[54:55], s[54:55]
                                        ; implicit-def: $sgpr56
	s_xor_b64 exec, exec, s[54:55]
	s_cbranch_execz .LBB40_716
.LBB40_952:
	s_mov_b32 s56, 0x42800000
	v_add_f32_e64 v3, |v2|, s56
	v_and_b32_e32 v3, 0xff, v3
	v_cmp_ne_u32_e32 vcc, 0, v3
	s_andn2_b64 s[52:53], s[52:53], exec
	s_and_b64 s[58:59], vcc, exec
	s_mov_b32 s56, 0
	s_or_b64 s[52:53], s[52:53], s[58:59]
	s_or_b64 exec, exec, s[54:55]
	v_mov_b32_e32 v4, s56
	s_and_saveexec_b64 s[54:55], s[52:53]
	s_cbranch_execnz .LBB40_717
	s_branch .LBB40_718
.LBB40_953:
	s_mov_b64 s[56:57], -1
                                        ; implicit-def: $vgpr4
	s_mov_b64 s[0:1], 0
.LBB40_954:
	s_and_b64 vcc, exec, s[58:59]
	s_cbranch_vccz .LBB40_958
; %bb.955:
	v_mov_b32_e32 v4, 44
	v_cmp_eq_u16_sdwa s[56:57], v7, v4 src0_sel:BYTE_0 src1_sel:DWORD
	s_and_b64 vcc, exec, s[56:57]
	s_cbranch_vccz .LBB40_957
; %bb.956:
	global_load_ubyte v4, v[2:3], off
	s_movk_i32 s56, 0xff
	v_mov_b32_e32 v5, 0x7f800001
	v_mov_b32_e32 v10, 0x400000
	s_mov_b64 s[0:1], -1
	s_waitcnt vmcnt(0)
	v_lshlrev_b32_e32 v11, 23, v4
	v_cmp_ne_u32_e32 vcc, s56, v4
	v_cndmask_b32_e32 v5, v5, v11, vcc
	v_cmp_ne_u32_e32 vcc, 0, v4
	v_cndmask_b32_e32 v4, v10, v5, vcc
	s_mov_b64 s[56:57], 0
	s_branch .LBB40_958
.LBB40_957:
	s_mov_b64 s[56:57], -1
                                        ; implicit-def: $vgpr4
.LBB40_958:
	s_mov_b64 s[58:59], 0
.LBB40_959:
	s_and_b64 vcc, exec, s[58:59]
	s_cbranch_vccz .LBB40_963
; %bb.960:
	v_mov_b32_e32 v4, 29
	v_cmp_eq_u16_sdwa s[56:57], v7, v4 src0_sel:BYTE_0 src1_sel:DWORD
	s_and_b64 vcc, exec, s[56:57]
	s_cbranch_vccz .LBB40_962
; %bb.961:
	global_load_dwordx2 v[4:5], v[2:3], off
	s_mov_b64 s[0:1], -1
	s_mov_b64 s[56:57], 0
	s_mov_b64 s[58:59], 0
	s_waitcnt vmcnt(0)
	v_ffbh_u32_e32 v10, v5
	v_min_u32_e32 v10, 32, v10
	v_lshlrev_b64 v[4:5], v10, v[4:5]
	v_min_u32_e32 v4, 1, v4
	v_or_b32_e32 v4, v5, v4
	v_cvt_f32_u32_e32 v4, v4
	v_sub_u32_e32 v5, 32, v10
	v_ldexp_f32 v4, v4, v5
	s_branch .LBB40_964
.LBB40_962:
	s_mov_b64 s[56:57], -1
                                        ; implicit-def: $vgpr4
.LBB40_963:
	s_mov_b64 s[58:59], 0
.LBB40_964:
	s_and_b64 vcc, exec, s[58:59]
	s_cbranch_vccz .LBB40_982
; %bb.965:
	v_mov_b32_e32 v4, 27
	v_cmp_lt_i16_sdwa s[0:1], v7, v4 src0_sel:BYTE_0 src1_sel:DWORD
	s_and_b64 vcc, exec, s[0:1]
	s_cbranch_vccnz .LBB40_968
; %bb.966:
	v_cmp_gt_i16_sdwa s[0:1], v7, v4 src0_sel:BYTE_0 src1_sel:DWORD
	s_and_b64 vcc, exec, s[0:1]
	s_cbranch_vccz .LBB40_969
; %bb.967:
	global_load_dword v4, v[2:3], off
	s_mov_b64 s[0:1], 0
	s_waitcnt vmcnt(0)
	v_cvt_f32_u32_e32 v4, v4
	s_branch .LBB40_970
.LBB40_968:
	s_mov_b64 s[0:1], -1
                                        ; implicit-def: $vgpr4
	s_branch .LBB40_973
.LBB40_969:
	s_mov_b64 s[0:1], -1
                                        ; implicit-def: $vgpr4
.LBB40_970:
	s_andn2_b64 vcc, exec, s[0:1]
	s_cbranch_vccnz .LBB40_972
; %bb.971:
	global_load_ushort v4, v[2:3], off
	s_waitcnt vmcnt(0)
	v_cvt_f32_u32_e32 v4, v4
.LBB40_972:
	s_mov_b64 s[0:1], 0
.LBB40_973:
	s_andn2_b64 vcc, exec, s[0:1]
	s_cbranch_vccnz .LBB40_981
; %bb.974:
	global_load_ubyte v5, v[2:3], off
	s_movk_i32 s0, 0x7f
                                        ; implicit-def: $sgpr62
	s_waitcnt vmcnt(0)
	v_cmp_lt_i16_e32 vcc, s0, v5
	s_mov_b64 s[0:1], 0
	s_and_saveexec_b64 s[58:59], vcc
	s_xor_b64 s[58:59], exec, s[58:59]
	s_cbranch_execz .LBB40_995
; %bb.975:
	s_movk_i32 s0, 0x80
	v_cmp_eq_u16_e32 vcc, s0, v5
	s_mov_b64 s[0:1], -1
                                        ; implicit-def: $sgpr62
	s_and_saveexec_b64 s[60:61], vcc
; %bb.976:
	s_mov_b32 s62, 0x7f800001
	s_xor_b64 s[0:1], exec, -1
; %bb.977:
	s_or_b64 exec, exec, s[60:61]
	s_and_b64 s[0:1], s[0:1], exec
	s_or_saveexec_b64 s[58:59], s[58:59]
	v_mov_b32_e32 v4, s62
	s_xor_b64 exec, exec, s[58:59]
	s_cbranch_execnz .LBB40_996
.LBB40_978:
	s_or_b64 exec, exec, s[58:59]
	s_and_saveexec_b64 s[58:59], s[0:1]
	s_cbranch_execz .LBB40_980
.LBB40_979:
	v_lshlrev_b32_e32 v4, 24, v5
	v_and_b32_e32 v5, 0xffff, v5
	v_and_b32_e32 v10, 7, v5
	v_ffbh_u32_e32 v12, v10
	v_min_u32_e32 v12, 32, v12
	v_subrev_u32_e32 v13, 28, v12
	v_bfe_u32 v11, v5, 3, 4
	v_lshlrev_b32_e32 v5, v13, v5
	v_sub_u32_e32 v12, 29, v12
	v_and_b32_e32 v5, 7, v5
	v_cmp_eq_u32_e32 vcc, 0, v11
	v_cndmask_b32_e32 v11, v11, v12, vcc
	v_cndmask_b32_e32 v5, v10, v5, vcc
	v_mov_b32_e32 v10, 0x3b800000
	v_lshlrev_b32_e32 v5, 20, v5
	v_and_b32_e32 v4, 0x80000000, v4
	v_lshl_add_u32 v10, v11, 23, v10
	v_or3_b32 v4, v4, v10, v5
.LBB40_980:
	s_or_b64 exec, exec, s[58:59]
.LBB40_981:
	s_mov_b64 s[0:1], -1
.LBB40_982:
	s_mov_b64 s[58:59], 0
.LBB40_983:
	s_and_b64 vcc, exec, s[58:59]
	s_cbranch_vccz .LBB40_1018
; %bb.984:
	v_mov_b32_e32 v4, 22
	v_cmp_gt_i16_sdwa s[58:59], v7, v4 src0_sel:BYTE_0 src1_sel:DWORD
	s_and_b64 vcc, exec, s[58:59]
	s_cbranch_vccz .LBB40_994
; %bb.985:
	v_mov_b32_e32 v4, 24
	v_cmp_lt_i16_sdwa s[0:1], v7, v4 src0_sel:BYTE_0 src1_sel:DWORD
	s_and_b64 vcc, exec, s[0:1]
	s_cbranch_vccnz .LBB40_997
; %bb.986:
	v_cmp_gt_i16_sdwa s[0:1], v7, v4 src0_sel:BYTE_0 src1_sel:DWORD
	s_and_b64 vcc, exec, s[0:1]
	s_cbranch_vccz .LBB40_998
; %bb.987:
	global_load_ubyte v5, v[2:3], off
	s_movk_i32 s0, 0x7f
                                        ; implicit-def: $sgpr62
	s_waitcnt vmcnt(0)
	v_cmp_lt_i16_e32 vcc, s0, v5
	s_mov_b64 s[0:1], 0
	s_and_saveexec_b64 s[58:59], vcc
	s_xor_b64 s[58:59], exec, s[58:59]
	s_cbranch_execz .LBB40_1010
; %bb.988:
	s_movk_i32 s0, 0x80
	v_cmp_eq_u16_e32 vcc, s0, v5
	s_mov_b64 s[0:1], -1
                                        ; implicit-def: $sgpr62
	s_and_saveexec_b64 s[60:61], vcc
; %bb.989:
	s_mov_b32 s62, 0x7f800001
	s_xor_b64 s[0:1], exec, -1
; %bb.990:
	s_or_b64 exec, exec, s[60:61]
	s_and_b64 s[0:1], s[0:1], exec
	s_or_saveexec_b64 s[58:59], s[58:59]
	v_mov_b32_e32 v4, s62
	s_xor_b64 exec, exec, s[58:59]
	s_cbranch_execnz .LBB40_1011
.LBB40_991:
	s_or_b64 exec, exec, s[58:59]
	s_and_saveexec_b64 s[58:59], s[0:1]
	s_cbranch_execz .LBB40_993
.LBB40_992:
	v_lshlrev_b32_e32 v4, 24, v5
	v_and_b32_e32 v5, 0xffff, v5
	v_and_b32_e32 v10, 3, v5
	v_ffbh_u32_e32 v12, v10
	v_min_u32_e32 v12, 32, v12
	v_subrev_u32_e32 v13, 29, v12
	v_bfe_u32 v11, v5, 2, 5
	v_lshlrev_b32_e32 v5, v13, v5
	v_sub_u32_e32 v12, 30, v12
	v_and_b32_e32 v5, 3, v5
	v_cmp_eq_u32_e32 vcc, 0, v11
	v_cndmask_b32_e32 v11, v11, v12, vcc
	v_cndmask_b32_e32 v5, v10, v5, vcc
	v_mov_b32_e32 v10, 0x37800000
	v_lshlrev_b32_e32 v5, 21, v5
	v_and_b32_e32 v4, 0x80000000, v4
	v_lshl_add_u32 v10, v11, 23, v10
	v_or3_b32 v4, v4, v10, v5
.LBB40_993:
	s_or_b64 exec, exec, s[58:59]
	s_mov_b64 s[0:1], 0
	s_branch .LBB40_999
.LBB40_994:
	s_mov_b64 s[58:59], -1
                                        ; implicit-def: $vgpr4
	s_branch .LBB40_1005
.LBB40_995:
	s_or_saveexec_b64 s[58:59], s[58:59]
	v_mov_b32_e32 v4, s62
	s_xor_b64 exec, exec, s[58:59]
	s_cbranch_execz .LBB40_978
.LBB40_996:
	v_cmp_ne_u16_e32 vcc, 0, v5
	s_andn2_b64 s[0:1], s[0:1], exec
	s_and_b64 s[60:61], vcc, exec
	v_mov_b32_e32 v4, 0
	s_or_b64 s[0:1], s[0:1], s[60:61]
	s_or_b64 exec, exec, s[58:59]
	s_and_saveexec_b64 s[58:59], s[0:1]
	s_cbranch_execnz .LBB40_979
	s_branch .LBB40_980
.LBB40_997:
	s_mov_b64 s[0:1], -1
                                        ; implicit-def: $vgpr4
	s_branch .LBB40_1002
.LBB40_998:
	s_mov_b64 s[0:1], -1
                                        ; implicit-def: $vgpr4
.LBB40_999:
	s_and_b64 vcc, exec, s[0:1]
	s_cbranch_vccz .LBB40_1001
; %bb.1000:
	global_load_ubyte v4, v[2:3], off
	s_mov_b32 s0, 0x7f800000
	s_waitcnt vmcnt(0)
	v_lshlrev_b32_e32 v4, 24, v4
	v_and_b32_e32 v5, 0x7f000000, v4
	v_ffbh_u32_e32 v10, v5
	v_min_u32_e32 v10, 32, v10
	v_sub_u32_e64 v10, v10, 4 clamp
	v_lshlrev_b32_e32 v12, v10, v5
	v_lshlrev_b32_e32 v10, 23, v10
	v_lshrrev_b32_e32 v12, 4, v12
	v_add_u32_e32 v11, 0x1000000, v5
	v_sub_u32_e32 v10, v12, v10
	v_ashrrev_i32_e32 v11, 8, v11
	v_add_u32_e32 v10, 0x3c000000, v10
	v_and_or_b32 v10, v11, s0, v10
	v_cmp_ne_u32_e32 vcc, 0, v5
	v_cndmask_b32_e32 v5, 0, v10, vcc
	s_brev_b32 s0, 1
	v_and_or_b32 v4, v4, s0, v5
.LBB40_1001:
	s_mov_b64 s[0:1], 0
.LBB40_1002:
	s_andn2_b64 vcc, exec, s[0:1]
	s_cbranch_vccnz .LBB40_1004
; %bb.1003:
	global_load_ubyte v4, v[2:3], off
	s_movk_i32 s0, 0x7f00
	s_brev_b32 s1, 16
	s_waitcnt vmcnt(0)
	v_lshlrev_b16_e32 v5, 8, v4
	v_lshlrev_b32_e32 v4, 25, v4
	v_lshrrev_b32_e32 v10, 4, v4
	v_and_or_b32 v11, v5, s0, 0.5
	v_or_b32_e32 v10, 0x70000000, v10
	v_add_f32_e32 v11, -0.5, v11
	v_mul_f32_e32 v10, 0x7800000, v10
	v_cmp_gt_u32_e32 vcc, s1, v4
	v_bfe_i32 v5, v5, 0, 16
	v_cndmask_b32_e32 v4, v10, v11, vcc
	s_brev_b32 s0, 1
	v_and_or_b32 v4, v5, s0, v4
.LBB40_1004:
	s_mov_b64 s[58:59], 0
	s_mov_b64 s[0:1], -1
.LBB40_1005:
	s_andn2_b64 vcc, exec, s[58:59]
	s_cbranch_vccnz .LBB40_1018
; %bb.1006:
	v_mov_b32_e32 v4, 14
	v_cmp_gt_i16_sdwa s[58:59], v7, v4 src0_sel:BYTE_0 src1_sel:DWORD
	s_and_b64 vcc, exec, s[58:59]
	s_cbranch_vccz .LBB40_1009
; %bb.1007:
	v_mov_b32_e32 v4, 15
	v_cmp_eq_u16_sdwa s[56:57], v7, v4 src0_sel:BYTE_0 src1_sel:DWORD
	s_and_b64 vcc, exec, s[56:57]
	s_cbranch_vccz .LBB40_1012
; %bb.1008:
	global_load_ushort v4, v[2:3], off
	s_mov_b64 s[0:1], -1
	s_mov_b64 s[56:57], 0
	s_waitcnt vmcnt(0)
	v_lshlrev_b32_e32 v4, 16, v4
	s_branch .LBB40_1013
.LBB40_1009:
	s_mov_b64 s[58:59], -1
                                        ; implicit-def: $vgpr4
	s_branch .LBB40_1014
.LBB40_1010:
	s_or_saveexec_b64 s[58:59], s[58:59]
	v_mov_b32_e32 v4, s62
	s_xor_b64 exec, exec, s[58:59]
	s_cbranch_execz .LBB40_991
.LBB40_1011:
	v_cmp_ne_u16_e32 vcc, 0, v5
	s_andn2_b64 s[0:1], s[0:1], exec
	s_and_b64 s[60:61], vcc, exec
	v_mov_b32_e32 v4, 0
	s_or_b64 s[0:1], s[0:1], s[60:61]
	s_or_b64 exec, exec, s[58:59]
	s_and_saveexec_b64 s[58:59], s[0:1]
	s_cbranch_execnz .LBB40_992
	s_branch .LBB40_993
.LBB40_1012:
	s_mov_b64 s[56:57], -1
                                        ; implicit-def: $vgpr4
.LBB40_1013:
	s_mov_b64 s[58:59], 0
.LBB40_1014:
	s_and_b64 vcc, exec, s[58:59]
	s_cbranch_vccz .LBB40_1018
; %bb.1015:
	v_mov_b32_e32 v4, 11
	v_cmp_eq_u16_sdwa s[56:57], v7, v4 src0_sel:BYTE_0 src1_sel:DWORD
	s_and_b64 vcc, exec, s[56:57]
	s_cbranch_vccz .LBB40_1017
; %bb.1016:
	global_load_ubyte v4, v[2:3], off
	s_mov_b64 s[0:1], -1
	s_mov_b64 s[56:57], 0
	s_waitcnt vmcnt(0)
	v_cmp_ne_u16_e32 vcc, 0, v4
	v_cndmask_b32_e64 v4, 0, 1.0, vcc
	s_branch .LBB40_1018
.LBB40_1017:
	s_mov_b64 s[56:57], -1
                                        ; implicit-def: $vgpr4
.LBB40_1018:
	s_mov_b64 s[58:59], 0
.LBB40_1019:
	s_and_b64 vcc, exec, s[58:59]
	s_cbranch_vccz .LBB40_1068
; %bb.1020:
	v_mov_b32_e32 v4, 5
	v_cmp_lt_i16_sdwa s[0:1], v7, v4 src0_sel:BYTE_0 src1_sel:DWORD
	s_and_b64 vcc, exec, s[0:1]
	s_cbranch_vccnz .LBB40_1025
; %bb.1021:
	v_mov_b32_e32 v4, 8
	v_cmp_lt_i16_sdwa s[0:1], v7, v4 src0_sel:BYTE_0 src1_sel:DWORD
	s_and_b64 vcc, exec, s[0:1]
	s_cbranch_vccnz .LBB40_1026
	;; [unrolled: 5-line block ×3, first 2 shown]
; %bb.1023:
	v_cmp_gt_i16_sdwa s[0:1], v7, v4 src0_sel:BYTE_0 src1_sel:DWORD
	s_and_b64 vcc, exec, s[0:1]
	s_cbranch_vccz .LBB40_1028
; %bb.1024:
	global_load_dwordx2 v[4:5], v[2:3], off
	s_mov_b64 s[0:1], 0
	s_waitcnt vmcnt(0)
	v_cvt_f32_f64_e32 v4, v[4:5]
	s_branch .LBB40_1029
.LBB40_1025:
	s_mov_b64 s[0:1], -1
                                        ; implicit-def: $vgpr4
	s_branch .LBB40_1047
.LBB40_1026:
	s_mov_b64 s[0:1], -1
                                        ; implicit-def: $vgpr4
	s_branch .LBB40_1035
.LBB40_1027:
	s_mov_b64 s[0:1], -1
                                        ; implicit-def: $vgpr4
	s_branch .LBB40_1032
.LBB40_1028:
	s_mov_b64 s[0:1], -1
                                        ; implicit-def: $vgpr4
.LBB40_1029:
	s_andn2_b64 vcc, exec, s[0:1]
	s_cbranch_vccnz .LBB40_1031
; %bb.1030:
	global_load_dword v4, v[2:3], off
.LBB40_1031:
	s_mov_b64 s[0:1], 0
.LBB40_1032:
	s_andn2_b64 vcc, exec, s[0:1]
	s_cbranch_vccnz .LBB40_1034
; %bb.1033:
	global_load_dword v4, v[2:3], off
	s_waitcnt vmcnt(0)
	v_cvt_f32_f16_e32 v4, v4
.LBB40_1034:
	s_mov_b64 s[0:1], 0
.LBB40_1035:
	s_andn2_b64 vcc, exec, s[0:1]
	s_cbranch_vccnz .LBB40_1046
; %bb.1036:
	s_waitcnt vmcnt(0)
	v_mov_b32_e32 v4, 6
	v_cmp_lt_i16_sdwa s[0:1], v7, v4 src0_sel:BYTE_0 src1_sel:DWORD
	s_and_b64 vcc, exec, s[0:1]
	s_cbranch_vccnz .LBB40_1039
; %bb.1037:
	v_cmp_gt_i16_sdwa s[0:1], v7, v4 src0_sel:BYTE_0 src1_sel:DWORD
	s_and_b64 vcc, exec, s[0:1]
	s_cbranch_vccz .LBB40_1040
; %bb.1038:
	global_load_dwordx2 v[4:5], v[2:3], off
	s_mov_b64 s[0:1], 0
	s_waitcnt vmcnt(0)
	v_cvt_f32_f64_e32 v4, v[4:5]
	s_branch .LBB40_1041
.LBB40_1039:
	s_mov_b64 s[0:1], -1
                                        ; implicit-def: $vgpr4
	s_branch .LBB40_1044
.LBB40_1040:
	s_mov_b64 s[0:1], -1
                                        ; implicit-def: $vgpr4
.LBB40_1041:
	s_andn2_b64 vcc, exec, s[0:1]
	s_cbranch_vccnz .LBB40_1043
; %bb.1042:
	global_load_dword v4, v[2:3], off
.LBB40_1043:
	s_mov_b64 s[0:1], 0
.LBB40_1044:
	s_andn2_b64 vcc, exec, s[0:1]
	s_cbranch_vccnz .LBB40_1046
; %bb.1045:
	global_load_ushort v4, v[2:3], off
	s_waitcnt vmcnt(0)
	v_cvt_f32_f16_e32 v4, v4
.LBB40_1046:
	s_mov_b64 s[0:1], 0
.LBB40_1047:
	s_andn2_b64 vcc, exec, s[0:1]
	s_cbranch_vccnz .LBB40_1067
; %bb.1048:
	s_waitcnt vmcnt(0)
	v_mov_b32_e32 v4, 2
	v_cmp_lt_i16_sdwa s[0:1], v7, v4 src0_sel:BYTE_0 src1_sel:DWORD
	s_and_b64 vcc, exec, s[0:1]
	s_cbranch_vccnz .LBB40_1052
; %bb.1049:
	v_mov_b32_e32 v4, 3
	v_cmp_lt_i16_sdwa s[0:1], v7, v4 src0_sel:BYTE_0 src1_sel:DWORD
	s_and_b64 vcc, exec, s[0:1]
	s_cbranch_vccnz .LBB40_1053
; %bb.1050:
	v_cmp_gt_i16_sdwa s[0:1], v7, v4 src0_sel:BYTE_0 src1_sel:DWORD
	s_and_b64 vcc, exec, s[0:1]
	s_cbranch_vccz .LBB40_1054
; %bb.1051:
	global_load_dwordx2 v[4:5], v[2:3], off
	s_mov_b64 s[0:1], 0
	s_waitcnt vmcnt(0)
	v_xor_b32_e32 v11, v4, v5
	v_ffbh_i32_e32 v10, v5
	v_ashrrev_i32_e32 v11, 31, v11
	v_add_u32_e32 v10, -1, v10
	v_add_u32_e32 v11, 32, v11
	v_min_u32_e32 v10, v10, v11
	v_lshlrev_b64 v[4:5], v10, v[4:5]
	v_min_u32_e32 v4, 1, v4
	v_or_b32_e32 v4, v5, v4
	v_cvt_f32_i32_e32 v4, v4
	v_sub_u32_e32 v5, 32, v10
	v_ldexp_f32 v4, v4, v5
	s_branch .LBB40_1055
.LBB40_1052:
	s_mov_b64 s[0:1], -1
                                        ; implicit-def: $vgpr4
	s_branch .LBB40_1061
.LBB40_1053:
	s_mov_b64 s[0:1], -1
                                        ; implicit-def: $vgpr4
	s_branch .LBB40_1058
.LBB40_1054:
	s_mov_b64 s[0:1], -1
                                        ; implicit-def: $vgpr4
.LBB40_1055:
	s_andn2_b64 vcc, exec, s[0:1]
	s_cbranch_vccnz .LBB40_1057
; %bb.1056:
	global_load_dword v4, v[2:3], off
	s_waitcnt vmcnt(0)
	v_cvt_f32_i32_e32 v4, v4
.LBB40_1057:
	s_mov_b64 s[0:1], 0
.LBB40_1058:
	s_andn2_b64 vcc, exec, s[0:1]
	s_cbranch_vccnz .LBB40_1060
; %bb.1059:
	global_load_sshort v4, v[2:3], off
	s_waitcnt vmcnt(0)
	v_cvt_f32_i32_e32 v4, v4
.LBB40_1060:
	s_mov_b64 s[0:1], 0
.LBB40_1061:
	s_andn2_b64 vcc, exec, s[0:1]
	s_cbranch_vccnz .LBB40_1067
; %bb.1062:
	v_mov_b32_e32 v4, 0
	v_cmp_gt_i16_sdwa s[0:1], v7, v4 src0_sel:BYTE_0 src1_sel:DWORD
	s_and_b64 vcc, exec, s[0:1]
	s_cbranch_vccz .LBB40_1064
; %bb.1063:
	global_load_sbyte v4, v[2:3], off
	s_mov_b64 s[0:1], 0
	s_waitcnt vmcnt(0)
	v_cvt_f32_i32_e32 v4, v4
	s_branch .LBB40_1065
.LBB40_1064:
	s_mov_b64 s[0:1], -1
                                        ; implicit-def: $vgpr4
.LBB40_1065:
	s_andn2_b64 vcc, exec, s[0:1]
	s_cbranch_vccnz .LBB40_1067
; %bb.1066:
	global_load_ubyte v2, v[2:3], off
	s_waitcnt vmcnt(0)
	v_cvt_f32_ubyte0_e32 v4, v2
.LBB40_1067:
	s_mov_b64 s[0:1], -1
.LBB40_1068:
	s_andn2_b64 vcc, exec, s[0:1]
	s_cbranch_vccnz .LBB40_1076
; %bb.1069:
	s_waitcnt vmcnt(0)
	v_mul_f32_e32 v2, v1, v4
	v_cmp_lt_f32_e32 vcc, 0, v1
	v_cndmask_b32_e32 v2, v2, v1, vcc
	v_mov_b32_e32 v1, s9
	v_add_co_u32_e32 v0, vcc, s8, v0
	v_mov_b32_e32 v3, 11
	v_addc_co_u32_e32 v1, vcc, 0, v1, vcc
	v_cmp_lt_i16_sdwa s[0:1], v6, v3 src0_sel:BYTE_0 src1_sel:DWORD
	s_and_b64 vcc, exec, s[0:1]
	s_cbranch_vccnz .LBB40_1077
; %bb.1070:
	v_mov_b32_e32 v3, 25
	v_cmp_gt_i16_sdwa s[0:1], v6, v3 src0_sel:BYTE_0 src1_sel:DWORD
	s_and_b64 vcc, exec, s[0:1]
	s_cbranch_vccz .LBB40_1078
; %bb.1071:
	v_mov_b32_e32 v3, 28
	v_cmp_gt_i16_sdwa s[0:1], v6, v3 src0_sel:BYTE_0 src1_sel:DWORD
	s_and_b64 vcc, exec, s[0:1]
	s_cbranch_vccz .LBB40_1079
	;; [unrolled: 5-line block ×4, first 2 shown]
; %bb.1074:
	v_mov_b32_e32 v3, 46
	v_cmp_eq_u16_sdwa s[58:59], v6, v3 src0_sel:BYTE_0 src1_sel:DWORD
	s_mov_b64 s[60:61], 0
	s_mov_b64 s[0:1], -1
	s_and_b64 vcc, exec, s[58:59]
	s_mov_b64 s[58:59], 0
	s_cbranch_vccz .LBB40_1082
; %bb.1075:
	v_bfe_u32 v3, v2, 16, 1
	s_movk_i32 s0, 0x7fff
	v_add3_u32 v3, v2, v3, s0
	v_lshrrev_b32_e32 v3, 16, v3
	v_mov_b32_e32 v4, 0x7fc0
	v_cmp_o_f32_e32 vcc, v2, v2
	v_cndmask_b32_e32 v3, v4, v3, vcc
	global_store_dword v[0:1], v3, off
	s_mov_b64 s[58:59], -1
	s_mov_b64 s[0:1], 0
	s_branch .LBB40_1082
.LBB40_1076:
	s_mov_b64 s[60:61], 0
                                        ; implicit-def: $vgpr8
	s_mov_b64 s[0:1], s[48:49]
	s_branch .LBB40_1192
.LBB40_1077:
	s_mov_b64 s[60:61], -1
	s_mov_b64 s[58:59], 0
	s_mov_b64 s[0:1], s[48:49]
	s_branch .LBB40_1151
.LBB40_1078:
	s_mov_b64 s[60:61], -1
	s_mov_b64 s[58:59], 0
	s_mov_b64 s[0:1], s[48:49]
	s_branch .LBB40_1109
.LBB40_1079:
	s_mov_b64 s[60:61], -1
	s_mov_b64 s[58:59], 0
	s_mov_b64 s[0:1], s[48:49]
	s_branch .LBB40_1092
.LBB40_1080:
	s_mov_b64 s[60:61], -1
	s_mov_b64 s[58:59], 0
	s_mov_b64 s[0:1], s[48:49]
	s_branch .LBB40_1088
.LBB40_1081:
	s_mov_b64 s[60:61], -1
	s_mov_b64 s[58:59], 0
	s_mov_b64 s[0:1], s[48:49]
.LBB40_1082:
	s_and_b64 vcc, exec, s[60:61]
	s_cbranch_vccz .LBB40_1087
; %bb.1083:
	v_mov_b32_e32 v3, 44
	v_cmp_eq_u16_sdwa s[60:61], v6, v3 src0_sel:BYTE_0 src1_sel:DWORD
	s_mov_b64 s[0:1], -1
	s_and_b64 vcc, exec, s[60:61]
	s_cbranch_vccz .LBB40_1087
; %bb.1084:
	v_bfe_u32 v3, v2, 23, 8
	s_movk_i32 s0, 0xff
	v_cmp_ne_u32_e32 vcc, s0, v3
	v_mov_b32_e32 v4, 0xff
	s_and_saveexec_b64 s[58:59], vcc
; %bb.1085:
	s_mov_b32 s0, 0x3fffff
	v_and_b32_e32 v5, 0x400000, v2
	v_and_or_b32 v3, v2, s0, v3
	v_cmp_ne_u32_e32 vcc, 0, v5
	v_cmp_ne_u32_e64 s[0:1], 0, v3
	s_and_b64 s[0:1], vcc, s[0:1]
	v_lshrrev_b32_e32 v4, 23, v2
	v_cndmask_b32_e64 v3, 0, 1, s[0:1]
	v_add_u32_e32 v4, v4, v3
; %bb.1086:
	s_or_b64 exec, exec, s[58:59]
	s_mov_b64 s[58:59], -1
	s_mov_b64 s[0:1], 0
	global_store_byte v[0:1], v4, off
.LBB40_1087:
	s_mov_b64 s[60:61], 0
.LBB40_1088:
	s_and_b64 vcc, exec, s[60:61]
	s_cbranch_vccz .LBB40_1091
; %bb.1089:
	v_mov_b32_e32 v3, 29
	v_cmp_eq_u16_sdwa s[60:61], v6, v3 src0_sel:BYTE_0 src1_sel:DWORD
	s_mov_b64 s[0:1], -1
	s_and_b64 vcc, exec, s[60:61]
	s_cbranch_vccz .LBB40_1091
; %bb.1090:
	v_trunc_f32_e32 v3, v2
	v_mul_f32_e32 v4, 0x2f800000, v3
	v_floor_f32_e32 v4, v4
	v_fmac_f32_e32 v3, 0xcf800000, v4
	v_cvt_u32_f32_e32 v5, v4
	v_cvt_u32_f32_e32 v4, v3
	s_mov_b64 s[58:59], -1
	s_mov_b64 s[0:1], 0
	s_mov_b64 s[60:61], 0
	global_store_dwordx2 v[0:1], v[4:5], off
	s_branch .LBB40_1092
.LBB40_1091:
	s_mov_b64 s[60:61], 0
.LBB40_1092:
	s_and_b64 vcc, exec, s[60:61]
	s_cbranch_vccz .LBB40_1108
; %bb.1093:
	v_mov_b32_e32 v3, 27
	v_cmp_lt_i16_sdwa s[60:61], v6, v3 src0_sel:BYTE_0 src1_sel:DWORD
	s_mov_b64 s[58:59], -1
	s_and_b64 vcc, exec, s[60:61]
	s_cbranch_vccnz .LBB40_1099
; %bb.1094:
	v_cmp_gt_i16_sdwa s[60:61], v6, v3 src0_sel:BYTE_0 src1_sel:DWORD
	s_and_b64 vcc, exec, s[60:61]
	s_cbranch_vccz .LBB40_1096
; %bb.1095:
	v_cvt_u32_f32_e32 v3, v2
	s_mov_b64 s[58:59], 0
	global_store_dword v[0:1], v3, off
.LBB40_1096:
	s_andn2_b64 vcc, exec, s[58:59]
	s_cbranch_vccnz .LBB40_1098
; %bb.1097:
	v_cvt_u32_f32_e32 v3, v2
	global_store_short v[0:1], v3, off
.LBB40_1098:
	s_mov_b64 s[58:59], 0
.LBB40_1099:
	s_andn2_b64 vcc, exec, s[58:59]
	s_cbranch_vccnz .LBB40_1107
; %bb.1100:
	v_and_b32_e32 v3, 0x7fffffff, v2
	s_mov_b32 s58, 0x43800000
	v_cmp_gt_u32_e32 vcc, s58, v3
	v_mov_b32_e32 v4, 0x80
	s_and_saveexec_b64 s[58:59], vcc
	s_cbranch_execz .LBB40_1106
; %bb.1101:
	s_mov_b32 s60, 0x3bffffff
	v_cmp_lt_u32_e32 vcc, s60, v3
	s_mov_b64 s[60:61], 0
                                        ; implicit-def: $vgpr3
	s_and_saveexec_b64 s[62:63], vcc
	s_xor_b64 s[62:63], exec, s[62:63]
	s_cbranch_execz .LBB40_1219
; %bb.1102:
	v_bfe_u32 v3, v2, 20, 1
	s_mov_b32 s64, 0x487ffff
	v_add3_u32 v3, v2, v3, s64
	s_mov_b64 s[60:61], exec
	v_lshrrev_b32_e32 v3, 20, v3
	s_or_saveexec_b64 s[62:63], s[62:63]
                                        ; implicit-def: $sgpr64
	s_xor_b64 exec, exec, s[62:63]
	s_cbranch_execnz .LBB40_1220
.LBB40_1103:
	s_or_b64 exec, exec, s[62:63]
	v_mov_b32_e32 v4, s64
	s_and_saveexec_b64 s[62:63], s[60:61]
.LBB40_1104:
	v_lshrrev_b32_e32 v4, 24, v2
	s_movk_i32 s60, 0x80
	v_and_or_b32 v4, v4, s60, v3
.LBB40_1105:
	s_or_b64 exec, exec, s[62:63]
.LBB40_1106:
	s_or_b64 exec, exec, s[58:59]
	global_store_byte v[0:1], v4, off
.LBB40_1107:
	s_mov_b64 s[58:59], -1
.LBB40_1108:
	s_mov_b64 s[60:61], 0
.LBB40_1109:
	s_and_b64 vcc, exec, s[60:61]
	s_cbranch_vccz .LBB40_1150
; %bb.1110:
	v_mov_b32_e32 v3, 22
	v_cmp_gt_i16_sdwa s[62:63], v6, v3 src0_sel:BYTE_0 src1_sel:DWORD
	s_mov_b64 s[60:61], -1
	s_and_b64 vcc, exec, s[62:63]
	s_cbranch_vccz .LBB40_1142
; %bb.1111:
	v_mov_b32_e32 v3, 24
	v_cmp_lt_i16_sdwa s[60:61], v6, v3 src0_sel:BYTE_0 src1_sel:DWORD
	s_mov_b64 s[58:59], -1
	s_and_b64 vcc, exec, s[60:61]
	s_cbranch_vccnz .LBB40_1131
; %bb.1112:
	v_cmp_gt_i16_sdwa s[60:61], v6, v3 src0_sel:BYTE_0 src1_sel:DWORD
	s_and_b64 vcc, exec, s[60:61]
	s_cbranch_vccz .LBB40_1120
; %bb.1113:
	v_and_b32_e32 v3, 0x7fffffff, v2
	s_mov_b32 s58, 0x47800000
	v_cmp_gt_u32_e32 vcc, s58, v3
	v_mov_b32_e32 v4, 0x80
	s_and_saveexec_b64 s[58:59], vcc
	s_cbranch_execz .LBB40_1119
; %bb.1114:
	s_mov_b32 s60, 0x37ffffff
	v_cmp_lt_u32_e32 vcc, s60, v3
	s_mov_b64 s[60:61], 0
                                        ; implicit-def: $vgpr3
	s_and_saveexec_b64 s[62:63], vcc
	s_xor_b64 s[62:63], exec, s[62:63]
	s_cbranch_execz .LBB40_2281
; %bb.1115:
	v_bfe_u32 v3, v2, 21, 1
	s_mov_b32 s64, 0x88fffff
	v_add3_u32 v3, v2, v3, s64
	s_mov_b64 s[60:61], exec
	v_lshrrev_b32_e32 v3, 21, v3
	s_or_saveexec_b64 s[62:63], s[62:63]
                                        ; implicit-def: $sgpr64
	s_xor_b64 exec, exec, s[62:63]
	s_cbranch_execnz .LBB40_2282
.LBB40_1116:
	s_or_b64 exec, exec, s[62:63]
	v_mov_b32_e32 v4, s64
	s_and_saveexec_b64 s[62:63], s[60:61]
.LBB40_1117:
	v_lshrrev_b32_e32 v4, 24, v2
	s_movk_i32 s60, 0x80
	v_and_or_b32 v4, v4, s60, v3
.LBB40_1118:
	s_or_b64 exec, exec, s[62:63]
.LBB40_1119:
	s_or_b64 exec, exec, s[58:59]
	s_mov_b64 s[58:59], 0
	global_store_byte v[0:1], v4, off
.LBB40_1120:
	s_and_b64 vcc, exec, s[58:59]
	s_cbranch_vccz .LBB40_1130
; %bb.1121:
	v_and_b32_e32 v4, 0x7fffffff, v2
	s_mov_b32 s58, 0x43f00000
	v_cmp_gt_u32_e32 vcc, s58, v4
                                        ; implicit-def: $vgpr3
	s_and_saveexec_b64 s[58:59], vcc
	s_xor_b64 s[58:59], exec, s[58:59]
	s_cbranch_execz .LBB40_1127
; %bb.1122:
	s_mov_b32 s60, 0x3c7fffff
	v_cmp_lt_u32_e32 vcc, s60, v4
                                        ; implicit-def: $vgpr3
	s_and_saveexec_b64 s[60:61], vcc
	s_xor_b64 s[60:61], exec, s[60:61]
; %bb.1123:
	v_bfe_u32 v3, v2, 20, 1
	s_mov_b32 s62, 0x407ffff
	v_add3_u32 v3, v2, v3, s62
	v_lshrrev_b32_e32 v4, 20, v3
	v_and_b32_e32 v3, 0xff00000, v3
	s_mov_b32 s62, 0x7f00000
	v_mov_b32_e32 v5, 0x7e
	v_cmp_ne_u32_e32 vcc, s62, v3
	v_cndmask_b32_e32 v3, v5, v4, vcc
; %bb.1124:
	s_andn2_saveexec_b64 s[60:61], s[60:61]
; %bb.1125:
	s_mov_b32 s62, 0x46800000
	v_add_f32_e64 v3, |v2|, s62
; %bb.1126:
	s_or_b64 exec, exec, s[60:61]
                                        ; implicit-def: $vgpr4
.LBB40_1127:
	s_andn2_saveexec_b64 s[58:59], s[58:59]
; %bb.1128:
	s_mov_b32 s60, 0x7f800000
	v_mov_b32_e32 v3, 0x7e
	v_mov_b32_e32 v5, 0x7f
	v_cmp_lt_u32_e32 vcc, s60, v4
	v_cndmask_b32_e32 v3, v3, v5, vcc
; %bb.1129:
	s_or_b64 exec, exec, s[58:59]
	v_lshrrev_b32_e32 v4, 24, v2
	s_movk_i32 s58, 0x80
	v_and_or_b32 v3, v4, s58, v3
	global_store_byte v[0:1], v3, off
.LBB40_1130:
	s_mov_b64 s[58:59], 0
.LBB40_1131:
	s_andn2_b64 vcc, exec, s[58:59]
	s_cbranch_vccnz .LBB40_1141
; %bb.1132:
	v_and_b32_e32 v4, 0x7fffffff, v2
	s_mov_b32 s58, 0x47800000
	v_cmp_gt_u32_e32 vcc, s58, v4
                                        ; implicit-def: $vgpr3
	s_and_saveexec_b64 s[58:59], vcc
	s_xor_b64 s[58:59], exec, s[58:59]
	s_cbranch_execz .LBB40_1138
; %bb.1133:
	s_mov_b32 s60, 0x387fffff
	v_cmp_lt_u32_e32 vcc, s60, v4
                                        ; implicit-def: $vgpr3
	s_and_saveexec_b64 s[60:61], vcc
	s_xor_b64 s[60:61], exec, s[60:61]
; %bb.1134:
	v_bfe_u32 v3, v2, 21, 1
	s_mov_b32 s62, 0x80fffff
	v_add3_u32 v3, v2, v3, s62
	v_lshrrev_b32_e32 v3, 21, v3
; %bb.1135:
	s_andn2_saveexec_b64 s[60:61], s[60:61]
; %bb.1136:
	s_mov_b32 s62, 0x43000000
	v_add_f32_e64 v3, |v2|, s62
; %bb.1137:
	s_or_b64 exec, exec, s[60:61]
                                        ; implicit-def: $vgpr4
.LBB40_1138:
	s_andn2_saveexec_b64 s[58:59], s[58:59]
; %bb.1139:
	s_mov_b32 s60, 0x7f800000
	v_mov_b32_e32 v3, 0x7c
	v_mov_b32_e32 v5, 0x7f
	v_cmp_lt_u32_e32 vcc, s60, v4
	v_cndmask_b32_e32 v3, v3, v5, vcc
; %bb.1140:
	s_or_b64 exec, exec, s[58:59]
	v_lshrrev_b32_e32 v4, 24, v2
	s_movk_i32 s58, 0x80
	v_and_or_b32 v3, v4, s58, v3
	global_store_byte v[0:1], v3, off
.LBB40_1141:
	s_mov_b64 s[60:61], 0
	s_mov_b64 s[58:59], -1
.LBB40_1142:
	s_andn2_b64 vcc, exec, s[60:61]
	s_cbranch_vccnz .LBB40_1150
; %bb.1143:
	v_mov_b32_e32 v3, 14
	v_cmp_gt_i16_sdwa s[62:63], v6, v3 src0_sel:BYTE_0 src1_sel:DWORD
	s_mov_b64 s[60:61], -1
	s_and_b64 vcc, exec, s[62:63]
	s_cbranch_vccz .LBB40_1147
; %bb.1144:
	v_mov_b32_e32 v3, 15
	v_cmp_eq_u16_sdwa s[60:61], v6, v3 src0_sel:BYTE_0 src1_sel:DWORD
	s_mov_b64 s[0:1], -1
	s_and_b64 vcc, exec, s[60:61]
	s_cbranch_vccz .LBB40_1146
; %bb.1145:
	v_bfe_u32 v3, v2, 16, 1
	s_movk_i32 s0, 0x7fff
	v_add3_u32 v3, v2, v3, s0
	v_lshrrev_b32_e32 v3, 16, v3
	v_mov_b32_e32 v4, 0x7fc0
	v_cmp_o_f32_e32 vcc, v2, v2
	v_cndmask_b32_e32 v3, v4, v3, vcc
	global_store_short v[0:1], v3, off
	s_mov_b64 s[58:59], -1
	s_mov_b64 s[0:1], 0
.LBB40_1146:
	s_mov_b64 s[60:61], 0
.LBB40_1147:
	s_and_b64 vcc, exec, s[60:61]
	s_cbranch_vccz .LBB40_1150
; %bb.1148:
	v_mov_b32_e32 v3, 11
	v_cmp_eq_u16_sdwa s[60:61], v6, v3 src0_sel:BYTE_0 src1_sel:DWORD
	s_mov_b64 s[0:1], -1
	s_and_b64 vcc, exec, s[60:61]
	s_cbranch_vccz .LBB40_1150
; %bb.1149:
	v_cmp_neq_f32_e32 vcc, 0, v2
	v_cndmask_b32_e64 v3, 0, 1, vcc
	s_mov_b64 s[58:59], -1
	s_mov_b64 s[0:1], 0
	global_store_byte v[0:1], v3, off
.LBB40_1150:
	s_mov_b64 s[60:61], 0
.LBB40_1151:
	s_and_b64 vcc, exec, s[60:61]
	s_cbranch_vccz .LBB40_1190
; %bb.1152:
	v_mov_b32_e32 v3, 5
	v_cmp_lt_i16_sdwa s[60:61], v6, v3 src0_sel:BYTE_0 src1_sel:DWORD
	s_mov_b64 s[58:59], -1
	s_and_b64 vcc, exec, s[60:61]
	s_cbranch_vccnz .LBB40_1173
; %bb.1153:
	v_mov_b32_e32 v3, 8
	v_cmp_lt_i16_sdwa s[60:61], v6, v3 src0_sel:BYTE_0 src1_sel:DWORD
	s_and_b64 vcc, exec, s[60:61]
	s_cbranch_vccnz .LBB40_1163
; %bb.1154:
	v_mov_b32_e32 v3, 9
	v_cmp_lt_i16_sdwa s[60:61], v6, v3 src0_sel:BYTE_0 src1_sel:DWORD
	s_and_b64 vcc, exec, s[60:61]
	s_cbranch_vccnz .LBB40_1160
; %bb.1155:
	v_cmp_gt_i16_sdwa s[60:61], v6, v3 src0_sel:BYTE_0 src1_sel:DWORD
	s_and_b64 vcc, exec, s[60:61]
	s_cbranch_vccz .LBB40_1157
; %bb.1156:
	v_mov_b32_e32 v12, 0
	v_cvt_f64_f32_e32 v[10:11], v2
	v_mov_b32_e32 v13, v12
	s_mov_b64 s[58:59], 0
	global_store_dwordx4 v[0:1], v[10:13], off
.LBB40_1157:
	s_andn2_b64 vcc, exec, s[58:59]
	s_cbranch_vccnz .LBB40_1159
; %bb.1158:
	v_mov_b32_e32 v3, 0
	global_store_dwordx2 v[0:1], v[2:3], off
.LBB40_1159:
	s_mov_b64 s[58:59], 0
.LBB40_1160:
	s_andn2_b64 vcc, exec, s[58:59]
	s_cbranch_vccnz .LBB40_1162
; %bb.1161:
	v_cvt_f16_f32_e32 v3, v2
	global_store_dword v[0:1], v3, off
.LBB40_1162:
	s_mov_b64 s[58:59], 0
.LBB40_1163:
	s_andn2_b64 vcc, exec, s[58:59]
	s_cbranch_vccnz .LBB40_1172
; %bb.1164:
	v_mov_b32_e32 v3, 6
	v_cmp_lt_i16_sdwa s[60:61], v6, v3 src0_sel:BYTE_0 src1_sel:DWORD
	s_mov_b64 s[58:59], -1
	s_and_b64 vcc, exec, s[60:61]
	s_cbranch_vccnz .LBB40_1170
; %bb.1165:
	v_cmp_gt_i16_sdwa s[60:61], v6, v3 src0_sel:BYTE_0 src1_sel:DWORD
	s_and_b64 vcc, exec, s[60:61]
	s_cbranch_vccz .LBB40_1167
; %bb.1166:
	v_cvt_f64_f32_e32 v[4:5], v2
	s_mov_b64 s[58:59], 0
	global_store_dwordx2 v[0:1], v[4:5], off
.LBB40_1167:
	s_andn2_b64 vcc, exec, s[58:59]
	s_cbranch_vccnz .LBB40_1169
; %bb.1168:
	global_store_dword v[0:1], v2, off
.LBB40_1169:
	s_mov_b64 s[58:59], 0
.LBB40_1170:
	s_andn2_b64 vcc, exec, s[58:59]
	s_cbranch_vccnz .LBB40_1172
; %bb.1171:
	v_cvt_f16_f32_e32 v3, v2
	global_store_short v[0:1], v3, off
.LBB40_1172:
	s_mov_b64 s[58:59], 0
.LBB40_1173:
	s_andn2_b64 vcc, exec, s[58:59]
	s_cbranch_vccnz .LBB40_1189
; %bb.1174:
	v_mov_b32_e32 v3, 2
	v_cmp_lt_i16_sdwa s[60:61], v6, v3 src0_sel:BYTE_0 src1_sel:DWORD
	s_mov_b64 s[58:59], -1
	s_and_b64 vcc, exec, s[60:61]
	s_cbranch_vccnz .LBB40_1184
; %bb.1175:
	v_mov_b32_e32 v3, 3
	v_cmp_lt_i16_sdwa s[60:61], v6, v3 src0_sel:BYTE_0 src1_sel:DWORD
	s_and_b64 vcc, exec, s[60:61]
	s_cbranch_vccnz .LBB40_1181
; %bb.1176:
	v_cmp_gt_i16_sdwa s[60:61], v6, v3 src0_sel:BYTE_0 src1_sel:DWORD
	s_and_b64 vcc, exec, s[60:61]
	s_cbranch_vccz .LBB40_1178
; %bb.1177:
	v_trunc_f32_e32 v3, v2
	s_mov_b32 s58, 0x2f800000
	v_mul_f32_e64 v4, |v3|, s58
	v_floor_f32_e32 v4, v4
	s_mov_b32 s58, 0xcf800000
	v_cvt_u32_f32_e32 v5, v4
	v_fma_f32 v4, v4, s58, |v3|
	v_cvt_u32_f32_e32 v4, v4
	v_ashrrev_i32_e32 v3, 31, v3
	v_xor_b32_e32 v5, v5, v3
	s_mov_b64 s[58:59], 0
	v_xor_b32_e32 v4, v4, v3
	v_sub_co_u32_e32 v4, vcc, v4, v3
	v_subb_co_u32_e32 v5, vcc, v5, v3, vcc
	global_store_dwordx2 v[0:1], v[4:5], off
.LBB40_1178:
	s_andn2_b64 vcc, exec, s[58:59]
	s_cbranch_vccnz .LBB40_1180
; %bb.1179:
	v_cvt_i32_f32_e32 v3, v2
	global_store_dword v[0:1], v3, off
.LBB40_1180:
	s_mov_b64 s[58:59], 0
.LBB40_1181:
	s_andn2_b64 vcc, exec, s[58:59]
	s_cbranch_vccnz .LBB40_1183
; %bb.1182:
	v_cvt_i32_f32_e32 v3, v2
	global_store_short v[0:1], v3, off
.LBB40_1183:
	s_mov_b64 s[58:59], 0
.LBB40_1184:
	s_andn2_b64 vcc, exec, s[58:59]
	s_cbranch_vccnz .LBB40_1189
; %bb.1185:
	v_mov_b32_e32 v3, 0
	v_cmp_gt_i16_sdwa s[60:61], v6, v3 src0_sel:BYTE_0 src1_sel:DWORD
	s_mov_b64 s[58:59], -1
	s_and_b64 vcc, exec, s[60:61]
	s_cbranch_vccz .LBB40_1187
; %bb.1186:
	v_cvt_i32_f32_e32 v3, v2
	s_mov_b64 s[58:59], 0
	global_store_byte v[0:1], v3, off
.LBB40_1187:
	s_andn2_b64 vcc, exec, s[58:59]
	s_cbranch_vccnz .LBB40_1189
; %bb.1188:
	v_trunc_f32_e32 v2, v2
	s_mov_b32 s58, 0x2f800000
	v_mul_f32_e64 v3, |v2|, s58
	v_floor_f32_e32 v3, v3
	s_mov_b32 s58, 0xcf800000
	v_fma_f32 v3, v3, s58, |v2|
	v_cvt_u32_f32_e32 v3, v3
	v_ashrrev_i32_e32 v2, 31, v2
	v_xor_b32_e32 v3, v3, v2
	v_sub_u32_e32 v2, v3, v2
	global_store_byte v[0:1], v2, off
.LBB40_1189:
	s_mov_b64 s[58:59], -1
.LBB40_1190:
	s_andn2_b64 vcc, exec, s[58:59]
	s_cbranch_vccnz .LBB40_1214
; %bb.1191:
	v_add_u32_e32 v8, 0x80, v8
	s_mov_b64 s[60:61], -1
.LBB40_1192:
	s_andn2_b64 s[58:59], s[48:49], exec
	s_and_b64 s[0:1], s[0:1], exec
	s_or_b64 s[58:59], s[58:59], s[0:1]
	s_andn2_b64 s[0:1], s[46:47], exec
	s_and_b64 s[56:57], s[56:57], exec
	s_or_b64 s[56:57], s[0:1], s[56:57]
	;; [unrolled: 3-line block ×3, first 2 shown]
	s_orn2_b64 s[64:65], s[60:61], exec
.LBB40_1193:
	s_or_b64 exec, exec, s[52:53]
	s_mov_b64 s[60:61], 0
	s_mov_b64 s[54:55], 0
	;; [unrolled: 1-line block ×3, first 2 shown]
                                        ; implicit-def: $vgpr3
                                        ; implicit-def: $vgpr4_vgpr5
                                        ; implicit-def: $vgpr2
                                        ; implicit-def: $vgpr0
                                        ; implicit-def: $vgpr1
	s_and_saveexec_b64 s[52:53], s[64:65]
	s_cbranch_execz .LBB40_1287
; %bb.1194:
	v_cmp_gt_i32_e32 vcc, s66, v8
	s_mov_b64 s[64:65], s[0:1]
	s_mov_b64 s[66:67], 0
                                        ; implicit-def: $vgpr3
                                        ; implicit-def: $vgpr4_vgpr5
                                        ; implicit-def: $vgpr2
                                        ; implicit-def: $vgpr0
                                        ; implicit-def: $vgpr1
	s_and_saveexec_b64 s[54:55], vcc
	s_cbranch_execz .LBB40_1286
; %bb.1195:
	s_andn2_b64 vcc, exec, s[20:21]
	s_cbranch_vccnz .LBB40_1202
; %bb.1196:
	s_andn2_b64 vcc, exec, s[34:35]
	v_mov_b32_e32 v2, 0
	s_waitcnt vmcnt(0)
	v_mov_b32_e32 v4, 0
	v_mov_b32_e32 v0, 0
	s_cbranch_vccnz .LBB40_1201
; %bb.1197:
	s_add_i32 s34, s69, 1
	s_and_b32 s60, s34, 30
	s_add_u32 s34, s2, 0xffffffec
	s_addc_u32 s35, s3, -1
	v_mov_b32_e32 v0, 0
	v_mov_b32_e32 v1, v8
	;; [unrolled: 1-line block ×4, first 2 shown]
.LBB40_1198:                            ; =>This Inner Loop Header: Depth=1
	s_mov_b64 s[62:63], s[34:35]
	s_load_dwordx4 s[64:67], s[62:63], 0x18
	s_load_dwordx2 s[70:71], s[62:63], 0x28
	s_load_dwordx2 s[76:77], s[62:63], 0xe8
	s_load_dwordx4 s[72:75], s[62:63], 0xd8
	s_add_u32 s34, s62, 24
	s_waitcnt lgkmcnt(0)
	v_mul_hi_u32 v3, s65, v1
	v_add_u32_e32 v3, v1, v3
	v_lshrrev_b32_e32 v3, s66, v3
	v_mul_lo_u32 v5, v3, s64
	v_mul_hi_u32 v10, s70, v3
	v_sub_u32_e32 v1, v1, v5
	v_add_u32_e32 v5, v3, v10
	v_mul_lo_u32 v10, v1, s72
	v_mul_lo_u32 v11, v1, s73
	;; [unrolled: 1-line block ×3, first 2 shown]
	v_lshrrev_b32_e32 v1, s71, v5
	v_mul_lo_u32 v5, v1, s67
	v_sub_u32_e32 v3, v3, v5
	s_addc_u32 s35, s63, 0
	s_add_i32 s60, s60, -2
	v_mul_lo_u32 v5, v3, s75
	v_mul_lo_u32 v13, v3, s76
	v_mul_lo_u32 v3, v3, s77
	s_cmp_eq_u32 s60, 0
	v_add3_u32 v0, v10, v0, v5
	v_add3_u32 v2, v12, v2, v3
	;; [unrolled: 1-line block ×3, first 2 shown]
	s_cbranch_scc0 .LBB40_1198
; %bb.1199:
	s_bitcmp1_b32 s69, 0
	s_cselect_b64 s[60:61], -1, 0
	s_and_b64 vcc, exec, s[60:61]
	s_cbranch_vccnz .LBB40_1201
; %bb.1200:
	s_load_dwordx2 s[60:61], s[34:35], 0x18
	s_load_dword s62, s[34:35], 0x20
	s_load_dword s63, s[34:35], 0xe0
	s_nop 0
	s_load_dwordx2 s[34:35], s[34:35], 0xd8
	s_waitcnt lgkmcnt(0)
	v_mul_hi_u32 v3, s61, v1
	v_add_u32_e32 v3, v1, v3
	v_lshrrev_b32_e32 v3, s62, v3
	v_mul_lo_u32 v3, v3, s60
	v_sub_u32_e32 v3, v1, v3
	v_mad_u64_u32 v[0:1], s[60:61], v3, s34, v[0:1]
	v_mad_u64_u32 v[4:5], s[34:35], v3, s35, v[4:5]
	;; [unrolled: 1-line block ×3, first 2 shown]
.LBB40_1201:
	s_mov_b64 s[34:35], 0
	s_branch .LBB40_1203
.LBB40_1202:
	s_mov_b64 s[34:35], -1
                                        ; implicit-def: $vgpr2
                                        ; implicit-def: $vgpr4
                                        ; implicit-def: $vgpr0
.LBB40_1203:
	s_andn2_b64 vcc, exec, s[34:35]
	s_cbranch_vccnz .LBB40_1206
; %bb.1204:
	s_waitcnt lgkmcnt(0)
	v_mul_hi_u32 v0, s17, v8
	v_add_u32_e32 v0, v8, v0
	s_waitcnt vmcnt(0)
	v_lshrrev_b32_e32 v1, s18, v0
	v_mul_lo_u32 v0, v1, s16
	v_sub_u32_e32 v3, v8, v0
	v_mul_lo_u32 v0, v3, s12
	v_mul_lo_u32 v2, v3, s14
	s_andn2_b64 vcc, exec, s[30:31]
	v_mul_lo_u32 v4, v3, s13
	s_cbranch_vccnz .LBB40_1206
; %bb.1205:
	v_mul_hi_u32 v3, s28, v1
	v_add_u32_e32 v3, v1, v3
	v_lshrrev_b32_e32 v3, s29, v3
	v_mul_lo_u32 v3, v3, s19
	v_sub_u32_e32 v3, v1, v3
	v_mad_u64_u32 v[0:1], s[12:13], v3, s15, v[0:1]
	v_mad_u64_u32 v[4:5], s[12:13], v3, s26, v[4:5]
	;; [unrolled: 1-line block ×3, first 2 shown]
.LBB40_1206:
	s_waitcnt vmcnt(0) lgkmcnt(0)
	v_mov_b32_e32 v1, s11
	v_add_co_u32_e32 v4, vcc, s10, v4
	v_addc_co_u32_e32 v5, vcc, 0, v1, vcc
	v_and_b32_e32 v3, 0xff, v9
	v_cmp_gt_i16_e32 vcc, 11, v3
	s_cbranch_vccnz .LBB40_1213
; %bb.1207:
	v_cmp_lt_i16_e32 vcc, 25, v3
	s_mov_b64 s[12:13], 0
	s_cbranch_vccz .LBB40_1215
; %bb.1208:
	v_cmp_lt_i16_e32 vcc, 28, v3
	s_cbranch_vccz .LBB40_1216
; %bb.1209:
	v_cmp_lt_i16_e32 vcc, 43, v3
	;; [unrolled: 3-line block ×3, first 2 shown]
	s_cbranch_vccz .LBB40_1218
; %bb.1211:
	v_cmp_eq_u16_e32 vcc, 46, v3
	s_mov_b64 s[16:17], 0
	s_cbranch_vccz .LBB40_1221
; %bb.1212:
	global_load_dword v1, v[4:5], off
	s_mov_b64 s[10:11], 0
	s_mov_b64 s[14:15], -1
	s_waitcnt vmcnt(0)
	v_lshlrev_b32_e32 v1, 16, v1
	s_branch .LBB40_1222
.LBB40_1213:
	s_mov_b64 s[16:17], -1
	s_mov_b64 s[14:15], 0
	s_mov_b64 s[12:13], 0
	;; [unrolled: 1-line block ×3, first 2 shown]
                                        ; implicit-def: $vgpr1
	s_branch .LBB40_1285
.LBB40_1214:
	s_mov_b64 s[60:61], 0
	s_branch .LBB40_945
.LBB40_1215:
	s_mov_b64 s[16:17], -1
	s_mov_b64 s[14:15], 0
	s_mov_b64 s[10:11], s[0:1]
                                        ; implicit-def: $vgpr1
	s_branch .LBB40_1251
.LBB40_1216:
	s_mov_b64 s[16:17], -1
	s_mov_b64 s[14:15], 0
	s_mov_b64 s[10:11], s[0:1]
                                        ; implicit-def: $vgpr1
	s_branch .LBB40_1232
.LBB40_1217:
	s_mov_b64 s[16:17], -1
	s_mov_b64 s[14:15], 0
	s_mov_b64 s[10:11], s[0:1]
                                        ; implicit-def: $vgpr1
	s_branch .LBB40_1227
.LBB40_1218:
	s_mov_b64 s[16:17], -1
	s_mov_b64 s[14:15], 0
	s_mov_b64 s[10:11], s[0:1]
                                        ; implicit-def: $vgpr1
	s_branch .LBB40_1222
.LBB40_1219:
	s_or_saveexec_b64 s[62:63], s[62:63]
                                        ; implicit-def: $sgpr64
	s_xor_b64 exec, exec, s[62:63]
	s_cbranch_execz .LBB40_1103
.LBB40_1220:
	s_mov_b32 s64, 0x46000000
	v_add_f32_e64 v3, |v2|, s64
	v_and_b32_e32 v3, 0xff, v3
	v_cmp_ne_u32_e32 vcc, 0, v3
	s_andn2_b64 s[60:61], s[60:61], exec
	s_and_b64 s[70:71], vcc, exec
	s_mov_b32 s64, 0
	s_or_b64 s[60:61], s[60:61], s[70:71]
	s_or_b64 exec, exec, s[62:63]
	v_mov_b32_e32 v4, s64
	s_and_saveexec_b64 s[62:63], s[60:61]
	s_cbranch_execnz .LBB40_1104
	s_branch .LBB40_1105
.LBB40_1221:
	s_mov_b64 s[10:11], -1
                                        ; implicit-def: $vgpr1
	s_mov_b64 s[14:15], 0
.LBB40_1222:
	s_and_b64 vcc, exec, s[16:17]
	s_cbranch_vccz .LBB40_1226
; %bb.1223:
	v_cmp_eq_u16_e32 vcc, 44, v3
	s_cbranch_vccz .LBB40_1225
; %bb.1224:
	global_load_ubyte v1, v[4:5], off
	s_movk_i32 s14, 0xff
	v_mov_b32_e32 v8, 0x7f800001
	v_mov_b32_e32 v9, 0x400000
	s_mov_b64 s[10:11], 0
	s_waitcnt vmcnt(0)
	v_lshlrev_b32_e32 v10, 23, v1
	v_cmp_ne_u32_e32 vcc, s14, v1
	v_cndmask_b32_e32 v8, v8, v10, vcc
	v_cmp_ne_u32_e32 vcc, 0, v1
	v_cndmask_b32_e32 v1, v9, v8, vcc
	s_mov_b64 s[14:15], -1
	s_branch .LBB40_1226
.LBB40_1225:
	s_mov_b64 s[10:11], -1
                                        ; implicit-def: $vgpr1
.LBB40_1226:
	s_mov_b64 s[16:17], 0
.LBB40_1227:
	s_and_b64 vcc, exec, s[16:17]
	s_cbranch_vccz .LBB40_1231
; %bb.1228:
	v_cmp_eq_u16_e32 vcc, 29, v3
	s_cbranch_vccz .LBB40_1230
; %bb.1229:
	global_load_dwordx2 v[8:9], v[4:5], off
	s_mov_b64 s[10:11], 0
	s_mov_b64 s[14:15], -1
	s_mov_b64 s[16:17], 0
	s_waitcnt vmcnt(0)
	v_ffbh_u32_e32 v1, v9
	v_min_u32_e32 v1, 32, v1
	v_lshlrev_b64 v[8:9], v1, v[8:9]
	v_min_u32_e32 v8, 1, v8
	v_or_b32_e32 v8, v9, v8
	v_cvt_f32_u32_e32 v8, v8
	v_sub_u32_e32 v1, 32, v1
	v_ldexp_f32 v1, v8, v1
	s_branch .LBB40_1232
.LBB40_1230:
	s_mov_b64 s[10:11], -1
                                        ; implicit-def: $vgpr1
.LBB40_1231:
	s_mov_b64 s[16:17], 0
.LBB40_1232:
	s_and_b64 vcc, exec, s[16:17]
	s_cbranch_vccz .LBB40_1250
; %bb.1233:
	v_cmp_gt_i16_e32 vcc, 27, v3
	s_cbranch_vccnz .LBB40_1236
; %bb.1234:
	v_cmp_lt_i16_e32 vcc, 27, v3
	s_cbranch_vccz .LBB40_1237
; %bb.1235:
	global_load_dword v1, v[4:5], off
	s_mov_b64 s[14:15], 0
	s_waitcnt vmcnt(0)
	v_cvt_f32_u32_e32 v1, v1
	s_branch .LBB40_1238
.LBB40_1236:
	s_mov_b64 s[14:15], -1
                                        ; implicit-def: $vgpr1
	s_branch .LBB40_1241
.LBB40_1237:
	s_mov_b64 s[14:15], -1
                                        ; implicit-def: $vgpr1
.LBB40_1238:
	s_andn2_b64 vcc, exec, s[14:15]
	s_cbranch_vccnz .LBB40_1240
; %bb.1239:
	global_load_ushort v1, v[4:5], off
	s_waitcnt vmcnt(0)
	v_cvt_f32_u32_e32 v1, v1
.LBB40_1240:
	s_mov_b64 s[14:15], 0
.LBB40_1241:
	s_andn2_b64 vcc, exec, s[14:15]
	s_cbranch_vccnz .LBB40_1249
; %bb.1242:
	global_load_ubyte v8, v[4:5], off
	s_movk_i32 s14, 0x7f
                                        ; implicit-def: $sgpr26
	s_waitcnt vmcnt(0)
	v_cmp_lt_i16_e32 vcc, s14, v8
	s_mov_b64 s[14:15], 0
	s_and_saveexec_b64 s[16:17], vcc
	s_xor_b64 s[16:17], exec, s[16:17]
	s_cbranch_execz .LBB40_1263
; %bb.1243:
	s_movk_i32 s14, 0x80
	v_cmp_eq_u16_e32 vcc, s14, v8
	s_mov_b64 s[14:15], -1
                                        ; implicit-def: $sgpr26
	s_and_saveexec_b64 s[18:19], vcc
; %bb.1244:
	s_mov_b32 s26, 0x7f800001
	s_xor_b64 s[14:15], exec, -1
; %bb.1245:
	s_or_b64 exec, exec, s[18:19]
	s_and_b64 s[14:15], s[14:15], exec
	s_or_saveexec_b64 s[16:17], s[16:17]
	v_mov_b32_e32 v1, s26
	s_xor_b64 exec, exec, s[16:17]
	s_cbranch_execnz .LBB40_1264
.LBB40_1246:
	s_or_b64 exec, exec, s[16:17]
	s_and_saveexec_b64 s[16:17], s[14:15]
	s_cbranch_execz .LBB40_1248
.LBB40_1247:
	v_lshlrev_b32_e32 v1, 24, v8
	v_and_b32_e32 v8, 0xffff, v8
	v_and_b32_e32 v9, 7, v8
	v_ffbh_u32_e32 v11, v9
	v_min_u32_e32 v11, 32, v11
	v_subrev_u32_e32 v12, 28, v11
	v_bfe_u32 v10, v8, 3, 4
	v_lshlrev_b32_e32 v8, v12, v8
	v_sub_u32_e32 v11, 29, v11
	v_and_b32_e32 v8, 7, v8
	v_cmp_eq_u32_e32 vcc, 0, v10
	v_cndmask_b32_e32 v10, v10, v11, vcc
	v_cndmask_b32_e32 v8, v9, v8, vcc
	v_mov_b32_e32 v9, 0x3b800000
	v_lshlrev_b32_e32 v8, 20, v8
	v_and_b32_e32 v1, 0x80000000, v1
	v_lshl_add_u32 v9, v10, 23, v9
	v_or3_b32 v1, v1, v9, v8
.LBB40_1248:
	s_or_b64 exec, exec, s[16:17]
.LBB40_1249:
	s_mov_b64 s[14:15], -1
.LBB40_1250:
	s_mov_b64 s[16:17], 0
.LBB40_1251:
	s_and_b64 vcc, exec, s[16:17]
	s_cbranch_vccz .LBB40_1284
; %bb.1252:
	v_cmp_lt_i16_e32 vcc, 22, v3
	s_cbranch_vccz .LBB40_1262
; %bb.1253:
	v_cmp_gt_i16_e32 vcc, 24, v3
	s_cbranch_vccnz .LBB40_1265
; %bb.1254:
	v_cmp_lt_i16_e32 vcc, 24, v3
	s_cbranch_vccz .LBB40_1266
; %bb.1255:
	global_load_ubyte v8, v[4:5], off
	s_movk_i32 s12, 0x7f
                                        ; implicit-def: $sgpr18
	s_waitcnt vmcnt(0)
	v_cmp_lt_i16_e32 vcc, s12, v8
	s_mov_b64 s[12:13], 0
	s_and_saveexec_b64 s[14:15], vcc
	s_xor_b64 s[14:15], exec, s[14:15]
	s_cbranch_execz .LBB40_1278
; %bb.1256:
	s_movk_i32 s12, 0x80
	v_cmp_eq_u16_e32 vcc, s12, v8
	s_mov_b64 s[12:13], -1
                                        ; implicit-def: $sgpr18
	s_and_saveexec_b64 s[16:17], vcc
; %bb.1257:
	s_mov_b32 s18, 0x7f800001
	s_xor_b64 s[12:13], exec, -1
; %bb.1258:
	s_or_b64 exec, exec, s[16:17]
	s_and_b64 s[12:13], s[12:13], exec
	s_or_saveexec_b64 s[14:15], s[14:15]
	v_mov_b32_e32 v1, s18
	s_xor_b64 exec, exec, s[14:15]
	s_cbranch_execnz .LBB40_1279
.LBB40_1259:
	s_or_b64 exec, exec, s[14:15]
	s_and_saveexec_b64 s[14:15], s[12:13]
	s_cbranch_execz .LBB40_1261
.LBB40_1260:
	v_lshlrev_b32_e32 v1, 24, v8
	v_and_b32_e32 v8, 0xffff, v8
	v_and_b32_e32 v9, 3, v8
	v_ffbh_u32_e32 v11, v9
	v_min_u32_e32 v11, 32, v11
	v_subrev_u32_e32 v12, 29, v11
	v_bfe_u32 v10, v8, 2, 5
	v_lshlrev_b32_e32 v8, v12, v8
	v_sub_u32_e32 v11, 30, v11
	v_and_b32_e32 v8, 3, v8
	v_cmp_eq_u32_e32 vcc, 0, v10
	v_cndmask_b32_e32 v10, v10, v11, vcc
	v_cndmask_b32_e32 v8, v9, v8, vcc
	v_mov_b32_e32 v9, 0x37800000
	v_lshlrev_b32_e32 v8, 21, v8
	v_and_b32_e32 v1, 0x80000000, v1
	v_lshl_add_u32 v9, v10, 23, v9
	v_or3_b32 v1, v1, v9, v8
.LBB40_1261:
	s_or_b64 exec, exec, s[14:15]
	s_mov_b64 s[12:13], 0
	s_branch .LBB40_1267
.LBB40_1262:
	s_mov_b64 s[12:13], -1
                                        ; implicit-def: $vgpr1
	s_branch .LBB40_1273
.LBB40_1263:
	s_or_saveexec_b64 s[16:17], s[16:17]
	v_mov_b32_e32 v1, s26
	s_xor_b64 exec, exec, s[16:17]
	s_cbranch_execz .LBB40_1246
.LBB40_1264:
	v_cmp_ne_u16_e32 vcc, 0, v8
	s_andn2_b64 s[14:15], s[14:15], exec
	s_and_b64 s[18:19], vcc, exec
	v_mov_b32_e32 v1, 0
	s_or_b64 s[14:15], s[14:15], s[18:19]
	s_or_b64 exec, exec, s[16:17]
	s_and_saveexec_b64 s[16:17], s[14:15]
	s_cbranch_execnz .LBB40_1247
	s_branch .LBB40_1248
.LBB40_1265:
	s_mov_b64 s[12:13], -1
                                        ; implicit-def: $vgpr1
	s_branch .LBB40_1270
.LBB40_1266:
	s_mov_b64 s[12:13], -1
                                        ; implicit-def: $vgpr1
.LBB40_1267:
	s_and_b64 vcc, exec, s[12:13]
	s_cbranch_vccz .LBB40_1269
; %bb.1268:
	global_load_ubyte v1, v[4:5], off
	s_mov_b32 s12, 0x7f800000
	s_waitcnt vmcnt(0)
	v_lshlrev_b32_e32 v1, 24, v1
	v_and_b32_e32 v8, 0x7f000000, v1
	v_ffbh_u32_e32 v9, v8
	v_min_u32_e32 v9, 32, v9
	v_sub_u32_e64 v9, v9, 4 clamp
	v_lshlrev_b32_e32 v11, v9, v8
	v_lshlrev_b32_e32 v9, 23, v9
	v_lshrrev_b32_e32 v11, 4, v11
	v_add_u32_e32 v10, 0x1000000, v8
	v_sub_u32_e32 v9, v11, v9
	v_ashrrev_i32_e32 v10, 8, v10
	v_add_u32_e32 v9, 0x3c000000, v9
	v_and_or_b32 v9, v10, s12, v9
	v_cmp_ne_u32_e32 vcc, 0, v8
	v_cndmask_b32_e32 v8, 0, v9, vcc
	s_brev_b32 s12, 1
	v_and_or_b32 v1, v1, s12, v8
.LBB40_1269:
	s_mov_b64 s[12:13], 0
.LBB40_1270:
	s_andn2_b64 vcc, exec, s[12:13]
	s_cbranch_vccnz .LBB40_1272
; %bb.1271:
	global_load_ubyte v1, v[4:5], off
	s_movk_i32 s12, 0x7f00
	s_brev_b32 s13, 16
	s_waitcnt vmcnt(0)
	v_lshlrev_b16_e32 v8, 8, v1
	v_lshlrev_b32_e32 v1, 25, v1
	v_lshrrev_b32_e32 v9, 4, v1
	v_and_or_b32 v10, v8, s12, 0.5
	v_or_b32_e32 v9, 0x70000000, v9
	v_add_f32_e32 v10, -0.5, v10
	v_mul_f32_e32 v9, 0x7800000, v9
	v_cmp_gt_u32_e32 vcc, s13, v1
	v_bfe_i32 v8, v8, 0, 16
	v_cndmask_b32_e32 v1, v9, v10, vcc
	s_brev_b32 s12, 1
	v_and_or_b32 v1, v8, s12, v1
.LBB40_1272:
	s_mov_b64 s[12:13], 0
	s_mov_b64 s[14:15], -1
.LBB40_1273:
	s_andn2_b64 vcc, exec, s[12:13]
	s_mov_b64 s[12:13], 0
	s_cbranch_vccnz .LBB40_1284
; %bb.1274:
	v_cmp_lt_i16_e32 vcc, 14, v3
	s_cbranch_vccz .LBB40_1277
; %bb.1275:
	v_cmp_eq_u16_e32 vcc, 15, v3
	s_cbranch_vccz .LBB40_1280
; %bb.1276:
	global_load_ushort v1, v[4:5], off
	s_mov_b64 s[10:11], 0
	s_mov_b64 s[14:15], -1
	s_waitcnt vmcnt(0)
	v_lshlrev_b32_e32 v1, 16, v1
	s_branch .LBB40_1281
.LBB40_1277:
	s_mov_b64 s[16:17], -1
                                        ; implicit-def: $vgpr1
	s_branch .LBB40_1282
.LBB40_1278:
	s_or_saveexec_b64 s[14:15], s[14:15]
	v_mov_b32_e32 v1, s18
	s_xor_b64 exec, exec, s[14:15]
	s_cbranch_execz .LBB40_1259
.LBB40_1279:
	v_cmp_ne_u16_e32 vcc, 0, v8
	s_andn2_b64 s[12:13], s[12:13], exec
	s_and_b64 s[16:17], vcc, exec
	v_mov_b32_e32 v1, 0
	s_or_b64 s[12:13], s[12:13], s[16:17]
	s_or_b64 exec, exec, s[14:15]
	s_and_saveexec_b64 s[14:15], s[12:13]
	s_cbranch_execnz .LBB40_1260
	s_branch .LBB40_1261
.LBB40_1280:
	s_mov_b64 s[10:11], -1
                                        ; implicit-def: $vgpr1
.LBB40_1281:
	s_mov_b64 s[16:17], 0
.LBB40_1282:
	s_and_b64 vcc, exec, s[16:17]
	s_cbranch_vccz .LBB40_1284
; %bb.1283:
	v_cmp_ne_u16_e32 vcc, 11, v3
	s_andn2_b64 s[10:11], s[10:11], exec
	s_and_b64 s[16:17], vcc, exec
	s_mov_b64 s[12:13], -1
	s_or_b64 s[10:11], s[10:11], s[16:17]
                                        ; implicit-def: $vgpr1
.LBB40_1284:
	s_mov_b64 s[16:17], 0
.LBB40_1285:
	s_and_b64 s[60:61], s[12:13], exec
	s_andn2_b64 s[12:13], s[0:1], exec
	s_and_b64 s[10:11], s[10:11], exec
	s_and_b64 s[62:63], s[14:15], exec
	;; [unrolled: 1-line block ×3, first 2 shown]
	s_or_b64 s[64:65], s[12:13], s[10:11]
.LBB40_1286:
	s_or_b64 exec, exec, s[54:55]
	s_andn2_b64 s[0:1], s[0:1], exec
	s_waitcnt lgkmcnt(0)
	s_and_b64 s[10:11], s[64:65], exec
	s_and_b64 s[62:63], s[62:63], exec
	;; [unrolled: 1-line block ×4, first 2 shown]
	s_or_b64 s[0:1], s[0:1], s[10:11]
.LBB40_1287:
	s_or_b64 exec, exec, s[52:53]
	s_waitcnt lgkmcnt(0)
	s_andn2_b64 s[10:11], s[48:49], exec
	s_and_b64 s[12:13], s[58:59], exec
	s_or_b64 s[48:49], s[10:11], s[12:13]
	s_andn2_b64 s[10:11], s[46:47], exec
	s_and_b64 s[12:13], s[56:57], exec
	s_or_b64 s[46:47], s[10:11], s[12:13]
	s_andn2_b64 s[10:11], s[44:45], exec
	s_and_b64 s[0:1], s[0:1], exec
	s_and_b64 s[56:57], s[62:63], exec
	;; [unrolled: 1-line block ×4, first 2 shown]
	s_or_b64 s[44:45], s[10:11], s[0:1]
.LBB40_1288:
	s_or_b64 exec, exec, s[50:51]
	s_andn2_b64 s[0:1], s[36:37], exec
	s_waitcnt lgkmcnt(0)
	s_and_b64 s[10:11], s[48:49], exec
	s_or_b64 s[36:37], s[0:1], s[10:11]
	s_andn2_b64 s[0:1], s[38:39], exec
	s_and_b64 s[10:11], s[46:47], exec
	s_or_b64 s[38:39], s[0:1], s[10:11]
	s_andn2_b64 s[0:1], s[40:41], exec
	s_and_b64 s[10:11], s[44:45], exec
	s_and_b64 s[48:49], s[56:57], exec
	;; [unrolled: 1-line block ×4, first 2 shown]
	s_or_b64 s[40:41], s[0:1], s[10:11]
	s_or_b64 exec, exec, s[42:43]
	s_mov_b64 s[10:11], 0
	s_and_saveexec_b64 s[0:1], s[40:41]
	s_cbranch_execz .LBB40_403
.LBB40_1289:
	s_mov_b64 s[10:11], exec
	s_andn2_b64 s[46:47], s[46:47], exec
	s_trap 2
                                        ; implicit-def: $vgpr1
	s_or_b64 exec, exec, s[0:1]
	s_and_saveexec_b64 s[0:1], s[46:47]
	s_xor_b64 s[0:1], exec, s[0:1]
	s_cbranch_execnz .LBB40_404
.LBB40_1290:
	s_or_b64 exec, exec, s[0:1]
	s_and_saveexec_b64 s[0:1], s[50:51]
	s_cbranch_execz .LBB40_1336
.LBB40_1291:
	v_cmp_gt_i16_e32 vcc, 5, v3
	s_cbranch_vccnz .LBB40_1296
; %bb.1292:
	v_cmp_gt_i16_e32 vcc, 8, v3
	s_cbranch_vccnz .LBB40_1297
; %bb.1293:
	v_cmp_gt_i16_e32 vcc, 9, v3
	s_cbranch_vccnz .LBB40_1298
; %bb.1294:
	v_cmp_lt_i16_e32 vcc, 9, v3
	s_cbranch_vccz .LBB40_1299
; %bb.1295:
	s_waitcnt vmcnt(0)
	global_load_dwordx2 v[8:9], v[4:5], off
	s_mov_b64 s[12:13], 0
	s_waitcnt vmcnt(0)
	v_cvt_f32_f64_e32 v1, v[8:9]
	s_branch .LBB40_1300
.LBB40_1296:
                                        ; implicit-def: $vgpr1
	s_branch .LBB40_1317
.LBB40_1297:
                                        ; implicit-def: $vgpr1
	s_branch .LBB40_1306
.LBB40_1298:
	s_mov_b64 s[12:13], -1
                                        ; implicit-def: $vgpr1
	s_branch .LBB40_1303
.LBB40_1299:
	s_mov_b64 s[12:13], -1
                                        ; implicit-def: $vgpr1
.LBB40_1300:
	s_andn2_b64 vcc, exec, s[12:13]
	s_cbranch_vccnz .LBB40_1302
; %bb.1301:
	s_waitcnt vmcnt(0)
	global_load_dword v1, v[4:5], off
.LBB40_1302:
	s_mov_b64 s[12:13], 0
.LBB40_1303:
	s_andn2_b64 vcc, exec, s[12:13]
	s_cbranch_vccnz .LBB40_1305
; %bb.1304:
	s_waitcnt vmcnt(0)
	global_load_dword v1, v[4:5], off
	s_waitcnt vmcnt(0)
	v_cvt_f32_f16_e32 v1, v1
.LBB40_1305:
	s_cbranch_execnz .LBB40_1316
.LBB40_1306:
	v_cmp_gt_i16_e32 vcc, 6, v3
	s_cbranch_vccnz .LBB40_1309
; %bb.1307:
	v_cmp_lt_i16_e32 vcc, 6, v3
	s_cbranch_vccz .LBB40_1310
; %bb.1308:
	s_waitcnt vmcnt(0)
	global_load_dwordx2 v[8:9], v[4:5], off
	s_mov_b64 s[12:13], 0
	s_waitcnt vmcnt(0)
	v_cvt_f32_f64_e32 v1, v[8:9]
	s_branch .LBB40_1311
.LBB40_1309:
	s_mov_b64 s[12:13], -1
                                        ; implicit-def: $vgpr1
	s_branch .LBB40_1314
.LBB40_1310:
	s_mov_b64 s[12:13], -1
                                        ; implicit-def: $vgpr1
.LBB40_1311:
	s_andn2_b64 vcc, exec, s[12:13]
	s_cbranch_vccnz .LBB40_1313
; %bb.1312:
	s_waitcnt vmcnt(0)
	global_load_dword v1, v[4:5], off
.LBB40_1313:
	s_mov_b64 s[12:13], 0
.LBB40_1314:
	s_andn2_b64 vcc, exec, s[12:13]
	s_cbranch_vccnz .LBB40_1316
; %bb.1315:
	s_waitcnt vmcnt(0)
	global_load_ushort v1, v[4:5], off
	s_waitcnt vmcnt(0)
	v_cvt_f32_f16_e32 v1, v1
.LBB40_1316:
	s_cbranch_execnz .LBB40_1335
.LBB40_1317:
	v_cmp_gt_i16_e32 vcc, 2, v3
	s_cbranch_vccnz .LBB40_1321
; %bb.1318:
	v_cmp_gt_i16_e32 vcc, 3, v3
	s_cbranch_vccnz .LBB40_1322
; %bb.1319:
	v_cmp_lt_i16_e32 vcc, 3, v3
	s_cbranch_vccz .LBB40_1323
; %bb.1320:
	s_waitcnt vmcnt(0)
	global_load_dwordx2 v[8:9], v[4:5], off
	s_mov_b64 s[12:13], 0
	s_waitcnt vmcnt(0)
	v_xor_b32_e32 v10, v8, v9
	v_ffbh_i32_e32 v1, v9
	v_ashrrev_i32_e32 v10, 31, v10
	v_add_u32_e32 v1, -1, v1
	v_add_u32_e32 v10, 32, v10
	v_min_u32_e32 v1, v1, v10
	v_lshlrev_b64 v[8:9], v1, v[8:9]
	v_min_u32_e32 v8, 1, v8
	v_or_b32_e32 v8, v9, v8
	v_cvt_f32_i32_e32 v8, v8
	v_sub_u32_e32 v1, 32, v1
	v_ldexp_f32 v1, v8, v1
	s_branch .LBB40_1324
.LBB40_1321:
                                        ; implicit-def: $vgpr1
	s_branch .LBB40_1330
.LBB40_1322:
	s_mov_b64 s[12:13], -1
                                        ; implicit-def: $vgpr1
	s_branch .LBB40_1327
.LBB40_1323:
	s_mov_b64 s[12:13], -1
                                        ; implicit-def: $vgpr1
.LBB40_1324:
	s_andn2_b64 vcc, exec, s[12:13]
	s_cbranch_vccnz .LBB40_1326
; %bb.1325:
	s_waitcnt vmcnt(0)
	global_load_dword v1, v[4:5], off
	s_waitcnt vmcnt(0)
	v_cvt_f32_i32_e32 v1, v1
.LBB40_1326:
	s_mov_b64 s[12:13], 0
.LBB40_1327:
	s_andn2_b64 vcc, exec, s[12:13]
	s_cbranch_vccnz .LBB40_1329
; %bb.1328:
	s_waitcnt vmcnt(0)
	global_load_sshort v1, v[4:5], off
	s_waitcnt vmcnt(0)
	v_cvt_f32_i32_e32 v1, v1
.LBB40_1329:
	s_cbranch_execnz .LBB40_1335
.LBB40_1330:
	v_cmp_lt_i16_e32 vcc, 0, v3
	s_cbranch_vccz .LBB40_1332
; %bb.1331:
	s_waitcnt vmcnt(0)
	global_load_sbyte v1, v[4:5], off
	s_mov_b64 s[12:13], 0
	s_waitcnt vmcnt(0)
	v_cvt_f32_i32_e32 v1, v1
	s_branch .LBB40_1333
.LBB40_1332:
	s_mov_b64 s[12:13], -1
                                        ; implicit-def: $vgpr1
.LBB40_1333:
	s_andn2_b64 vcc, exec, s[12:13]
	s_cbranch_vccnz .LBB40_1335
; %bb.1334:
	s_waitcnt vmcnt(0)
	global_load_ubyte v1, v[4:5], off
	s_waitcnt vmcnt(0)
	v_cvt_f32_ubyte0_e32 v1, v1
.LBB40_1335:
	s_or_b64 s[48:49], s[48:49], exec
.LBB40_1336:
	s_or_b64 exec, exec, s[0:1]
	s_mov_b64 s[14:15], 0
	s_mov_b64 s[18:19], 0
	;; [unrolled: 1-line block ×3, first 2 shown]
                                        ; implicit-def: $vgpr3
                                        ; implicit-def: $vgpr4_vgpr5
                                        ; implicit-def: $vgpr8
	s_and_saveexec_b64 s[0:1], s[48:49]
	s_cbranch_execz .LBB40_1344
; %bb.1337:
	v_mov_b32_e32 v3, s25
	s_waitcnt vmcnt(0)
	v_add_co_u32_e32 v4, vcc, s24, v2
	v_addc_co_u32_e32 v5, vcc, 0, v3, vcc
	v_and_b32_e32 v3, 0xff, v7
	v_cmp_gt_i16_e32 vcc, 11, v3
	s_cbranch_vccnz .LBB40_1347
; %bb.1338:
	v_cmp_lt_i16_e32 vcc, 25, v3
	s_cbranch_vccz .LBB40_1348
; %bb.1339:
	v_cmp_lt_i16_e32 vcc, 28, v3
	s_cbranch_vccz .LBB40_1349
	;; [unrolled: 3-line block ×4, first 2 shown]
; %bb.1342:
	v_cmp_eq_u16_e32 vcc, 46, v3
	s_cbranch_vccz .LBB40_1352
; %bb.1343:
	global_load_dword v2, v[4:5], off
	s_mov_b64 s[12:13], 0
	s_mov_b64 s[16:17], -1
	s_waitcnt vmcnt(0)
	v_lshlrev_b32_e32 v8, 16, v2
	s_branch .LBB40_1354
.LBB40_1344:
	s_or_b64 exec, exec, s[0:1]
	s_and_saveexec_b64 s[0:1], s[38:39]
	s_cbranch_execnz .LBB40_1417
.LBB40_1345:
	s_or_b64 exec, exec, s[0:1]
	s_and_saveexec_b64 s[0:1], s[14:15]
	s_xor_b64 s[0:1], exec, s[0:1]
	s_cbranch_execz .LBB40_1418
.LBB40_1346:
	s_waitcnt vmcnt(0)
	global_load_ubyte v2, v[4:5], off
	s_or_b64 s[16:17], s[16:17], exec
	s_waitcnt vmcnt(0)
	v_cmp_ne_u16_e32 vcc, 0, v2
	v_cndmask_b32_e64 v8, 0, 1.0, vcc
	s_or_b64 exec, exec, s[0:1]
	s_and_saveexec_b64 s[0:1], s[18:19]
	s_cbranch_execz .LBB40_1464
	s_branch .LBB40_1419
.LBB40_1347:
	s_mov_b64 s[18:19], -1
                                        ; implicit-def: $vgpr8
	s_mov_b64 s[12:13], s[38:39]
	s_branch .LBB40_1416
.LBB40_1348:
	s_mov_b64 s[12:13], s[38:39]
                                        ; implicit-def: $vgpr8
	s_cbranch_execnz .LBB40_1383
	s_branch .LBB40_1415
.LBB40_1349:
	s_mov_b64 s[18:19], -1
	s_mov_b64 s[12:13], s[38:39]
                                        ; implicit-def: $vgpr8
	s_branch .LBB40_1364
.LBB40_1350:
	s_mov_b64 s[18:19], -1
	s_mov_b64 s[12:13], s[38:39]
                                        ; implicit-def: $vgpr8
	s_branch .LBB40_1359
.LBB40_1351:
	s_mov_b64 s[18:19], -1
	s_mov_b64 s[12:13], s[38:39]
	s_branch .LBB40_1353
.LBB40_1352:
	s_mov_b64 s[12:13], -1
.LBB40_1353:
                                        ; implicit-def: $vgpr8
.LBB40_1354:
	s_and_b64 vcc, exec, s[18:19]
	s_cbranch_vccz .LBB40_1358
; %bb.1355:
	v_cmp_eq_u16_e32 vcc, 44, v3
	s_cbranch_vccz .LBB40_1357
; %bb.1356:
	global_load_ubyte v2, v[4:5], off
	s_movk_i32 s16, 0xff
	v_mov_b32_e32 v7, 0x7f800001
	v_mov_b32_e32 v8, 0x400000
	s_mov_b64 s[12:13], 0
	s_waitcnt vmcnt(0)
	v_lshlrev_b32_e32 v9, 23, v2
	v_cmp_ne_u32_e32 vcc, s16, v2
	v_cndmask_b32_e32 v7, v7, v9, vcc
	v_cmp_ne_u32_e32 vcc, 0, v2
	v_cndmask_b32_e32 v8, v8, v7, vcc
	s_mov_b64 s[16:17], -1
	s_branch .LBB40_1358
.LBB40_1357:
	s_mov_b64 s[12:13], -1
                                        ; implicit-def: $vgpr8
.LBB40_1358:
	s_mov_b64 s[18:19], 0
.LBB40_1359:
	s_and_b64 vcc, exec, s[18:19]
	s_cbranch_vccz .LBB40_1363
; %bb.1360:
	v_cmp_eq_u16_e32 vcc, 29, v3
	s_cbranch_vccz .LBB40_1362
; %bb.1361:
	global_load_dwordx2 v[8:9], v[4:5], off
	s_mov_b64 s[12:13], 0
	s_mov_b64 s[16:17], -1
	s_mov_b64 s[18:19], 0
	s_waitcnt vmcnt(0)
	v_ffbh_u32_e32 v2, v9
	v_min_u32_e32 v2, 32, v2
	v_lshlrev_b64 v[8:9], v2, v[8:9]
	v_min_u32_e32 v7, 1, v8
	v_or_b32_e32 v7, v9, v7
	v_cvt_f32_u32_e32 v7, v7
	v_sub_u32_e32 v2, 32, v2
	v_ldexp_f32 v8, v7, v2
	s_branch .LBB40_1364
.LBB40_1362:
	s_mov_b64 s[12:13], -1
                                        ; implicit-def: $vgpr8
.LBB40_1363:
	s_mov_b64 s[18:19], 0
.LBB40_1364:
	s_and_b64 vcc, exec, s[18:19]
	s_cbranch_vccz .LBB40_1382
; %bb.1365:
	v_cmp_gt_i16_e32 vcc, 27, v3
	s_cbranch_vccnz .LBB40_1368
; %bb.1366:
	v_cmp_lt_i16_e32 vcc, 27, v3
	s_cbranch_vccz .LBB40_1369
; %bb.1367:
	global_load_dword v2, v[4:5], off
	s_mov_b64 s[16:17], 0
	s_waitcnt vmcnt(0)
	v_cvt_f32_u32_e32 v8, v2
	s_branch .LBB40_1370
.LBB40_1368:
	s_mov_b64 s[16:17], -1
                                        ; implicit-def: $vgpr8
	s_branch .LBB40_1373
.LBB40_1369:
	s_mov_b64 s[16:17], -1
                                        ; implicit-def: $vgpr8
.LBB40_1370:
	s_andn2_b64 vcc, exec, s[16:17]
	s_cbranch_vccnz .LBB40_1372
; %bb.1371:
	global_load_ushort v2, v[4:5], off
	s_waitcnt vmcnt(0)
	v_cvt_f32_u32_e32 v8, v2
.LBB40_1372:
	s_mov_b64 s[16:17], 0
.LBB40_1373:
	s_andn2_b64 vcc, exec, s[16:17]
	s_cbranch_vccnz .LBB40_1381
; %bb.1374:
	global_load_ubyte v2, v[4:5], off
	s_movk_i32 s16, 0x7f
                                        ; implicit-def: $sgpr26
	s_waitcnt vmcnt(0)
	v_cmp_lt_i16_e32 vcc, s16, v2
	s_mov_b64 s[16:17], 0
	s_and_saveexec_b64 s[18:19], vcc
	s_xor_b64 s[18:19], exec, s[18:19]
	s_cbranch_execz .LBB40_1394
; %bb.1375:
	s_movk_i32 s16, 0x80
	v_cmp_eq_u16_e32 vcc, s16, v2
	s_mov_b64 s[16:17], -1
                                        ; implicit-def: $sgpr26
	s_and_saveexec_b64 s[24:25], vcc
; %bb.1376:
	s_mov_b32 s26, 0x7f800001
	s_xor_b64 s[16:17], exec, -1
; %bb.1377:
	s_or_b64 exec, exec, s[24:25]
	s_and_b64 s[16:17], s[16:17], exec
	s_or_saveexec_b64 s[18:19], s[18:19]
	v_mov_b32_e32 v8, s26
	s_xor_b64 exec, exec, s[18:19]
	s_cbranch_execnz .LBB40_1395
.LBB40_1378:
	s_or_b64 exec, exec, s[18:19]
	s_and_saveexec_b64 s[18:19], s[16:17]
	s_cbranch_execz .LBB40_1380
.LBB40_1379:
	v_lshlrev_b32_e32 v7, 24, v2
	v_and_b32_e32 v2, 0xffff, v2
	v_and_b32_e32 v8, 7, v2
	v_ffbh_u32_e32 v10, v8
	v_min_u32_e32 v10, 32, v10
	v_subrev_u32_e32 v11, 28, v10
	v_bfe_u32 v9, v2, 3, 4
	v_lshlrev_b32_e32 v2, v11, v2
	v_sub_u32_e32 v10, 29, v10
	v_and_b32_e32 v2, 7, v2
	v_cmp_eq_u32_e32 vcc, 0, v9
	v_cndmask_b32_e32 v9, v9, v10, vcc
	v_cndmask_b32_e32 v2, v8, v2, vcc
	v_mov_b32_e32 v8, 0x3b800000
	v_lshlrev_b32_e32 v2, 20, v2
	v_and_b32_e32 v7, 0x80000000, v7
	v_lshl_add_u32 v8, v9, 23, v8
	v_or3_b32 v8, v7, v8, v2
.LBB40_1380:
	s_or_b64 exec, exec, s[18:19]
.LBB40_1381:
	s_mov_b64 s[16:17], -1
.LBB40_1382:
	s_branch .LBB40_1415
.LBB40_1383:
	v_cmp_lt_i16_e32 vcc, 22, v3
	s_cbranch_vccz .LBB40_1393
; %bb.1384:
	v_cmp_gt_i16_e32 vcc, 24, v3
	s_cbranch_vccnz .LBB40_1396
; %bb.1385:
	v_cmp_lt_i16_e32 vcc, 24, v3
	s_cbranch_vccz .LBB40_1397
; %bb.1386:
	global_load_ubyte v2, v[4:5], off
	s_movk_i32 s14, 0x7f
                                        ; implicit-def: $sgpr24
	s_waitcnt vmcnt(0)
	v_cmp_lt_i16_e32 vcc, s14, v2
	s_mov_b64 s[14:15], 0
	s_and_saveexec_b64 s[16:17], vcc
	s_xor_b64 s[16:17], exec, s[16:17]
	s_cbranch_execz .LBB40_1409
; %bb.1387:
	s_movk_i32 s14, 0x80
	v_cmp_eq_u16_e32 vcc, s14, v2
	s_mov_b64 s[14:15], -1
                                        ; implicit-def: $sgpr24
	s_and_saveexec_b64 s[18:19], vcc
; %bb.1388:
	s_mov_b32 s24, 0x7f800001
	s_xor_b64 s[14:15], exec, -1
; %bb.1389:
	s_or_b64 exec, exec, s[18:19]
	s_and_b64 s[14:15], s[14:15], exec
	s_or_saveexec_b64 s[16:17], s[16:17]
	v_mov_b32_e32 v8, s24
	s_xor_b64 exec, exec, s[16:17]
	s_cbranch_execnz .LBB40_1410
.LBB40_1390:
	s_or_b64 exec, exec, s[16:17]
	s_and_saveexec_b64 s[16:17], s[14:15]
	s_cbranch_execz .LBB40_1392
.LBB40_1391:
	v_lshlrev_b32_e32 v7, 24, v2
	v_and_b32_e32 v2, 0xffff, v2
	v_and_b32_e32 v8, 3, v2
	v_ffbh_u32_e32 v10, v8
	v_min_u32_e32 v10, 32, v10
	v_subrev_u32_e32 v11, 29, v10
	v_bfe_u32 v9, v2, 2, 5
	v_lshlrev_b32_e32 v2, v11, v2
	v_sub_u32_e32 v10, 30, v10
	v_and_b32_e32 v2, 3, v2
	v_cmp_eq_u32_e32 vcc, 0, v9
	v_cndmask_b32_e32 v9, v9, v10, vcc
	v_cndmask_b32_e32 v2, v8, v2, vcc
	v_mov_b32_e32 v8, 0x37800000
	v_lshlrev_b32_e32 v2, 21, v2
	v_and_b32_e32 v7, 0x80000000, v7
	v_lshl_add_u32 v8, v9, 23, v8
	v_or3_b32 v8, v7, v8, v2
.LBB40_1392:
	s_or_b64 exec, exec, s[16:17]
	s_mov_b64 s[14:15], 0
	s_branch .LBB40_1398
.LBB40_1393:
	s_mov_b64 s[14:15], -1
                                        ; implicit-def: $vgpr8
	s_branch .LBB40_1404
.LBB40_1394:
	s_or_saveexec_b64 s[18:19], s[18:19]
	v_mov_b32_e32 v8, s26
	s_xor_b64 exec, exec, s[18:19]
	s_cbranch_execz .LBB40_1378
.LBB40_1395:
	v_cmp_ne_u16_e32 vcc, 0, v2
	s_andn2_b64 s[16:17], s[16:17], exec
	s_and_b64 s[24:25], vcc, exec
	v_mov_b32_e32 v8, 0
	s_or_b64 s[16:17], s[16:17], s[24:25]
	s_or_b64 exec, exec, s[18:19]
	s_and_saveexec_b64 s[18:19], s[16:17]
	s_cbranch_execnz .LBB40_1379
	s_branch .LBB40_1380
.LBB40_1396:
	s_mov_b64 s[14:15], -1
                                        ; implicit-def: $vgpr8
	s_branch .LBB40_1401
.LBB40_1397:
	s_mov_b64 s[14:15], -1
                                        ; implicit-def: $vgpr8
.LBB40_1398:
	s_and_b64 vcc, exec, s[14:15]
	s_cbranch_vccz .LBB40_1400
; %bb.1399:
	global_load_ubyte v2, v[4:5], off
	s_mov_b32 s14, 0x7f800000
	s_waitcnt vmcnt(0)
	v_lshlrev_b32_e32 v2, 24, v2
	v_and_b32_e32 v7, 0x7f000000, v2
	v_ffbh_u32_e32 v8, v7
	v_min_u32_e32 v8, 32, v8
	v_sub_u32_e64 v8, v8, 4 clamp
	v_lshlrev_b32_e32 v10, v8, v7
	v_lshlrev_b32_e32 v8, 23, v8
	v_lshrrev_b32_e32 v10, 4, v10
	v_add_u32_e32 v9, 0x1000000, v7
	v_sub_u32_e32 v8, v10, v8
	v_ashrrev_i32_e32 v9, 8, v9
	v_add_u32_e32 v8, 0x3c000000, v8
	v_and_or_b32 v8, v9, s14, v8
	v_cmp_ne_u32_e32 vcc, 0, v7
	v_cndmask_b32_e32 v7, 0, v8, vcc
	s_brev_b32 s14, 1
	v_and_or_b32 v8, v2, s14, v7
.LBB40_1400:
	s_mov_b64 s[14:15], 0
.LBB40_1401:
	s_andn2_b64 vcc, exec, s[14:15]
	s_cbranch_vccnz .LBB40_1403
; %bb.1402:
	global_load_ubyte v2, v[4:5], off
	s_movk_i32 s14, 0x7f00
	s_brev_b32 s15, 16
	s_waitcnt vmcnt(0)
	v_lshlrev_b16_e32 v7, 8, v2
	v_lshlrev_b32_e32 v2, 25, v2
	v_lshrrev_b32_e32 v8, 4, v2
	v_and_or_b32 v9, v7, s14, 0.5
	v_or_b32_e32 v8, 0x70000000, v8
	v_add_f32_e32 v9, -0.5, v9
	v_mul_f32_e32 v8, 0x7800000, v8
	v_cmp_gt_u32_e32 vcc, s15, v2
	v_bfe_i32 v7, v7, 0, 16
	v_cndmask_b32_e32 v2, v8, v9, vcc
	s_brev_b32 s14, 1
	v_and_or_b32 v8, v7, s14, v2
.LBB40_1403:
	s_mov_b64 s[14:15], 0
	s_mov_b64 s[16:17], -1
.LBB40_1404:
	s_andn2_b64 vcc, exec, s[14:15]
	s_mov_b64 s[14:15], 0
	s_cbranch_vccnz .LBB40_1415
; %bb.1405:
	v_cmp_lt_i16_e32 vcc, 14, v3
	s_cbranch_vccz .LBB40_1408
; %bb.1406:
	v_cmp_eq_u16_e32 vcc, 15, v3
	s_cbranch_vccz .LBB40_1411
; %bb.1407:
	global_load_ushort v2, v[4:5], off
	s_mov_b64 s[12:13], 0
	s_mov_b64 s[16:17], -1
	s_waitcnt vmcnt(0)
	v_lshlrev_b32_e32 v8, 16, v2
	s_branch .LBB40_1412
.LBB40_1408:
	s_mov_b64 s[18:19], -1
                                        ; implicit-def: $vgpr8
	s_branch .LBB40_1413
.LBB40_1409:
	s_or_saveexec_b64 s[16:17], s[16:17]
	v_mov_b32_e32 v8, s24
	s_xor_b64 exec, exec, s[16:17]
	s_cbranch_execz .LBB40_1390
.LBB40_1410:
	v_cmp_ne_u16_e32 vcc, 0, v2
	s_andn2_b64 s[14:15], s[14:15], exec
	s_and_b64 s[18:19], vcc, exec
	v_mov_b32_e32 v8, 0
	s_or_b64 s[14:15], s[14:15], s[18:19]
	s_or_b64 exec, exec, s[16:17]
	s_and_saveexec_b64 s[16:17], s[14:15]
	s_cbranch_execnz .LBB40_1391
	s_branch .LBB40_1392
.LBB40_1411:
	s_mov_b64 s[12:13], -1
                                        ; implicit-def: $vgpr8
.LBB40_1412:
	s_mov_b64 s[18:19], 0
.LBB40_1413:
	s_and_b64 vcc, exec, s[18:19]
	s_cbranch_vccz .LBB40_1415
; %bb.1414:
	v_cmp_ne_u16_e32 vcc, 11, v3
	s_andn2_b64 s[12:13], s[12:13], exec
	s_and_b64 s[18:19], vcc, exec
	s_mov_b64 s[14:15], -1
	s_or_b64 s[12:13], s[12:13], s[18:19]
                                        ; implicit-def: $vgpr8
.LBB40_1415:
	s_mov_b64 s[18:19], 0
.LBB40_1416:
	s_andn2_b64 s[24:25], s[38:39], exec
	s_and_b64 s[12:13], s[12:13], exec
	s_and_b64 s[16:17], s[16:17], exec
	;; [unrolled: 1-line block ×4, first 2 shown]
	s_or_b64 s[38:39], s[24:25], s[12:13]
	s_or_b64 exec, exec, s[0:1]
	s_and_saveexec_b64 s[0:1], s[38:39]
	s_cbranch_execz .LBB40_1345
.LBB40_1417:
	s_or_b64 s[10:11], s[10:11], exec
	s_andn2_b64 s[14:15], s[14:15], exec
	s_trap 2
                                        ; implicit-def: $vgpr8
	s_or_b64 exec, exec, s[0:1]
	s_and_saveexec_b64 s[0:1], s[14:15]
	s_xor_b64 s[0:1], exec, s[0:1]
	s_cbranch_execnz .LBB40_1346
.LBB40_1418:
	s_or_b64 exec, exec, s[0:1]
	s_and_saveexec_b64 s[0:1], s[18:19]
	s_cbranch_execz .LBB40_1464
.LBB40_1419:
	v_cmp_gt_i16_e32 vcc, 5, v3
	s_cbranch_vccnz .LBB40_1424
; %bb.1420:
	v_cmp_gt_i16_e32 vcc, 8, v3
	s_cbranch_vccnz .LBB40_1425
; %bb.1421:
	;; [unrolled: 3-line block ×3, first 2 shown]
	v_cmp_lt_i16_e32 vcc, 9, v3
	s_cbranch_vccz .LBB40_1427
; %bb.1423:
	s_waitcnt vmcnt(0)
	global_load_dwordx2 v[8:9], v[4:5], off
	s_mov_b64 s[12:13], 0
	s_waitcnt vmcnt(0)
	v_cvt_f32_f64_e32 v8, v[8:9]
	s_branch .LBB40_1428
.LBB40_1424:
                                        ; implicit-def: $vgpr8
	s_branch .LBB40_1445
.LBB40_1425:
                                        ; implicit-def: $vgpr8
	s_branch .LBB40_1434
.LBB40_1426:
	s_mov_b64 s[12:13], -1
                                        ; implicit-def: $vgpr8
	s_branch .LBB40_1431
.LBB40_1427:
	s_mov_b64 s[12:13], -1
                                        ; implicit-def: $vgpr8
.LBB40_1428:
	s_andn2_b64 vcc, exec, s[12:13]
	s_cbranch_vccnz .LBB40_1430
; %bb.1429:
	s_waitcnt vmcnt(0)
	global_load_dword v8, v[4:5], off
.LBB40_1430:
	s_mov_b64 s[12:13], 0
.LBB40_1431:
	s_andn2_b64 vcc, exec, s[12:13]
	s_cbranch_vccnz .LBB40_1433
; %bb.1432:
	s_waitcnt vmcnt(0)
	global_load_dword v2, v[4:5], off
	s_waitcnt vmcnt(0)
	v_cvt_f32_f16_e32 v8, v2
.LBB40_1433:
	s_cbranch_execnz .LBB40_1444
.LBB40_1434:
	v_cmp_gt_i16_e32 vcc, 6, v3
	s_cbranch_vccnz .LBB40_1437
; %bb.1435:
	v_cmp_lt_i16_e32 vcc, 6, v3
	s_cbranch_vccz .LBB40_1438
; %bb.1436:
	s_waitcnt vmcnt(0)
	global_load_dwordx2 v[8:9], v[4:5], off
	s_mov_b64 s[12:13], 0
	s_waitcnt vmcnt(0)
	v_cvt_f32_f64_e32 v8, v[8:9]
	s_branch .LBB40_1439
.LBB40_1437:
	s_mov_b64 s[12:13], -1
                                        ; implicit-def: $vgpr8
	s_branch .LBB40_1442
.LBB40_1438:
	s_mov_b64 s[12:13], -1
                                        ; implicit-def: $vgpr8
.LBB40_1439:
	s_andn2_b64 vcc, exec, s[12:13]
	s_cbranch_vccnz .LBB40_1441
; %bb.1440:
	s_waitcnt vmcnt(0)
	global_load_dword v8, v[4:5], off
.LBB40_1441:
	s_mov_b64 s[12:13], 0
.LBB40_1442:
	s_andn2_b64 vcc, exec, s[12:13]
	s_cbranch_vccnz .LBB40_1444
; %bb.1443:
	s_waitcnt vmcnt(0)
	global_load_ushort v2, v[4:5], off
	s_waitcnt vmcnt(0)
	v_cvt_f32_f16_e32 v8, v2
.LBB40_1444:
	s_cbranch_execnz .LBB40_1463
.LBB40_1445:
	v_cmp_gt_i16_e32 vcc, 2, v3
	s_cbranch_vccnz .LBB40_1449
; %bb.1446:
	v_cmp_gt_i16_e32 vcc, 3, v3
	s_cbranch_vccnz .LBB40_1450
; %bb.1447:
	v_cmp_lt_i16_e32 vcc, 3, v3
	s_cbranch_vccz .LBB40_1451
; %bb.1448:
	s_waitcnt vmcnt(0)
	global_load_dwordx2 v[8:9], v[4:5], off
	s_mov_b64 s[12:13], 0
	s_waitcnt vmcnt(0)
	v_xor_b32_e32 v7, v8, v9
	v_ffbh_i32_e32 v2, v9
	v_ashrrev_i32_e32 v7, 31, v7
	v_add_u32_e32 v2, -1, v2
	v_add_u32_e32 v7, 32, v7
	v_min_u32_e32 v2, v2, v7
	v_lshlrev_b64 v[8:9], v2, v[8:9]
	v_min_u32_e32 v7, 1, v8
	v_or_b32_e32 v7, v9, v7
	v_cvt_f32_i32_e32 v7, v7
	v_sub_u32_e32 v2, 32, v2
	v_ldexp_f32 v8, v7, v2
	s_branch .LBB40_1452
.LBB40_1449:
                                        ; implicit-def: $vgpr8
	s_branch .LBB40_1458
.LBB40_1450:
	s_mov_b64 s[12:13], -1
                                        ; implicit-def: $vgpr8
	s_branch .LBB40_1455
.LBB40_1451:
	s_mov_b64 s[12:13], -1
                                        ; implicit-def: $vgpr8
.LBB40_1452:
	s_andn2_b64 vcc, exec, s[12:13]
	s_cbranch_vccnz .LBB40_1454
; %bb.1453:
	s_waitcnt vmcnt(0)
	global_load_dword v2, v[4:5], off
	s_waitcnt vmcnt(0)
	v_cvt_f32_i32_e32 v8, v2
.LBB40_1454:
	s_mov_b64 s[12:13], 0
.LBB40_1455:
	s_andn2_b64 vcc, exec, s[12:13]
	s_cbranch_vccnz .LBB40_1457
; %bb.1456:
	s_waitcnt vmcnt(0)
	global_load_sshort v2, v[4:5], off
	s_waitcnt vmcnt(0)
	v_cvt_f32_i32_e32 v8, v2
.LBB40_1457:
	s_cbranch_execnz .LBB40_1463
.LBB40_1458:
	v_cmp_lt_i16_e32 vcc, 0, v3
	s_cbranch_vccz .LBB40_1460
; %bb.1459:
	s_waitcnt vmcnt(0)
	global_load_sbyte v2, v[4:5], off
	s_mov_b64 s[12:13], 0
	s_waitcnt vmcnt(0)
	v_cvt_f32_i32_e32 v8, v2
	s_branch .LBB40_1461
.LBB40_1460:
	s_mov_b64 s[12:13], -1
                                        ; implicit-def: $vgpr8
.LBB40_1461:
	s_andn2_b64 vcc, exec, s[12:13]
	s_cbranch_vccnz .LBB40_1463
; %bb.1462:
	s_waitcnt vmcnt(0)
	global_load_ubyte v2, v[4:5], off
	s_waitcnt vmcnt(0)
	v_cvt_f32_ubyte0_e32 v8, v2
.LBB40_1463:
	s_or_b64 s[16:17], s[16:17], exec
.LBB40_1464:
	s_or_b64 exec, exec, s[0:1]
	s_mov_b64 s[18:19], 0
	s_mov_b64 s[14:15], 0
                                        ; implicit-def: $vgpr7
                                        ; implicit-def: $vgpr2_vgpr3
                                        ; implicit-def: $vgpr4
	s_and_saveexec_b64 s[12:13], s[16:17]
	s_cbranch_execz .LBB40_1482
; %bb.1465:
	s_waitcnt vmcnt(0)
	v_mul_f32_e32 v2, v1, v8
	v_cmp_lt_f32_e32 vcc, 0, v1
	v_cndmask_b32_e32 v4, v2, v1, vcc
	v_mov_b32_e32 v1, s9
	v_add_co_u32_e32 v2, vcc, s8, v0
	v_addc_co_u32_e32 v3, vcc, 0, v1, vcc
	v_and_b32_e32 v7, 0xff, v6
	v_cmp_gt_i16_e32 vcc, 11, v7
	s_cbranch_vccnz .LBB40_1485
; %bb.1466:
	v_cmp_lt_i16_e32 vcc, 25, v7
	s_mov_b64 s[14:15], -1
	s_mov_b64 s[0:1], s[36:37]
	s_cbranch_vccz .LBB40_1503
; %bb.1467:
	v_cmp_lt_i16_e32 vcc, 28, v7
	s_mov_b64 s[8:9], -1
	s_mov_b64 s[0:1], s[36:37]
	s_cbranch_vccz .LBB40_1487
; %bb.1468:
	v_cmp_lt_i16_e32 vcc, 43, v7
	s_mov_b64 s[0:1], s[36:37]
	s_cbranch_vccz .LBB40_1479
; %bb.1469:
	v_cmp_lt_i16_e32 vcc, 45, v7
	s_mov_b64 s[0:1], s[36:37]
	s_cbranch_vccz .LBB40_1473
; %bb.1470:
	v_cmp_eq_u16_e32 vcc, 46, v7
	s_mov_b64 s[0:1], -1
	s_cbranch_vccz .LBB40_1472
; %bb.1471:
	v_bfe_u32 v0, v4, 16, 1
	s_movk_i32 s0, 0x7fff
	v_add3_u32 v0, v4, v0, s0
	v_lshrrev_b32_e32 v0, 16, v0
	v_mov_b32_e32 v1, 0x7fc0
	v_cmp_o_f32_e32 vcc, v4, v4
	v_cndmask_b32_e32 v0, v1, v0, vcc
	global_store_dword v[2:3], v0, off
	s_mov_b64 s[0:1], 0
.LBB40_1472:
	s_mov_b64 s[8:9], 0
.LBB40_1473:
	s_and_b64 vcc, exec, s[8:9]
	s_cbranch_vccz .LBB40_1478
; %bb.1474:
	v_cmp_eq_u16_e32 vcc, 44, v7
	s_mov_b64 s[0:1], -1
	s_cbranch_vccz .LBB40_1478
; %bb.1475:
	v_bfe_u32 v0, v4, 23, 8
	s_movk_i32 s0, 0xff
	v_cmp_ne_u32_e32 vcc, s0, v0
	v_mov_b32_e32 v1, 0xff
	s_and_saveexec_b64 s[8:9], vcc
; %bb.1476:
	s_mov_b32 s0, 0x3fffff
	v_and_b32_e32 v5, 0x400000, v4
	v_and_or_b32 v0, v4, s0, v0
	v_cmp_ne_u32_e32 vcc, 0, v5
	v_cmp_ne_u32_e64 s[0:1], 0, v0
	s_and_b64 s[0:1], vcc, s[0:1]
	v_lshrrev_b32_e32 v1, 23, v4
	v_cndmask_b32_e64 v0, 0, 1, s[0:1]
	v_add_u32_e32 v1, v1, v0
; %bb.1477:
	s_or_b64 exec, exec, s[8:9]
	s_mov_b64 s[0:1], 0
	global_store_byte v[2:3], v1, off
.LBB40_1478:
	s_mov_b64 s[8:9], 0
.LBB40_1479:
	s_and_b64 vcc, exec, s[8:9]
	s_cbranch_vccz .LBB40_1486
; %bb.1480:
	v_cmp_eq_u16_e32 vcc, 29, v7
	s_mov_b64 s[0:1], -1
	s_cbranch_vccz .LBB40_1486
; %bb.1481:
	v_trunc_f32_e32 v0, v4
	v_mul_f32_e32 v1, 0x2f800000, v0
	v_floor_f32_e32 v5, v1
	v_fmac_f32_e32 v0, 0xcf800000, v5
	v_cvt_u32_f32_e32 v1, v5
	v_cvt_u32_f32_e32 v0, v0
	s_mov_b64 s[0:1], 0
	s_mov_b64 s[8:9], 0
	global_store_dwordx2 v[2:3], v[0:1], off
	s_branch .LBB40_1487
.LBB40_1482:
	s_or_b64 exec, exec, s[12:13]
	s_and_saveexec_b64 s[0:1], s[36:37]
	s_cbranch_execnz .LBB40_1545
.LBB40_1483:
	s_or_b64 exec, exec, s[0:1]
	s_and_saveexec_b64 s[0:1], s[18:19]
	s_xor_b64 s[0:1], exec, s[0:1]
	s_cbranch_execz .LBB40_1546
.LBB40_1484:
	s_waitcnt vmcnt(0)
	v_cmp_neq_f32_e32 vcc, 0, v4
	v_cndmask_b32_e64 v0, 0, 1, vcc
	global_store_byte v[2:3], v0, off
	s_or_b64 exec, exec, s[0:1]
	s_and_saveexec_b64 s[0:1], s[14:15]
	s_xor_b64 s[0:1], exec, s[0:1]
	s_cbranch_execz .LBB40_1584
	s_branch .LBB40_1547
.LBB40_1485:
	s_mov_b64 s[16:17], 0
	s_mov_b64 s[8:9], -1
	s_mov_b64 s[0:1], s[36:37]
	s_branch .LBB40_1544
.LBB40_1486:
	s_mov_b64 s[8:9], 0
.LBB40_1487:
	s_and_b64 vcc, exec, s[8:9]
	s_cbranch_vccz .LBB40_1502
; %bb.1488:
	v_cmp_gt_i16_e32 vcc, 27, v7
	s_mov_b64 s[8:9], -1
	s_cbranch_vccnz .LBB40_1494
; %bb.1489:
	v_cmp_lt_i16_e32 vcc, 27, v7
	s_cbranch_vccz .LBB40_1491
; %bb.1490:
	v_cvt_u32_f32_e32 v0, v4
	s_mov_b64 s[8:9], 0
	global_store_dword v[2:3], v0, off
.LBB40_1491:
	s_andn2_b64 vcc, exec, s[8:9]
	s_cbranch_vccnz .LBB40_1493
; %bb.1492:
	v_cvt_u32_f32_e32 v0, v4
	global_store_short v[2:3], v0, off
.LBB40_1493:
	s_mov_b64 s[8:9], 0
.LBB40_1494:
	s_andn2_b64 vcc, exec, s[8:9]
	s_cbranch_vccnz .LBB40_1502
; %bb.1495:
	v_and_b32_e32 v0, 0x7fffffff, v4
	s_mov_b32 s8, 0x43800000
	v_cmp_gt_u32_e32 vcc, s8, v0
	v_mov_b32_e32 v1, 0x80
	s_and_saveexec_b64 s[8:9], vcc
	s_cbranch_execz .LBB40_1501
; %bb.1496:
	s_mov_b32 s14, 0x3bffffff
	v_cmp_lt_u32_e32 vcc, s14, v0
	s_mov_b64 s[14:15], 0
                                        ; implicit-def: $vgpr0
	s_and_saveexec_b64 s[16:17], vcc
	s_xor_b64 s[16:17], exec, s[16:17]
	s_cbranch_execz .LBB40_1639
; %bb.1497:
	v_bfe_u32 v0, v4, 20, 1
	s_mov_b32 s18, 0x487ffff
	v_add3_u32 v0, v4, v0, s18
	s_mov_b64 s[14:15], exec
	v_lshrrev_b32_e32 v0, 20, v0
	s_or_saveexec_b64 s[16:17], s[16:17]
                                        ; implicit-def: $sgpr18
	s_xor_b64 exec, exec, s[16:17]
	s_cbranch_execnz .LBB40_1640
.LBB40_1498:
	s_or_b64 exec, exec, s[16:17]
	v_mov_b32_e32 v1, s18
	s_and_saveexec_b64 s[16:17], s[14:15]
.LBB40_1499:
	v_lshrrev_b32_e32 v1, 24, v4
	s_movk_i32 s14, 0x80
	v_and_or_b32 v1, v1, s14, v0
.LBB40_1500:
	s_or_b64 exec, exec, s[16:17]
.LBB40_1501:
	s_or_b64 exec, exec, s[8:9]
	global_store_byte v[2:3], v1, off
.LBB40_1502:
	s_mov_b64 s[14:15], 0
.LBB40_1503:
	s_mov_b64 s[8:9], 0
	s_and_b64 vcc, exec, s[14:15]
	s_cbranch_vccz .LBB40_1543
; %bb.1504:
	v_cmp_lt_i16_e32 vcc, 22, v7
	s_mov_b64 s[14:15], -1
	s_cbranch_vccz .LBB40_1536
; %bb.1505:
	v_cmp_gt_i16_e32 vcc, 24, v7
	s_cbranch_vccnz .LBB40_1525
; %bb.1506:
	v_cmp_lt_i16_e32 vcc, 24, v7
	s_cbranch_vccz .LBB40_1514
; %bb.1507:
	v_and_b32_e32 v0, 0x7fffffff, v4
	s_mov_b32 s14, 0x47800000
	v_cmp_gt_u32_e32 vcc, s14, v0
	v_mov_b32_e32 v1, 0x80
	s_and_saveexec_b64 s[14:15], vcc
	s_cbranch_execz .LBB40_1513
; %bb.1508:
	s_mov_b32 s16, 0x37ffffff
	v_cmp_lt_u32_e32 vcc, s16, v0
	s_mov_b64 s[16:17], 0
                                        ; implicit-def: $vgpr0
	s_and_saveexec_b64 s[18:19], vcc
	s_xor_b64 s[18:19], exec, s[18:19]
	s_cbranch_execz .LBB40_1764
; %bb.1509:
	v_bfe_u32 v0, v4, 21, 1
	s_mov_b32 s24, 0x88fffff
	v_add3_u32 v0, v4, v0, s24
	s_mov_b64 s[16:17], exec
	v_lshrrev_b32_e32 v0, 21, v0
	s_or_saveexec_b64 s[18:19], s[18:19]
                                        ; implicit-def: $sgpr24
	s_xor_b64 exec, exec, s[18:19]
	s_cbranch_execnz .LBB40_1765
.LBB40_1510:
	s_or_b64 exec, exec, s[18:19]
	v_mov_b32_e32 v1, s24
	s_and_saveexec_b64 s[18:19], s[16:17]
.LBB40_1511:
	v_lshrrev_b32_e32 v1, 24, v4
	s_movk_i32 s16, 0x80
	v_and_or_b32 v1, v1, s16, v0
.LBB40_1512:
	s_or_b64 exec, exec, s[18:19]
.LBB40_1513:
	s_or_b64 exec, exec, s[14:15]
	s_mov_b64 s[14:15], 0
	global_store_byte v[2:3], v1, off
.LBB40_1514:
	s_and_b64 vcc, exec, s[14:15]
	s_cbranch_vccz .LBB40_1524
; %bb.1515:
	v_and_b32_e32 v1, 0x7fffffff, v4
	s_mov_b32 s14, 0x43f00000
	v_cmp_gt_u32_e32 vcc, s14, v1
                                        ; implicit-def: $vgpr0
	s_and_saveexec_b64 s[14:15], vcc
	s_xor_b64 s[14:15], exec, s[14:15]
	s_cbranch_execz .LBB40_1521
; %bb.1516:
	s_mov_b32 s16, 0x3c7fffff
	v_cmp_lt_u32_e32 vcc, s16, v1
                                        ; implicit-def: $vgpr0
	s_and_saveexec_b64 s[16:17], vcc
	s_xor_b64 s[16:17], exec, s[16:17]
; %bb.1517:
	v_bfe_u32 v0, v4, 20, 1
	s_mov_b32 s18, 0x407ffff
	v_add3_u32 v0, v4, v0, s18
	v_lshrrev_b32_e32 v1, 20, v0
	v_and_b32_e32 v0, 0xff00000, v0
	s_mov_b32 s18, 0x7f00000
	v_mov_b32_e32 v5, 0x7e
	v_cmp_ne_u32_e32 vcc, s18, v0
	v_cndmask_b32_e32 v0, v5, v1, vcc
; %bb.1518:
	s_andn2_saveexec_b64 s[16:17], s[16:17]
; %bb.1519:
	s_mov_b32 s18, 0x46800000
	v_add_f32_e64 v0, |v4|, s18
; %bb.1520:
	s_or_b64 exec, exec, s[16:17]
                                        ; implicit-def: $vgpr1
.LBB40_1521:
	s_andn2_saveexec_b64 s[14:15], s[14:15]
; %bb.1522:
	s_mov_b32 s16, 0x7f800000
	v_mov_b32_e32 v0, 0x7e
	v_mov_b32_e32 v5, 0x7f
	v_cmp_lt_u32_e32 vcc, s16, v1
	v_cndmask_b32_e32 v0, v0, v5, vcc
; %bb.1523:
	s_or_b64 exec, exec, s[14:15]
	v_lshrrev_b32_e32 v1, 24, v4
	s_movk_i32 s14, 0x80
	v_and_or_b32 v0, v1, s14, v0
	global_store_byte v[2:3], v0, off
.LBB40_1524:
	s_mov_b64 s[14:15], 0
.LBB40_1525:
	s_andn2_b64 vcc, exec, s[14:15]
	s_cbranch_vccnz .LBB40_1535
; %bb.1526:
	v_and_b32_e32 v1, 0x7fffffff, v4
	s_mov_b32 s14, 0x47800000
	v_cmp_gt_u32_e32 vcc, s14, v1
                                        ; implicit-def: $vgpr0
	s_and_saveexec_b64 s[14:15], vcc
	s_xor_b64 s[14:15], exec, s[14:15]
	s_cbranch_execz .LBB40_1532
; %bb.1527:
	s_mov_b32 s16, 0x387fffff
	v_cmp_lt_u32_e32 vcc, s16, v1
                                        ; implicit-def: $vgpr0
	s_and_saveexec_b64 s[16:17], vcc
	s_xor_b64 s[16:17], exec, s[16:17]
; %bb.1528:
	v_bfe_u32 v0, v4, 21, 1
	s_mov_b32 s18, 0x80fffff
	v_add3_u32 v0, v4, v0, s18
	v_lshrrev_b32_e32 v0, 21, v0
; %bb.1529:
	s_andn2_saveexec_b64 s[16:17], s[16:17]
; %bb.1530:
	s_mov_b32 s18, 0x43000000
	v_add_f32_e64 v0, |v4|, s18
; %bb.1531:
	s_or_b64 exec, exec, s[16:17]
                                        ; implicit-def: $vgpr1
.LBB40_1532:
	s_andn2_saveexec_b64 s[14:15], s[14:15]
; %bb.1533:
	s_mov_b32 s16, 0x7f800000
	v_mov_b32_e32 v0, 0x7c
	v_mov_b32_e32 v5, 0x7f
	v_cmp_lt_u32_e32 vcc, s16, v1
	v_cndmask_b32_e32 v0, v0, v5, vcc
; %bb.1534:
	s_or_b64 exec, exec, s[14:15]
	v_lshrrev_b32_e32 v1, 24, v4
	s_movk_i32 s14, 0x80
	v_and_or_b32 v0, v1, s14, v0
	global_store_byte v[2:3], v0, off
.LBB40_1535:
	s_mov_b64 s[14:15], 0
.LBB40_1536:
	s_andn2_b64 vcc, exec, s[14:15]
	s_mov_b64 s[16:17], 0
	s_cbranch_vccnz .LBB40_1544
; %bb.1537:
	v_cmp_lt_i16_e32 vcc, 14, v7
	s_mov_b64 s[14:15], -1
	s_cbranch_vccz .LBB40_1541
; %bb.1538:
	v_cmp_eq_u16_e32 vcc, 15, v7
	s_mov_b64 s[0:1], -1
	s_cbranch_vccz .LBB40_1540
; %bb.1539:
	v_bfe_u32 v0, v4, 16, 1
	s_movk_i32 s0, 0x7fff
	v_add3_u32 v0, v4, v0, s0
	v_lshrrev_b32_e32 v0, 16, v0
	v_mov_b32_e32 v1, 0x7fc0
	v_cmp_o_f32_e32 vcc, v4, v4
	v_cndmask_b32_e32 v0, v1, v0, vcc
	global_store_short v[2:3], v0, off
	s_mov_b64 s[0:1], 0
.LBB40_1540:
	s_mov_b64 s[14:15], 0
.LBB40_1541:
	s_and_b64 vcc, exec, s[14:15]
	s_cbranch_vccz .LBB40_1544
; %bb.1542:
	v_cmp_ne_u16_e32 vcc, 11, v7
	s_andn2_b64 s[0:1], s[0:1], exec
	s_and_b64 s[14:15], vcc, exec
	s_mov_b64 s[16:17], -1
	s_or_b64 s[0:1], s[0:1], s[14:15]
	s_branch .LBB40_1544
.LBB40_1543:
	s_mov_b64 s[16:17], 0
.LBB40_1544:
	s_and_b64 s[14:15], s[8:9], exec
	s_andn2_b64 s[8:9], s[36:37], exec
	s_and_b64 s[0:1], s[0:1], exec
	s_and_b64 s[18:19], s[16:17], exec
	s_or_b64 s[36:37], s[8:9], s[0:1]
	s_or_b64 exec, exec, s[12:13]
	s_and_saveexec_b64 s[0:1], s[36:37]
	s_cbranch_execz .LBB40_1483
.LBB40_1545:
	s_or_b64 s[10:11], s[10:11], exec
	s_andn2_b64 s[18:19], s[18:19], exec
	s_trap 2
	s_or_b64 exec, exec, s[0:1]
	s_and_saveexec_b64 s[0:1], s[18:19]
	s_xor_b64 s[0:1], exec, s[0:1]
	s_cbranch_execnz .LBB40_1484
.LBB40_1546:
	s_or_b64 exec, exec, s[0:1]
	s_and_saveexec_b64 s[0:1], s[14:15]
	s_xor_b64 s[0:1], exec, s[0:1]
	s_cbranch_execz .LBB40_1584
.LBB40_1547:
	s_waitcnt vmcnt(0)
	v_cmp_gt_i16_e32 vcc, 5, v7
	s_mov_b64 s[8:9], -1
	s_cbranch_vccnz .LBB40_1568
; %bb.1548:
	v_cmp_gt_i16_e32 vcc, 8, v7
	s_cbranch_vccnz .LBB40_1558
; %bb.1549:
	v_cmp_gt_i16_e32 vcc, 9, v7
	s_cbranch_vccnz .LBB40_1555
; %bb.1550:
	v_cmp_lt_i16_e32 vcc, 9, v7
	s_cbranch_vccz .LBB40_1552
; %bb.1551:
	v_mov_b32_e32 v10, 0
	v_cvt_f64_f32_e32 v[8:9], v4
	v_mov_b32_e32 v11, v10
	s_mov_b64 s[8:9], 0
	global_store_dwordx4 v[2:3], v[8:11], off
.LBB40_1552:
	s_andn2_b64 vcc, exec, s[8:9]
	s_cbranch_vccnz .LBB40_1554
; %bb.1553:
	v_mov_b32_e32 v5, 0
	global_store_dwordx2 v[2:3], v[4:5], off
.LBB40_1554:
	s_mov_b64 s[8:9], 0
.LBB40_1555:
	s_andn2_b64 vcc, exec, s[8:9]
	s_cbranch_vccnz .LBB40_1557
; %bb.1556:
	v_cvt_f16_f32_e32 v0, v4
	global_store_dword v[2:3], v0, off
.LBB40_1557:
	s_mov_b64 s[8:9], 0
.LBB40_1558:
	s_andn2_b64 vcc, exec, s[8:9]
	s_cbranch_vccnz .LBB40_1567
; %bb.1559:
	v_cmp_gt_i16_e32 vcc, 6, v7
	s_mov_b64 s[8:9], -1
	s_cbranch_vccnz .LBB40_1565
; %bb.1560:
	v_cmp_lt_i16_e32 vcc, 6, v7
	s_cbranch_vccz .LBB40_1562
; %bb.1561:
	v_cvt_f64_f32_e32 v[0:1], v4
	s_mov_b64 s[8:9], 0
	global_store_dwordx2 v[2:3], v[0:1], off
.LBB40_1562:
	s_andn2_b64 vcc, exec, s[8:9]
	s_cbranch_vccnz .LBB40_1564
; %bb.1563:
	global_store_dword v[2:3], v4, off
.LBB40_1564:
	s_mov_b64 s[8:9], 0
.LBB40_1565:
	s_andn2_b64 vcc, exec, s[8:9]
	s_cbranch_vccnz .LBB40_1567
; %bb.1566:
	v_cvt_f16_f32_e32 v0, v4
	global_store_short v[2:3], v0, off
.LBB40_1567:
	s_mov_b64 s[8:9], 0
.LBB40_1568:
	s_andn2_b64 vcc, exec, s[8:9]
	s_cbranch_vccnz .LBB40_1584
; %bb.1569:
	v_cmp_gt_i16_e32 vcc, 2, v7
	s_mov_b64 s[8:9], -1
	s_cbranch_vccnz .LBB40_1579
; %bb.1570:
	v_cmp_gt_i16_e32 vcc, 3, v7
	s_cbranch_vccnz .LBB40_1576
; %bb.1571:
	v_cmp_lt_i16_e32 vcc, 3, v7
	s_cbranch_vccz .LBB40_1573
; %bb.1572:
	v_trunc_f32_e32 v0, v4
	s_mov_b32 s8, 0x2f800000
	v_mul_f32_e64 v1, |v0|, s8
	v_floor_f32_e32 v1, v1
	s_mov_b32 s8, 0xcf800000
	v_cvt_u32_f32_e32 v5, v1
	v_fma_f32 v1, v1, s8, |v0|
	v_cvt_u32_f32_e32 v1, v1
	v_ashrrev_i32_e32 v6, 31, v0
	v_xor_b32_e32 v5, v5, v6
	s_mov_b64 s[8:9], 0
	v_xor_b32_e32 v0, v1, v6
	v_sub_co_u32_e32 v0, vcc, v0, v6
	v_subb_co_u32_e32 v1, vcc, v5, v6, vcc
	global_store_dwordx2 v[2:3], v[0:1], off
.LBB40_1573:
	s_andn2_b64 vcc, exec, s[8:9]
	s_cbranch_vccnz .LBB40_1575
; %bb.1574:
	v_cvt_i32_f32_e32 v0, v4
	global_store_dword v[2:3], v0, off
.LBB40_1575:
	s_mov_b64 s[8:9], 0
.LBB40_1576:
	s_andn2_b64 vcc, exec, s[8:9]
	s_cbranch_vccnz .LBB40_1578
; %bb.1577:
	v_cvt_i32_f32_e32 v0, v4
	global_store_short v[2:3], v0, off
.LBB40_1578:
	s_mov_b64 s[8:9], 0
.LBB40_1579:
	s_andn2_b64 vcc, exec, s[8:9]
	s_cbranch_vccnz .LBB40_1584
; %bb.1580:
	v_cmp_lt_i16_e32 vcc, 0, v7
	s_mov_b64 s[8:9], -1
	s_cbranch_vccz .LBB40_1582
; %bb.1581:
	v_cvt_i32_f32_e32 v0, v4
	s_mov_b64 s[8:9], 0
	global_store_byte v[2:3], v0, off
.LBB40_1582:
	s_andn2_b64 vcc, exec, s[8:9]
	s_cbranch_vccnz .LBB40_1584
; %bb.1583:
	v_trunc_f32_e32 v0, v4
	s_mov_b32 s8, 0x2f800000
	v_mul_f32_e64 v1, |v0|, s8
	v_floor_f32_e32 v1, v1
	s_mov_b32 s8, 0xcf800000
	v_fma_f32 v1, v1, s8, |v0|
	v_cvt_u32_f32_e32 v1, v1
	v_ashrrev_i32_e32 v0, 31, v0
	v_xor_b32_e32 v1, v1, v0
	v_sub_u32_e32 v0, v1, v0
	global_store_byte v[2:3], v0, off
.LBB40_1584:
	s_or_b64 exec, exec, s[0:1]
	s_and_b64 s[12:13], s[10:11], exec
                                        ; implicit-def: $vgpr24
                                        ; implicit-def: $vgpr8
.LBB40_1585:
	s_or_saveexec_b64 s[14:15], s[22:23]
	s_mov_b64 s[0:1], 0
                                        ; implicit-def: $vgpr0_vgpr1
                                        ; implicit-def: $vgpr4
                                        ; implicit-def: $vgpr2
	s_xor_b64 exec, exec, s[14:15]
	s_cbranch_execz .LBB40_3115
; %bb.1586:
	v_cndmask_b32_e64 v0, 0, 1, s[20:21]
	v_cmp_ne_u32_e64 s[0:1], 1, v0
	s_andn2_b64 vcc, exec, s[20:21]
	s_cbranch_vccnz .LBB40_1592
; %bb.1587:
	s_cmp_lg_u32 s33, 0
	v_mov_b32_e32 v20, 0
	v_mov_b32_e32 v22, 0
	;; [unrolled: 1-line block ×3, first 2 shown]
	s_cbranch_scc0 .LBB40_1593
; %bb.1588:
	s_min_u32 s8, s68, 15
	s_add_i32 s6, s8, 1
	s_and_b32 s9, s6, 30
	s_add_u32 s6, s2, 0xffffffec
	s_addc_u32 s7, s3, -1
	v_mov_b32_e32 v6, 0
	s_waitcnt vmcnt(0)
	v_mov_b32_e32 v0, v8
	v_mov_b32_e32 v22, 0
	;; [unrolled: 1-line block ×3, first 2 shown]
.LBB40_1589:                            ; =>This Inner Loop Header: Depth=1
	s_mov_b64 s[10:11], s[6:7]
	s_load_dwordx4 s[16:19], s[10:11], 0x18
	s_load_dwordx2 s[24:25], s[10:11], 0x28
	s_load_dwordx2 s[26:27], s[10:11], 0xe8
	s_load_dwordx4 s[20:23], s[10:11], 0xd8
	s_add_u32 s6, s10, 24
	s_waitcnt lgkmcnt(0)
	v_mul_hi_u32 v1, s17, v0
	v_add_u32_e32 v1, v0, v1
	v_lshrrev_b32_e32 v1, s18, v1
	v_mul_lo_u32 v2, v1, s16
	v_mul_hi_u32 v3, s24, v1
	v_sub_u32_e32 v0, v0, v2
	v_add_u32_e32 v2, v1, v3
	v_mul_lo_u32 v3, v0, s20
	v_mul_lo_u32 v4, v0, s21
	;; [unrolled: 1-line block ×3, first 2 shown]
	v_lshrrev_b32_e32 v0, s25, v2
	v_mul_lo_u32 v2, v0, s19
	v_sub_u32_e32 v1, v1, v2
	s_addc_u32 s7, s11, 0
	s_add_i32 s9, s9, -2
	v_mul_lo_u32 v2, v1, s23
	v_mul_lo_u32 v7, v1, s26
	;; [unrolled: 1-line block ×3, first 2 shown]
	s_cmp_lg_u32 s9, 0
	v_add3_u32 v6, v3, v6, v2
	v_add3_u32 v20, v5, v20, v1
	v_add3_u32 v22, v4, v22, v7
	s_cbranch_scc1 .LBB40_1589
; %bb.1590:
	s_bitcmp1_b32 s8, 0
	s_cselect_b64 s[8:9], -1, 0
	s_and_b64 vcc, exec, s[8:9]
	s_cbranch_vccnz .LBB40_1593
; %bb.1591:
	s_load_dwordx2 s[8:9], s[6:7], 0x18
	s_load_dword s16, s[6:7], 0x20
	s_load_dword s17, s[6:7], 0xe0
	s_load_dwordx2 s[10:11], s[6:7], 0xd8
	s_waitcnt lgkmcnt(0)
	v_mul_hi_u32 v1, s9, v0
	v_add_u32_e32 v1, v0, v1
	v_lshrrev_b32_e32 v1, s16, v1
	v_mul_lo_u32 v1, v1, s8
	v_sub_u32_e32 v0, v0, v1
	v_mad_u64_u32 v[6:7], s[6:7], v0, s10, v[6:7]
	v_mad_u64_u32 v[22:23], s[6:7], v0, s11, v[22:23]
	;; [unrolled: 1-line block ×3, first 2 shown]
	s_cbranch_execz .LBB40_1594
	s_branch .LBB40_1596
.LBB40_1592:
                                        ; implicit-def: $vgpr20
                                        ; implicit-def: $vgpr22
                                        ; implicit-def: $vgpr6
	s_branch .LBB40_1594
.LBB40_1593:
	s_cbranch_execnz .LBB40_1596
.LBB40_1594:
	s_load_dwordx4 s[8:11], s[2:3], 0x4
	s_load_dwordx4 s[16:19], s[2:3], 0xc4
	s_cmp_lt_u32 s33, 2
	s_waitcnt vmcnt(0) lgkmcnt(0)
	v_mul_hi_u32 v0, s9, v8
	v_add_u32_e32 v0, v8, v0
	v_lshrrev_b32_e32 v0, s10, v0
	v_mul_lo_u32 v1, v0, s8
	v_sub_u32_e32 v1, v8, v1
	v_mul_lo_u32 v6, v1, s16
	v_mul_lo_u32 v20, v1, s18
	;; [unrolled: 1-line block ×3, first 2 shown]
	s_cbranch_scc1 .LBB40_1596
; %bb.1595:
	s_load_dwordx4 s[8:11], s[2:3], 0x10
	s_load_dwordx4 s[16:19], s[2:3], 0xd0
	s_waitcnt lgkmcnt(0)
	v_mul_hi_u32 v1, s9, v0
	v_add_u32_e32 v1, v0, v1
	v_lshrrev_b32_e32 v1, s10, v1
	v_mul_lo_u32 v1, v1, s8
	v_sub_u32_e32 v0, v0, v1
	v_mad_u64_u32 v[6:7], s[6:7], v0, s16, v[6:7]
	v_mad_u64_u32 v[22:23], s[6:7], v0, s17, v[22:23]
	v_mad_u64_u32 v[20:21], s[6:7], v0, s18, v[20:21]
.LBB40_1596:
	s_and_b64 vcc, exec, s[0:1]
	s_waitcnt vmcnt(0)
	v_add_u32_e32 v0, 0x80, v8
	s_cbranch_vccnz .LBB40_1602
; %bb.1597:
	s_cmp_lg_u32 s33, 0
	v_mov_b32_e32 v16, 0
	v_mov_b32_e32 v18, 0
	;; [unrolled: 1-line block ×3, first 2 shown]
	s_cbranch_scc0 .LBB40_1603
; %bb.1598:
	s_min_u32 s8, s68, 15
	s_add_i32 s6, s8, 1
	s_and_b32 s9, s6, 30
	s_add_u32 s6, s2, 0xffffffec
	s_addc_u32 s7, s3, -1
	v_mov_b32_e32 v4, 0
	v_mov_b32_e32 v1, v0
	;; [unrolled: 1-line block ×4, first 2 shown]
.LBB40_1599:                            ; =>This Inner Loop Header: Depth=1
	s_mov_b64 s[10:11], s[6:7]
	s_load_dwordx4 s[16:19], s[10:11], 0x18
	s_load_dwordx2 s[24:25], s[10:11], 0x28
	s_load_dwordx2 s[26:27], s[10:11], 0xe8
	s_load_dwordx4 s[20:23], s[10:11], 0xd8
	s_add_u32 s6, s10, 24
	s_waitcnt lgkmcnt(0)
	v_mul_hi_u32 v2, s17, v1
	v_add_u32_e32 v2, v1, v2
	v_lshrrev_b32_e32 v2, s18, v2
	v_mul_lo_u32 v3, v2, s16
	v_mul_hi_u32 v5, s24, v2
	v_sub_u32_e32 v1, v1, v3
	v_add_u32_e32 v3, v2, v5
	v_mul_lo_u32 v5, v1, s20
	v_mul_lo_u32 v7, v1, s21
	;; [unrolled: 1-line block ×3, first 2 shown]
	v_lshrrev_b32_e32 v1, s25, v3
	v_mul_lo_u32 v3, v1, s19
	v_sub_u32_e32 v2, v2, v3
	s_addc_u32 s7, s11, 0
	s_add_i32 s9, s9, -2
	v_mul_lo_u32 v3, v2, s23
	v_mul_lo_u32 v10, v2, s26
	;; [unrolled: 1-line block ×3, first 2 shown]
	s_cmp_lg_u32 s9, 0
	v_add3_u32 v4, v5, v4, v3
	v_add3_u32 v16, v9, v16, v2
	v_add3_u32 v18, v7, v18, v10
	s_cbranch_scc1 .LBB40_1599
; %bb.1600:
	s_bitcmp1_b32 s8, 0
	s_cselect_b64 s[8:9], -1, 0
	s_and_b64 vcc, exec, s[8:9]
	s_cbranch_vccnz .LBB40_1603
; %bb.1601:
	s_load_dwordx2 s[8:9], s[6:7], 0x18
	s_load_dword s16, s[6:7], 0x20
	s_load_dword s17, s[6:7], 0xe0
	s_load_dwordx2 s[10:11], s[6:7], 0xd8
	s_waitcnt lgkmcnt(0)
	v_mul_hi_u32 v2, s9, v1
	v_add_u32_e32 v2, v1, v2
	v_lshrrev_b32_e32 v2, s16, v2
	v_mul_lo_u32 v2, v2, s8
	v_sub_u32_e32 v1, v1, v2
	v_mad_u64_u32 v[4:5], s[6:7], v1, s10, v[4:5]
	v_mad_u64_u32 v[18:19], s[6:7], v1, s11, v[18:19]
	;; [unrolled: 1-line block ×3, first 2 shown]
	s_cbranch_execz .LBB40_1604
	s_branch .LBB40_1606
.LBB40_1602:
                                        ; implicit-def: $vgpr16
                                        ; implicit-def: $vgpr18
                                        ; implicit-def: $vgpr4
	s_branch .LBB40_1604
.LBB40_1603:
	s_cbranch_execnz .LBB40_1606
.LBB40_1604:
	s_load_dwordx4 s[8:11], s[2:3], 0x4
	s_load_dwordx4 s[16:19], s[2:3], 0xc4
	s_cmp_lt_u32 s33, 2
	s_waitcnt lgkmcnt(0)
	v_mul_hi_u32 v1, s9, v0
	v_add_u32_e32 v1, v0, v1
	v_lshrrev_b32_e32 v1, s10, v1
	v_mul_lo_u32 v2, v1, s8
	v_sub_u32_e32 v0, v0, v2
	v_mul_lo_u32 v4, v0, s16
	v_mul_lo_u32 v16, v0, s18
	;; [unrolled: 1-line block ×3, first 2 shown]
	s_cbranch_scc1 .LBB40_1606
; %bb.1605:
	s_load_dwordx4 s[8:11], s[2:3], 0x10
	s_load_dwordx4 s[16:19], s[2:3], 0xd0
	s_waitcnt lgkmcnt(0)
	v_mul_hi_u32 v0, s9, v1
	v_add_u32_e32 v0, v1, v0
	v_lshrrev_b32_e32 v0, s10, v0
	v_mul_lo_u32 v0, v0, s8
	v_sub_u32_e32 v0, v1, v0
	v_mad_u64_u32 v[4:5], s[6:7], v0, s16, v[4:5]
	v_mad_u64_u32 v[18:19], s[6:7], v0, s17, v[18:19]
	;; [unrolled: 1-line block ×3, first 2 shown]
.LBB40_1606:
	s_and_b64 vcc, exec, s[0:1]
	v_add_u32_e32 v0, 0x100, v8
	s_cbranch_vccnz .LBB40_1612
; %bb.1607:
	s_cmp_lg_u32 s33, 0
	v_mov_b32_e32 v12, 0
	v_mov_b32_e32 v14, 0
	;; [unrolled: 1-line block ×3, first 2 shown]
	s_cbranch_scc0 .LBB40_1613
; %bb.1608:
	s_min_u32 s8, s68, 15
	s_add_i32 s6, s8, 1
	s_and_b32 s9, s6, 30
	s_add_u32 s6, s2, 0xffffffec
	s_addc_u32 s7, s3, -1
	v_mov_b32_e32 v2, 0
	v_mov_b32_e32 v1, v0
	;; [unrolled: 1-line block ×4, first 2 shown]
.LBB40_1609:                            ; =>This Inner Loop Header: Depth=1
	s_mov_b64 s[10:11], s[6:7]
	s_load_dwordx4 s[16:19], s[10:11], 0x18
	s_load_dwordx2 s[24:25], s[10:11], 0x28
	s_load_dwordx2 s[26:27], s[10:11], 0xe8
	s_load_dwordx4 s[20:23], s[10:11], 0xd8
	s_add_u32 s6, s10, 24
	s_waitcnt lgkmcnt(0)
	v_mul_hi_u32 v3, s17, v1
	v_add_u32_e32 v3, v1, v3
	v_lshrrev_b32_e32 v3, s18, v3
	v_mul_lo_u32 v5, v3, s16
	v_mul_hi_u32 v7, s24, v3
	v_sub_u32_e32 v1, v1, v5
	v_add_u32_e32 v5, v3, v7
	v_mul_lo_u32 v7, v1, s20
	v_mul_lo_u32 v8, v1, s21
	;; [unrolled: 1-line block ×3, first 2 shown]
	v_lshrrev_b32_e32 v1, s25, v5
	v_mul_lo_u32 v5, v1, s19
	v_sub_u32_e32 v3, v3, v5
	s_addc_u32 s7, s11, 0
	s_add_i32 s9, s9, -2
	v_mul_lo_u32 v5, v3, s23
	v_mul_lo_u32 v10, v3, s26
	;; [unrolled: 1-line block ×3, first 2 shown]
	s_cmp_lg_u32 s9, 0
	v_add3_u32 v2, v7, v2, v5
	v_add3_u32 v12, v9, v12, v3
	;; [unrolled: 1-line block ×3, first 2 shown]
	s_cbranch_scc1 .LBB40_1609
; %bb.1610:
	s_bitcmp1_b32 s8, 0
	s_cselect_b64 s[8:9], -1, 0
	s_and_b64 vcc, exec, s[8:9]
	s_cbranch_vccnz .LBB40_1613
; %bb.1611:
	s_load_dwordx2 s[8:9], s[6:7], 0x18
	s_load_dword s16, s[6:7], 0x20
	s_load_dword s17, s[6:7], 0xe0
	s_load_dwordx2 s[10:11], s[6:7], 0xd8
	s_waitcnt lgkmcnt(0)
	v_mul_hi_u32 v3, s9, v1
	v_add_u32_e32 v3, v1, v3
	v_lshrrev_b32_e32 v3, s16, v3
	v_mul_lo_u32 v3, v3, s8
	v_sub_u32_e32 v1, v1, v3
	v_mad_u64_u32 v[2:3], s[6:7], v1, s10, v[2:3]
	v_mad_u64_u32 v[14:15], s[6:7], v1, s11, v[14:15]
	;; [unrolled: 1-line block ×3, first 2 shown]
	s_cbranch_execz .LBB40_1614
	s_branch .LBB40_1616
.LBB40_1612:
                                        ; implicit-def: $vgpr12
                                        ; implicit-def: $vgpr14
                                        ; implicit-def: $vgpr2
	s_branch .LBB40_1614
.LBB40_1613:
	s_cbranch_execnz .LBB40_1616
.LBB40_1614:
	s_load_dwordx4 s[8:11], s[2:3], 0x4
	s_load_dwordx4 s[16:19], s[2:3], 0xc4
	s_cmp_lt_u32 s33, 2
	s_waitcnt lgkmcnt(0)
	v_mul_hi_u32 v1, s9, v0
	v_add_u32_e32 v1, v0, v1
	v_lshrrev_b32_e32 v1, s10, v1
	v_mul_lo_u32 v2, v1, s8
	v_sub_u32_e32 v0, v0, v2
	v_mul_lo_u32 v2, v0, s16
	v_mul_lo_u32 v12, v0, s18
	;; [unrolled: 1-line block ×3, first 2 shown]
	s_cbranch_scc1 .LBB40_1616
; %bb.1615:
	s_load_dwordx4 s[8:11], s[2:3], 0x10
	s_load_dwordx4 s[16:19], s[2:3], 0xd0
	s_waitcnt lgkmcnt(0)
	v_mul_hi_u32 v0, s9, v1
	v_add_u32_e32 v0, v1, v0
	v_lshrrev_b32_e32 v0, s10, v0
	v_mul_lo_u32 v0, v0, s8
	v_sub_u32_e32 v0, v1, v0
	v_mad_u64_u32 v[2:3], s[6:7], v0, s16, v[2:3]
	v_mad_u64_u32 v[14:15], s[6:7], v0, s17, v[14:15]
	;; [unrolled: 1-line block ×3, first 2 shown]
.LBB40_1616:
	s_and_b64 vcc, exec, s[0:1]
	s_cbranch_vccnz .LBB40_1622
; %bb.1617:
	s_cmp_lg_u32 s33, 0
	v_mov_b32_e32 v8, 0
	v_mov_b32_e32 v10, 0
	;; [unrolled: 1-line block ×3, first 2 shown]
	s_cbranch_scc0 .LBB40_1623
; %bb.1618:
	s_min_u32 s6, s68, 15
	s_add_i32 s0, s6, 1
	s_and_b32 s7, s0, 30
	s_add_u32 s0, s2, 0xffffffec
	s_addc_u32 s1, s3, -1
	v_mov_b32_e32 v0, 0
	v_mov_b32_e32 v1, v24
	;; [unrolled: 1-line block ×4, first 2 shown]
.LBB40_1619:                            ; =>This Inner Loop Header: Depth=1
	s_mov_b64 s[20:21], s[0:1]
	s_load_dwordx4 s[8:11], s[20:21], 0x18
	s_load_dwordx2 s[22:23], s[20:21], 0x28
	s_load_dwordx2 s[24:25], s[20:21], 0xe8
	s_load_dwordx4 s[16:19], s[20:21], 0xd8
	s_add_u32 s0, s20, 24
	s_waitcnt lgkmcnt(0)
	v_mul_hi_u32 v3, s9, v1
	v_add_u32_e32 v3, v1, v3
	v_lshrrev_b32_e32 v3, s10, v3
	v_mul_lo_u32 v5, v3, s8
	v_mul_hi_u32 v7, s22, v3
	v_sub_u32_e32 v1, v1, v5
	v_add_u32_e32 v5, v3, v7
	v_mul_lo_u32 v7, v1, s16
	v_mul_lo_u32 v9, v1, s17
	;; [unrolled: 1-line block ×3, first 2 shown]
	v_lshrrev_b32_e32 v1, s23, v5
	v_mul_lo_u32 v5, v1, s11
	v_sub_u32_e32 v3, v3, v5
	s_addc_u32 s1, s21, 0
	s_add_i32 s7, s7, -2
	v_mul_lo_u32 v5, v3, s19
	v_mul_lo_u32 v13, v3, s24
	;; [unrolled: 1-line block ×3, first 2 shown]
	s_cmp_lg_u32 s7, 0
	v_add3_u32 v0, v7, v0, v5
	v_add3_u32 v8, v11, v8, v3
	;; [unrolled: 1-line block ×3, first 2 shown]
	s_cbranch_scc1 .LBB40_1619
; %bb.1620:
	s_bitcmp1_b32 s6, 0
	s_cselect_b64 s[6:7], -1, 0
	s_and_b64 vcc, exec, s[6:7]
	s_cbranch_vccnz .LBB40_1623
; %bb.1621:
	s_load_dwordx2 s[6:7], s[0:1], 0x18
	s_load_dword s10, s[0:1], 0x20
	s_load_dword s11, s[0:1], 0xe0
	s_load_dwordx2 s[8:9], s[0:1], 0xd8
	s_waitcnt lgkmcnt(0)
	v_mul_hi_u32 v3, s7, v1
	v_add_u32_e32 v3, v1, v3
	v_lshrrev_b32_e32 v3, s10, v3
	v_mul_lo_u32 v3, v3, s6
	v_sub_u32_e32 v3, v1, v3
	v_mad_u64_u32 v[0:1], s[0:1], v3, s8, v[0:1]
	v_mad_u64_u32 v[10:11], s[0:1], v3, s9, v[10:11]
	;; [unrolled: 1-line block ×3, first 2 shown]
	s_cbranch_execz .LBB40_1624
	s_branch .LBB40_1626
.LBB40_1622:
                                        ; implicit-def: $vgpr8
                                        ; implicit-def: $vgpr10
                                        ; implicit-def: $vgpr0
	s_branch .LBB40_1624
.LBB40_1623:
	s_cbranch_execnz .LBB40_1626
.LBB40_1624:
	s_load_dwordx4 s[8:11], s[2:3], 0x4
	s_load_dwordx4 s[16:19], s[2:3], 0xc4
	s_cmp_lt_u32 s33, 2
	s_waitcnt lgkmcnt(0)
	v_mul_hi_u32 v0, s9, v24
	v_add_u32_e32 v0, v24, v0
	v_lshrrev_b32_e32 v1, s10, v0
	v_mul_lo_u32 v0, v1, s8
	v_sub_u32_e32 v3, v24, v0
	v_mul_lo_u32 v0, v3, s16
	v_mul_lo_u32 v8, v3, s18
	;; [unrolled: 1-line block ×3, first 2 shown]
	s_cbranch_scc1 .LBB40_1626
; %bb.1625:
	s_load_dwordx4 s[8:11], s[2:3], 0x10
	s_load_dwordx4 s[16:19], s[2:3], 0xd0
	s_waitcnt lgkmcnt(0)
	v_mul_hi_u32 v3, s9, v1
	v_add_u32_e32 v3, v1, v3
	v_lshrrev_b32_e32 v3, s10, v3
	v_mul_lo_u32 v3, v3, s8
	v_sub_u32_e32 v3, v1, v3
	v_mad_u64_u32 v[0:1], s[0:1], v3, s16, v[0:1]
	v_mad_u64_u32 v[10:11], s[0:1], v3, s17, v[10:11]
	;; [unrolled: 1-line block ×3, first 2 shown]
.LBB40_1626:
	s_load_dword s24, s[4:5], 0x1a8
	s_load_dwordx4 s[8:11], s[2:3], 0x188
	s_waitcnt lgkmcnt(0)
	s_lshr_b32 s25, s24, 16
	v_mov_b32_e32 v1, s11
	v_add_co_u32_e32 v22, vcc, s10, v22
	v_addc_co_u32_e32 v23, vcc, 0, v1, vcc
	v_mov_b32_e32 v1, 11
	v_cmp_lt_i16_sdwa s[0:1], s25, v1 src0_sel:BYTE_0 src1_sel:DWORD
	s_and_b64 vcc, exec, s[0:1]
	s_cbranch_vccnz .LBB40_1633
; %bb.1627:
	v_mov_b32_e32 v1, 25
	v_cmp_gt_i16_sdwa s[0:1], s25, v1 src0_sel:BYTE_0 src1_sel:DWORD
	s_mov_b64 s[6:7], 0
	s_and_b64 vcc, exec, s[0:1]
	s_cbranch_vccz .LBB40_1635
; %bb.1628:
	v_mov_b32_e32 v1, 28
	v_cmp_gt_i16_sdwa s[0:1], s25, v1 src0_sel:BYTE_0 src1_sel:DWORD
	s_and_b64 vcc, exec, s[0:1]
	s_cbranch_vccz .LBB40_1636
; %bb.1629:
	v_mov_b32_e32 v1, 43
	v_cmp_gt_i16_sdwa s[0:1], s25, v1 src0_sel:BYTE_0 src1_sel:DWORD
	;; [unrolled: 5-line block ×3, first 2 shown]
	s_and_b64 vcc, exec, s[0:1]
	s_cbranch_vccz .LBB40_1638
; %bb.1631:
	v_mov_b32_e32 v1, 46
	v_cmp_eq_u16_sdwa s[0:1], s25, v1 src0_sel:BYTE_0 src1_sel:DWORD
	s_mov_b64 s[4:5], 0
	s_and_b64 vcc, exec, s[0:1]
	s_cbranch_vccz .LBB40_1641
; %bb.1632:
	global_load_dword v1, v[22:23], off
	s_mov_b64 s[0:1], 0
	s_mov_b64 s[16:17], -1
	s_waitcnt vmcnt(0)
	v_lshlrev_b32_e32 v1, 16, v1
	s_branch .LBB40_1642
.LBB40_1633:
	s_mov_b64 s[16:17], 0
                                        ; implicit-def: $vgpr1
	s_mov_b64 s[4:5], s[12:13]
	s_cbranch_execnz .LBB40_1705
.LBB40_1634:
	s_andn2_b64 vcc, exec, s[16:17]
	s_cbranch_vccz .LBB40_1750
	s_branch .LBB40_3113
.LBB40_1635:
	s_mov_b64 s[16:17], 0
	s_mov_b64 s[0:1], 0
                                        ; implicit-def: $vgpr1
	s_cbranch_execnz .LBB40_1670
	s_branch .LBB40_1701
.LBB40_1636:
	s_mov_b64 s[4:5], -1
	s_mov_b64 s[16:17], 0
	s_mov_b64 s[0:1], 0
                                        ; implicit-def: $vgpr1
	s_branch .LBB40_1651
.LBB40_1637:
	s_mov_b64 s[16:17], 0
	s_mov_b64 s[0:1], 0
                                        ; implicit-def: $vgpr1
	s_cbranch_execnz .LBB40_1647
	s_branch .LBB40_1650
.LBB40_1638:
	s_mov_b64 s[4:5], -1
	s_mov_b64 s[16:17], 0
	s_mov_b64 s[0:1], 0
                                        ; implicit-def: $vgpr1
	s_branch .LBB40_1642
.LBB40_1639:
	s_or_saveexec_b64 s[16:17], s[16:17]
                                        ; implicit-def: $sgpr18
	s_xor_b64 exec, exec, s[16:17]
	s_cbranch_execz .LBB40_1498
.LBB40_1640:
	s_mov_b32 s18, 0x46000000
	v_add_f32_e64 v0, |v4|, s18
	v_and_b32_e32 v0, 0xff, v0
	v_cmp_ne_u32_e32 vcc, 0, v0
	s_andn2_b64 s[14:15], s[14:15], exec
	s_and_b64 s[24:25], vcc, exec
	s_mov_b32 s18, 0
	s_or_b64 s[14:15], s[14:15], s[24:25]
	s_or_b64 exec, exec, s[16:17]
	v_mov_b32_e32 v1, s18
	s_and_saveexec_b64 s[16:17], s[14:15]
	s_cbranch_execnz .LBB40_1499
	s_branch .LBB40_1500
.LBB40_1641:
	s_mov_b64 s[0:1], -1
                                        ; implicit-def: $vgpr1
	s_mov_b64 s[16:17], 0
.LBB40_1642:
	s_and_b64 vcc, exec, s[4:5]
	s_cbranch_vccz .LBB40_1645
; %bb.1643:
	v_mov_b32_e32 v1, 44
	v_cmp_eq_u16_sdwa s[0:1], s25, v1 src0_sel:BYTE_0 src1_sel:DWORD
	s_and_b64 vcc, exec, s[0:1]
	s_cbranch_vccz .LBB40_1646
; %bb.1644:
	global_load_ubyte v1, v[22:23], off
	s_movk_i32 s4, 0xff
	v_mov_b32_e32 v3, 0x7f800001
	v_mov_b32_e32 v5, 0x400000
	s_mov_b64 s[0:1], 0
	s_mov_b64 s[16:17], -1
	s_waitcnt vmcnt(0)
	v_lshlrev_b32_e32 v7, 23, v1
	v_cmp_ne_u32_e32 vcc, s4, v1
	v_cndmask_b32_e32 v3, v3, v7, vcc
	v_cmp_ne_u32_e32 vcc, 0, v1
	v_cndmask_b32_e32 v1, v5, v3, vcc
.LBB40_1645:
	s_branch .LBB40_1650
.LBB40_1646:
	s_mov_b64 s[0:1], -1
                                        ; implicit-def: $vgpr1
	s_branch .LBB40_1650
.LBB40_1647:
	v_mov_b32_e32 v1, 29
	v_cmp_eq_u16_sdwa s[0:1], s25, v1 src0_sel:BYTE_0 src1_sel:DWORD
	s_and_b64 vcc, exec, s[0:1]
	s_cbranch_vccz .LBB40_1649
; %bb.1648:
	global_load_dwordx2 v[24:25], v[22:23], off
	s_mov_b64 s[0:1], 0
	s_mov_b64 s[16:17], -1
	s_mov_b64 s[4:5], 0
	s_waitcnt vmcnt(0)
	v_ffbh_u32_e32 v1, v25
	v_min_u32_e32 v1, 32, v1
	v_lshlrev_b64 v[24:25], v1, v[24:25]
	v_min_u32_e32 v3, 1, v24
	v_or_b32_e32 v3, v25, v3
	v_cvt_f32_u32_e32 v3, v3
	v_sub_u32_e32 v1, 32, v1
	v_ldexp_f32 v1, v3, v1
	s_branch .LBB40_1651
.LBB40_1649:
	s_mov_b64 s[0:1], -1
                                        ; implicit-def: $vgpr1
.LBB40_1650:
	s_mov_b64 s[4:5], 0
.LBB40_1651:
	s_and_b64 vcc, exec, s[4:5]
	s_cbranch_vccz .LBB40_1669
; %bb.1652:
	v_mov_b32_e32 v1, 27
	v_cmp_lt_i16_sdwa s[4:5], s25, v1 src0_sel:BYTE_0 src1_sel:DWORD
	s_and_b64 vcc, exec, s[4:5]
	s_cbranch_vccnz .LBB40_1655
; %bb.1653:
	v_cmp_gt_i16_sdwa s[4:5], s25, v1 src0_sel:BYTE_0 src1_sel:DWORD
	s_and_b64 vcc, exec, s[4:5]
	s_cbranch_vccz .LBB40_1656
; %bb.1654:
	global_load_dword v1, v[22:23], off
	s_mov_b64 s[4:5], 0
	s_waitcnt vmcnt(0)
	v_cvt_f32_u32_e32 v1, v1
	s_branch .LBB40_1657
.LBB40_1655:
	s_mov_b64 s[4:5], -1
                                        ; implicit-def: $vgpr1
	s_branch .LBB40_1660
.LBB40_1656:
	s_mov_b64 s[4:5], -1
                                        ; implicit-def: $vgpr1
.LBB40_1657:
	s_andn2_b64 vcc, exec, s[4:5]
	s_cbranch_vccnz .LBB40_1659
; %bb.1658:
	global_load_ushort v1, v[22:23], off
	s_waitcnt vmcnt(0)
	v_cvt_f32_u32_e32 v1, v1
.LBB40_1659:
	s_mov_b64 s[4:5], 0
.LBB40_1660:
	s_andn2_b64 vcc, exec, s[4:5]
	s_cbranch_vccnz .LBB40_1668
; %bb.1661:
	global_load_ubyte v3, v[22:23], off
	s_movk_i32 s4, 0x7f
                                        ; implicit-def: $sgpr20
	s_waitcnt vmcnt(0)
	v_cmp_lt_i16_e32 vcc, s4, v3
	s_mov_b64 s[4:5], 0
	s_and_saveexec_b64 s[16:17], vcc
	s_xor_b64 s[16:17], exec, s[16:17]
	s_cbranch_execz .LBB40_1681
; %bb.1662:
	s_movk_i32 s4, 0x80
	v_cmp_eq_u16_e32 vcc, s4, v3
	s_mov_b64 s[4:5], -1
                                        ; implicit-def: $sgpr20
	s_and_saveexec_b64 s[18:19], vcc
; %bb.1663:
	s_mov_b32 s20, 0x7f800001
	s_xor_b64 s[4:5], exec, -1
; %bb.1664:
	s_or_b64 exec, exec, s[18:19]
	s_and_b64 s[4:5], s[4:5], exec
	s_or_saveexec_b64 s[16:17], s[16:17]
	v_mov_b32_e32 v1, s20
	s_xor_b64 exec, exec, s[16:17]
	s_cbranch_execnz .LBB40_1682
.LBB40_1665:
	s_or_b64 exec, exec, s[16:17]
	s_and_saveexec_b64 s[16:17], s[4:5]
	s_cbranch_execz .LBB40_1667
.LBB40_1666:
	v_lshlrev_b32_e32 v1, 24, v3
	v_and_b32_e32 v3, 0xffff, v3
	v_and_b32_e32 v5, 7, v3
	v_ffbh_u32_e32 v9, v5
	v_min_u32_e32 v9, 32, v9
	v_subrev_u32_e32 v11, 28, v9
	v_bfe_u32 v7, v3, 3, 4
	v_lshlrev_b32_e32 v3, v11, v3
	v_sub_u32_e32 v9, 29, v9
	v_and_b32_e32 v3, 7, v3
	v_cmp_eq_u32_e32 vcc, 0, v7
	v_cndmask_b32_e32 v7, v7, v9, vcc
	v_cndmask_b32_e32 v3, v5, v3, vcc
	v_mov_b32_e32 v5, 0x3b800000
	v_lshlrev_b32_e32 v3, 20, v3
	v_and_b32_e32 v1, 0x80000000, v1
	v_lshl_add_u32 v5, v7, 23, v5
	v_or3_b32 v1, v1, v5, v3
.LBB40_1667:
	s_or_b64 exec, exec, s[16:17]
.LBB40_1668:
	s_mov_b64 s[16:17], -1
.LBB40_1669:
	s_branch .LBB40_1701
.LBB40_1670:
	v_mov_b32_e32 v1, 22
	v_cmp_gt_i16_sdwa s[4:5], s25, v1 src0_sel:BYTE_0 src1_sel:DWORD
	s_and_b64 vcc, exec, s[4:5]
	s_cbranch_vccz .LBB40_1680
; %bb.1671:
	v_mov_b32_e32 v1, 24
	v_cmp_lt_i16_sdwa s[4:5], s25, v1 src0_sel:BYTE_0 src1_sel:DWORD
	s_and_b64 vcc, exec, s[4:5]
	s_cbranch_vccnz .LBB40_1683
; %bb.1672:
	v_cmp_gt_i16_sdwa s[4:5], s25, v1 src0_sel:BYTE_0 src1_sel:DWORD
	s_and_b64 vcc, exec, s[4:5]
	s_cbranch_vccz .LBB40_1684
; %bb.1673:
	global_load_ubyte v3, v[22:23], off
	s_movk_i32 s4, 0x7f
                                        ; implicit-def: $sgpr18
	s_waitcnt vmcnt(0)
	v_cmp_lt_i16_e32 vcc, s4, v3
	s_mov_b64 s[4:5], 0
	s_and_saveexec_b64 s[6:7], vcc
	s_xor_b64 s[6:7], exec, s[6:7]
	s_cbranch_execz .LBB40_1695
; %bb.1674:
	s_movk_i32 s4, 0x80
	v_cmp_eq_u16_e32 vcc, s4, v3
	s_mov_b64 s[4:5], -1
                                        ; implicit-def: $sgpr18
	s_and_saveexec_b64 s[16:17], vcc
; %bb.1675:
	s_mov_b32 s18, 0x7f800001
	s_xor_b64 s[4:5], exec, -1
; %bb.1676:
	s_or_b64 exec, exec, s[16:17]
	s_and_b64 s[4:5], s[4:5], exec
	s_or_saveexec_b64 s[6:7], s[6:7]
	v_mov_b32_e32 v1, s18
	s_xor_b64 exec, exec, s[6:7]
	s_cbranch_execnz .LBB40_1696
.LBB40_1677:
	s_or_b64 exec, exec, s[6:7]
	s_and_saveexec_b64 s[6:7], s[4:5]
	s_cbranch_execz .LBB40_1679
.LBB40_1678:
	v_lshlrev_b32_e32 v1, 24, v3
	v_and_b32_e32 v3, 0xffff, v3
	v_and_b32_e32 v5, 3, v3
	v_ffbh_u32_e32 v9, v5
	v_min_u32_e32 v9, 32, v9
	v_subrev_u32_e32 v11, 29, v9
	v_bfe_u32 v7, v3, 2, 5
	v_lshlrev_b32_e32 v3, v11, v3
	v_sub_u32_e32 v9, 30, v9
	v_and_b32_e32 v3, 3, v3
	v_cmp_eq_u32_e32 vcc, 0, v7
	v_cndmask_b32_e32 v7, v7, v9, vcc
	v_cndmask_b32_e32 v3, v5, v3, vcc
	v_mov_b32_e32 v5, 0x37800000
	v_lshlrev_b32_e32 v3, 21, v3
	v_and_b32_e32 v1, 0x80000000, v1
	v_lshl_add_u32 v5, v7, 23, v5
	v_or3_b32 v1, v1, v5, v3
.LBB40_1679:
	s_or_b64 exec, exec, s[6:7]
	s_mov_b64 s[4:5], 0
	s_branch .LBB40_1685
.LBB40_1680:
                                        ; implicit-def: $vgpr1
	s_mov_b64 s[6:7], 0
	s_branch .LBB40_1691
.LBB40_1681:
	s_or_saveexec_b64 s[16:17], s[16:17]
	v_mov_b32_e32 v1, s20
	s_xor_b64 exec, exec, s[16:17]
	s_cbranch_execz .LBB40_1665
.LBB40_1682:
	v_cmp_ne_u16_e32 vcc, 0, v3
	s_andn2_b64 s[4:5], s[4:5], exec
	s_and_b64 s[18:19], vcc, exec
	v_mov_b32_e32 v1, 0
	s_or_b64 s[4:5], s[4:5], s[18:19]
	s_or_b64 exec, exec, s[16:17]
	s_and_saveexec_b64 s[16:17], s[4:5]
	s_cbranch_execnz .LBB40_1666
	s_branch .LBB40_1667
.LBB40_1683:
	s_mov_b64 s[4:5], -1
                                        ; implicit-def: $vgpr1
	s_branch .LBB40_1688
.LBB40_1684:
	s_mov_b64 s[4:5], -1
                                        ; implicit-def: $vgpr1
.LBB40_1685:
	s_and_b64 vcc, exec, s[4:5]
	s_cbranch_vccz .LBB40_1687
; %bb.1686:
	global_load_ubyte v1, v[22:23], off
	s_mov_b32 s4, 0x7f800000
	s_waitcnt vmcnt(0)
	v_lshlrev_b32_e32 v1, 24, v1
	v_and_b32_e32 v3, 0x7f000000, v1
	v_ffbh_u32_e32 v5, v3
	v_min_u32_e32 v5, 32, v5
	v_sub_u32_e64 v5, v5, 4 clamp
	v_lshlrev_b32_e32 v9, v5, v3
	v_lshlrev_b32_e32 v5, 23, v5
	v_lshrrev_b32_e32 v9, 4, v9
	v_add_u32_e32 v7, 0x1000000, v3
	v_sub_u32_e32 v5, v9, v5
	v_ashrrev_i32_e32 v7, 8, v7
	v_add_u32_e32 v5, 0x3c000000, v5
	v_and_or_b32 v5, v7, s4, v5
	v_cmp_ne_u32_e32 vcc, 0, v3
	v_cndmask_b32_e32 v3, 0, v5, vcc
	s_brev_b32 s4, 1
	v_and_or_b32 v1, v1, s4, v3
.LBB40_1687:
	s_mov_b64 s[4:5], 0
.LBB40_1688:
	s_andn2_b64 vcc, exec, s[4:5]
	s_cbranch_vccnz .LBB40_1690
; %bb.1689:
	global_load_ubyte v1, v[22:23], off
	s_movk_i32 s4, 0x7f00
	s_brev_b32 s5, 16
	s_waitcnt vmcnt(0)
	v_lshlrev_b16_e32 v3, 8, v1
	v_lshlrev_b32_e32 v1, 25, v1
	v_lshrrev_b32_e32 v5, 4, v1
	v_and_or_b32 v7, v3, s4, 0.5
	v_or_b32_e32 v5, 0x70000000, v5
	v_add_f32_e32 v7, -0.5, v7
	v_mul_f32_e32 v5, 0x7800000, v5
	v_cmp_gt_u32_e32 vcc, s5, v1
	v_bfe_i32 v3, v3, 0, 16
	v_cndmask_b32_e32 v1, v5, v7, vcc
	s_brev_b32 s4, 1
	v_and_or_b32 v1, v3, s4, v1
.LBB40_1690:
	s_mov_b64 s[16:17], -1
	s_mov_b64 s[6:7], 0
	s_cbranch_execnz .LBB40_1701
.LBB40_1691:
	v_mov_b32_e32 v1, 14
	v_cmp_gt_i16_sdwa s[4:5], s25, v1 src0_sel:BYTE_0 src1_sel:DWORD
	s_and_b64 vcc, exec, s[4:5]
	s_cbranch_vccz .LBB40_1694
; %bb.1692:
	v_mov_b32_e32 v1, 15
	v_cmp_eq_u16_sdwa s[0:1], s25, v1 src0_sel:BYTE_0 src1_sel:DWORD
	s_and_b64 vcc, exec, s[0:1]
	s_cbranch_vccz .LBB40_1697
; %bb.1693:
	global_load_ushort v1, v[22:23], off
	s_mov_b64 s[0:1], 0
	s_mov_b64 s[16:17], -1
	s_waitcnt vmcnt(0)
	v_lshlrev_b32_e32 v1, 16, v1
	s_branch .LBB40_1698
.LBB40_1694:
	s_mov_b64 s[4:5], -1
                                        ; implicit-def: $vgpr1
	s_branch .LBB40_1699
.LBB40_1695:
	s_or_saveexec_b64 s[6:7], s[6:7]
	v_mov_b32_e32 v1, s18
	s_xor_b64 exec, exec, s[6:7]
	s_cbranch_execz .LBB40_1677
.LBB40_1696:
	v_cmp_ne_u16_e32 vcc, 0, v3
	s_andn2_b64 s[4:5], s[4:5], exec
	s_and_b64 s[16:17], vcc, exec
	v_mov_b32_e32 v1, 0
	s_or_b64 s[4:5], s[4:5], s[16:17]
	s_or_b64 exec, exec, s[6:7]
	s_and_saveexec_b64 s[6:7], s[4:5]
	s_cbranch_execnz .LBB40_1678
	s_branch .LBB40_1679
.LBB40_1697:
	s_mov_b64 s[0:1], -1
                                        ; implicit-def: $vgpr1
.LBB40_1698:
	s_mov_b64 s[4:5], 0
.LBB40_1699:
	s_and_b64 vcc, exec, s[4:5]
	s_cbranch_vccz .LBB40_1701
; %bb.1700:
	v_mov_b32_e32 v1, 11
	v_cmp_ne_u16_sdwa s[0:1], s25, v1 src0_sel:BYTE_0 src1_sel:DWORD
	s_mov_b64 s[6:7], -1
                                        ; implicit-def: $vgpr1
.LBB40_1701:
	s_and_b64 vcc, exec, s[0:1]
	s_mov_b64 s[4:5], s[12:13]
	s_cbranch_vccnz .LBB40_1762
; %bb.1702:
	s_andn2_b64 vcc, exec, s[6:7]
	s_cbranch_vccnz .LBB40_1704
.LBB40_1703:
	global_load_ubyte v1, v[22:23], off
	s_mov_b64 s[16:17], -1
	s_waitcnt vmcnt(0)
	v_cmp_ne_u16_e32 vcc, 0, v1
	v_cndmask_b32_e64 v1, 0, 1.0, vcc
.LBB40_1704:
	s_branch .LBB40_1634
.LBB40_1705:
	v_mov_b32_e32 v1, 5
	v_cmp_lt_i16_sdwa s[0:1], s25, v1 src0_sel:BYTE_0 src1_sel:DWORD
	s_and_b64 vcc, exec, s[0:1]
	s_cbranch_vccnz .LBB40_1710
; %bb.1706:
	v_mov_b32_e32 v1, 8
	v_cmp_lt_i16_sdwa s[0:1], s25, v1 src0_sel:BYTE_0 src1_sel:DWORD
	s_and_b64 vcc, exec, s[0:1]
	s_cbranch_vccnz .LBB40_1711
; %bb.1707:
	v_mov_b32_e32 v1, 9
	v_cmp_lt_i16_sdwa s[0:1], s25, v1 src0_sel:BYTE_0 src1_sel:DWORD
	s_and_b64 vcc, exec, s[0:1]
	s_cbranch_vccnz .LBB40_1712
; %bb.1708:
	v_cmp_gt_i16_sdwa s[0:1], s25, v1 src0_sel:BYTE_0 src1_sel:DWORD
	s_and_b64 vcc, exec, s[0:1]
	s_cbranch_vccz .LBB40_1713
; %bb.1709:
	global_load_dwordx2 v[24:25], v[22:23], off
	s_mov_b64 s[0:1], 0
	s_waitcnt vmcnt(0)
	v_cvt_f32_f64_e32 v1, v[24:25]
	s_branch .LBB40_1714
.LBB40_1710:
                                        ; implicit-def: $vgpr1
	s_branch .LBB40_1731
.LBB40_1711:
                                        ; implicit-def: $vgpr1
	s_branch .LBB40_1720
.LBB40_1712:
	s_mov_b64 s[0:1], -1
                                        ; implicit-def: $vgpr1
	s_branch .LBB40_1717
.LBB40_1713:
	s_mov_b64 s[0:1], -1
                                        ; implicit-def: $vgpr1
.LBB40_1714:
	s_andn2_b64 vcc, exec, s[0:1]
	s_cbranch_vccnz .LBB40_1716
; %bb.1715:
	global_load_dword v1, v[22:23], off
.LBB40_1716:
	s_mov_b64 s[0:1], 0
.LBB40_1717:
	s_andn2_b64 vcc, exec, s[0:1]
	s_cbranch_vccnz .LBB40_1719
; %bb.1718:
	global_load_dword v1, v[22:23], off
	s_waitcnt vmcnt(0)
	v_cvt_f32_f16_e32 v1, v1
.LBB40_1719:
	s_cbranch_execnz .LBB40_1730
.LBB40_1720:
	s_waitcnt vmcnt(0)
	v_mov_b32_e32 v1, 6
	v_cmp_lt_i16_sdwa s[0:1], s25, v1 src0_sel:BYTE_0 src1_sel:DWORD
	s_and_b64 vcc, exec, s[0:1]
	s_cbranch_vccnz .LBB40_1723
; %bb.1721:
	v_cmp_gt_i16_sdwa s[0:1], s25, v1 src0_sel:BYTE_0 src1_sel:DWORD
	s_and_b64 vcc, exec, s[0:1]
	s_cbranch_vccz .LBB40_1724
; %bb.1722:
	global_load_dwordx2 v[24:25], v[22:23], off
	s_mov_b64 s[0:1], 0
	s_waitcnt vmcnt(0)
	v_cvt_f32_f64_e32 v1, v[24:25]
	s_branch .LBB40_1725
.LBB40_1723:
	s_mov_b64 s[0:1], -1
                                        ; implicit-def: $vgpr1
	s_branch .LBB40_1728
.LBB40_1724:
	s_mov_b64 s[0:1], -1
                                        ; implicit-def: $vgpr1
.LBB40_1725:
	s_andn2_b64 vcc, exec, s[0:1]
	s_cbranch_vccnz .LBB40_1727
; %bb.1726:
	global_load_dword v1, v[22:23], off
.LBB40_1727:
	s_mov_b64 s[0:1], 0
.LBB40_1728:
	s_andn2_b64 vcc, exec, s[0:1]
	s_cbranch_vccnz .LBB40_1730
; %bb.1729:
	global_load_ushort v1, v[22:23], off
	s_waitcnt vmcnt(0)
	v_cvt_f32_f16_e32 v1, v1
.LBB40_1730:
	s_cbranch_execnz .LBB40_1749
.LBB40_1731:
	s_waitcnt vmcnt(0)
	v_mov_b32_e32 v1, 2
	v_cmp_lt_i16_sdwa s[0:1], s25, v1 src0_sel:BYTE_0 src1_sel:DWORD
	s_and_b64 vcc, exec, s[0:1]
	s_cbranch_vccnz .LBB40_1735
; %bb.1732:
	v_mov_b32_e32 v1, 3
	v_cmp_lt_i16_sdwa s[0:1], s25, v1 src0_sel:BYTE_0 src1_sel:DWORD
	s_and_b64 vcc, exec, s[0:1]
	s_cbranch_vccnz .LBB40_1736
; %bb.1733:
	v_cmp_gt_i16_sdwa s[0:1], s25, v1 src0_sel:BYTE_0 src1_sel:DWORD
	s_and_b64 vcc, exec, s[0:1]
	s_cbranch_vccz .LBB40_1737
; %bb.1734:
	global_load_dwordx2 v[24:25], v[22:23], off
	s_mov_b64 s[0:1], 0
	s_waitcnt vmcnt(0)
	v_xor_b32_e32 v3, v24, v25
	v_ffbh_i32_e32 v1, v25
	v_ashrrev_i32_e32 v3, 31, v3
	v_add_u32_e32 v1, -1, v1
	v_add_u32_e32 v3, 32, v3
	v_min_u32_e32 v1, v1, v3
	v_lshlrev_b64 v[24:25], v1, v[24:25]
	v_min_u32_e32 v3, 1, v24
	v_or_b32_e32 v3, v25, v3
	v_cvt_f32_i32_e32 v3, v3
	v_sub_u32_e32 v1, 32, v1
	v_ldexp_f32 v1, v3, v1
	s_branch .LBB40_1738
.LBB40_1735:
                                        ; implicit-def: $vgpr1
	s_branch .LBB40_1744
.LBB40_1736:
	s_mov_b64 s[0:1], -1
                                        ; implicit-def: $vgpr1
	s_branch .LBB40_1741
.LBB40_1737:
	s_mov_b64 s[0:1], -1
                                        ; implicit-def: $vgpr1
.LBB40_1738:
	s_andn2_b64 vcc, exec, s[0:1]
	s_cbranch_vccnz .LBB40_1740
; %bb.1739:
	global_load_dword v1, v[22:23], off
	s_waitcnt vmcnt(0)
	v_cvt_f32_i32_e32 v1, v1
.LBB40_1740:
	s_mov_b64 s[0:1], 0
.LBB40_1741:
	s_andn2_b64 vcc, exec, s[0:1]
	s_cbranch_vccnz .LBB40_1743
; %bb.1742:
	global_load_sshort v1, v[22:23], off
	s_waitcnt vmcnt(0)
	v_cvt_f32_i32_e32 v1, v1
.LBB40_1743:
	s_cbranch_execnz .LBB40_1749
.LBB40_1744:
	v_mov_b32_e32 v1, 0
	v_cmp_gt_i16_sdwa s[0:1], s25, v1 src0_sel:BYTE_0 src1_sel:DWORD
	s_and_b64 vcc, exec, s[0:1]
	s_cbranch_vccz .LBB40_1746
; %bb.1745:
	global_load_sbyte v1, v[22:23], off
	s_mov_b64 s[0:1], 0
	s_waitcnt vmcnt(0)
	v_cvt_f32_i32_e32 v1, v1
	s_branch .LBB40_1747
.LBB40_1746:
	s_mov_b64 s[0:1], -1
                                        ; implicit-def: $vgpr1
.LBB40_1747:
	s_andn2_b64 vcc, exec, s[0:1]
	s_cbranch_vccnz .LBB40_1749
; %bb.1748:
	global_load_ubyte v1, v[22:23], off
	s_waitcnt vmcnt(0)
	v_cvt_f32_ubyte0_e32 v1, v1
.LBB40_1749:
.LBB40_1750:
	s_load_dwordx2 s[0:1], s[2:3], 0x198
	s_lshr_b32 s26, s24, 24
	v_cmp_lt_i16_e64 s[2:3], s26, 11
	s_waitcnt lgkmcnt(0)
	v_mov_b32_e32 v3, s1
	v_add_co_u32_e32 v20, vcc, s0, v20
	v_addc_co_u32_e32 v21, vcc, 0, v3, vcc
	s_and_b64 vcc, exec, s[2:3]
	s_cbranch_vccnz .LBB40_1757
; %bb.1751:
	v_cmp_gt_i16_e64 s[6:7], s26, 25
	s_mov_b64 s[16:17], 0
	s_and_b64 vcc, exec, s[6:7]
	s_cbranch_vccz .LBB40_1759
; %bb.1752:
	v_cmp_gt_i16_e64 s[6:7], s26, 28
	s_and_b64 vcc, exec, s[6:7]
	s_cbranch_vccz .LBB40_1760
; %bb.1753:
	v_cmp_gt_i16_e64 s[6:7], s26, 43
	;; [unrolled: 4-line block ×3, first 2 shown]
	s_and_b64 vcc, exec, s[6:7]
	s_cbranch_vccz .LBB40_1763
; %bb.1755:
	v_cmp_eq_u16_e64 s[6:7], s26, 46
	s_mov_b64 s[20:21], 0
	s_and_b64 vcc, exec, s[6:7]
	s_cbranch_vccz .LBB40_1766
; %bb.1756:
	global_load_dword v3, v[20:21], off
	s_mov_b64 s[6:7], 0
	s_mov_b64 s[18:19], -1
	s_waitcnt vmcnt(0)
	v_lshlrev_b32_e32 v3, 16, v3
	s_branch .LBB40_1767
.LBB40_1757:
	s_mov_b64 s[18:19], 0
                                        ; implicit-def: $vgpr3
	s_cbranch_execnz .LBB40_1832
.LBB40_1758:
	s_andn2_b64 vcc, exec, s[18:19]
	s_cbranch_vccnz .LBB40_3113
	s_branch .LBB40_1879
.LBB40_1759:
	s_mov_b64 s[18:19], 0
	s_mov_b64 s[6:7], 0
                                        ; implicit-def: $vgpr3
	s_cbranch_execnz .LBB40_1796
	s_branch .LBB40_1828
.LBB40_1760:
	s_mov_b64 s[20:21], -1
	s_mov_b64 s[18:19], 0
	s_mov_b64 s[6:7], 0
                                        ; implicit-def: $vgpr3
	s_branch .LBB40_1777
.LBB40_1761:
	s_mov_b64 s[20:21], -1
	s_mov_b64 s[18:19], 0
	s_mov_b64 s[6:7], 0
                                        ; implicit-def: $vgpr3
	s_branch .LBB40_1772
.LBB40_1762:
	s_or_b64 s[4:5], s[12:13], exec
	s_trap 2
                                        ; implicit-def: $vgpr1
	s_cbranch_execz .LBB40_1703
	s_branch .LBB40_1704
.LBB40_1763:
	s_mov_b64 s[20:21], -1
	s_mov_b64 s[18:19], 0
	s_mov_b64 s[6:7], 0
                                        ; implicit-def: $vgpr3
	s_branch .LBB40_1767
.LBB40_1764:
	s_or_saveexec_b64 s[18:19], s[18:19]
                                        ; implicit-def: $sgpr24
	s_xor_b64 exec, exec, s[18:19]
	s_cbranch_execz .LBB40_1510
.LBB40_1765:
	s_mov_b32 s24, 0x42800000
	v_add_f32_e64 v0, |v4|, s24
	v_and_b32_e32 v0, 0xff, v0
	v_cmp_ne_u32_e32 vcc, 0, v0
	s_andn2_b64 s[16:17], s[16:17], exec
	s_and_b64 s[26:27], vcc, exec
	s_mov_b32 s24, 0
	s_or_b64 s[16:17], s[16:17], s[26:27]
	s_or_b64 exec, exec, s[18:19]
	v_mov_b32_e32 v1, s24
	s_and_saveexec_b64 s[18:19], s[16:17]
	s_cbranch_execnz .LBB40_1511
	s_branch .LBB40_1512
.LBB40_1766:
	s_mov_b64 s[6:7], -1
                                        ; implicit-def: $vgpr3
	s_mov_b64 s[18:19], 0
.LBB40_1767:
	s_and_b64 vcc, exec, s[20:21]
	s_cbranch_vccz .LBB40_1771
; %bb.1768:
	v_cmp_eq_u16_e64 s[6:7], s26, 44
	s_and_b64 vcc, exec, s[6:7]
	s_cbranch_vccz .LBB40_1770
; %bb.1769:
	global_load_ubyte v3, v[20:21], off
	s_movk_i32 s18, 0xff
	v_mov_b32_e32 v5, 0x7f800001
	v_mov_b32_e32 v7, 0x400000
	s_mov_b64 s[6:7], 0
	s_waitcnt vmcnt(0)
	v_lshlrev_b32_e32 v9, 23, v3
	v_cmp_ne_u32_e32 vcc, s18, v3
	v_cndmask_b32_e32 v5, v5, v9, vcc
	v_cmp_ne_u32_e32 vcc, 0, v3
	v_cndmask_b32_e32 v3, v7, v5, vcc
	s_mov_b64 s[18:19], -1
	s_branch .LBB40_1771
.LBB40_1770:
	s_mov_b64 s[6:7], -1
                                        ; implicit-def: $vgpr3
.LBB40_1771:
	s_mov_b64 s[20:21], 0
.LBB40_1772:
	s_and_b64 vcc, exec, s[20:21]
	s_cbranch_vccz .LBB40_1776
; %bb.1773:
	v_cmp_eq_u16_e64 s[6:7], s26, 29
	s_and_b64 vcc, exec, s[6:7]
	s_cbranch_vccz .LBB40_1775
; %bb.1774:
	global_load_dwordx2 v[22:23], v[20:21], off
	s_mov_b64 s[6:7], 0
	s_mov_b64 s[18:19], -1
	s_mov_b64 s[20:21], 0
	s_waitcnt vmcnt(0)
	v_ffbh_u32_e32 v3, v23
	v_min_u32_e32 v3, 32, v3
	v_lshlrev_b64 v[22:23], v3, v[22:23]
	v_min_u32_e32 v5, 1, v22
	v_or_b32_e32 v5, v23, v5
	v_cvt_f32_u32_e32 v5, v5
	v_sub_u32_e32 v3, 32, v3
	v_ldexp_f32 v3, v5, v3
	s_branch .LBB40_1777
.LBB40_1775:
	s_mov_b64 s[6:7], -1
                                        ; implicit-def: $vgpr3
.LBB40_1776:
	s_mov_b64 s[20:21], 0
.LBB40_1777:
	s_and_b64 vcc, exec, s[20:21]
	s_cbranch_vccz .LBB40_1795
; %bb.1778:
	v_cmp_lt_i16_e64 s[18:19], s26, 27
	s_and_b64 vcc, exec, s[18:19]
	s_cbranch_vccnz .LBB40_1781
; %bb.1779:
	v_cmp_gt_i16_e64 s[18:19], s26, 27
	s_and_b64 vcc, exec, s[18:19]
	s_cbranch_vccz .LBB40_1782
; %bb.1780:
	global_load_dword v3, v[20:21], off
	s_mov_b64 s[18:19], 0
	s_waitcnt vmcnt(0)
	v_cvt_f32_u32_e32 v3, v3
	s_branch .LBB40_1783
.LBB40_1781:
	s_mov_b64 s[18:19], -1
                                        ; implicit-def: $vgpr3
	s_branch .LBB40_1786
.LBB40_1782:
	s_mov_b64 s[18:19], -1
                                        ; implicit-def: $vgpr3
.LBB40_1783:
	s_andn2_b64 vcc, exec, s[18:19]
	s_cbranch_vccnz .LBB40_1785
; %bb.1784:
	global_load_ushort v3, v[20:21], off
	s_waitcnt vmcnt(0)
	v_cvt_f32_u32_e32 v3, v3
.LBB40_1785:
	s_mov_b64 s[18:19], 0
.LBB40_1786:
	s_andn2_b64 vcc, exec, s[18:19]
	s_cbranch_vccnz .LBB40_1794
; %bb.1787:
	global_load_ubyte v5, v[20:21], off
	s_movk_i32 s18, 0x7f
                                        ; implicit-def: $sgpr27
	s_waitcnt vmcnt(0)
	v_cmp_lt_i16_e32 vcc, s18, v5
	s_mov_b64 s[18:19], 0
	s_and_saveexec_b64 s[20:21], vcc
	s_xor_b64 s[20:21], exec, s[20:21]
	s_cbranch_execz .LBB40_1807
; %bb.1788:
	s_movk_i32 s18, 0x80
	v_cmp_eq_u16_e32 vcc, s18, v5
	s_mov_b64 s[18:19], -1
                                        ; implicit-def: $sgpr27
	s_and_saveexec_b64 s[22:23], vcc
; %bb.1789:
	s_mov_b32 s27, 0x7f800001
	s_xor_b64 s[18:19], exec, -1
; %bb.1790:
	s_or_b64 exec, exec, s[22:23]
	s_and_b64 s[18:19], s[18:19], exec
	s_or_saveexec_b64 s[20:21], s[20:21]
	v_mov_b32_e32 v3, s27
	s_xor_b64 exec, exec, s[20:21]
	s_cbranch_execnz .LBB40_1808
.LBB40_1791:
	s_or_b64 exec, exec, s[20:21]
	s_and_saveexec_b64 s[20:21], s[18:19]
	s_cbranch_execz .LBB40_1793
.LBB40_1792:
	v_lshlrev_b32_e32 v3, 24, v5
	v_and_b32_e32 v5, 0xffff, v5
	v_and_b32_e32 v7, 7, v5
	v_ffbh_u32_e32 v11, v7
	v_min_u32_e32 v11, 32, v11
	v_subrev_u32_e32 v13, 28, v11
	v_bfe_u32 v9, v5, 3, 4
	v_lshlrev_b32_e32 v5, v13, v5
	v_sub_u32_e32 v11, 29, v11
	v_and_b32_e32 v5, 7, v5
	v_cmp_eq_u32_e32 vcc, 0, v9
	v_cndmask_b32_e32 v9, v9, v11, vcc
	v_cndmask_b32_e32 v5, v7, v5, vcc
	v_mov_b32_e32 v7, 0x3b800000
	v_lshlrev_b32_e32 v5, 20, v5
	v_and_b32_e32 v3, 0x80000000, v3
	v_lshl_add_u32 v7, v9, 23, v7
	v_or3_b32 v3, v3, v7, v5
.LBB40_1793:
	s_or_b64 exec, exec, s[20:21]
.LBB40_1794:
	s_mov_b64 s[18:19], -1
.LBB40_1795:
	s_branch .LBB40_1828
.LBB40_1796:
	v_cmp_gt_i16_e64 s[16:17], s26, 22
	s_and_b64 vcc, exec, s[16:17]
	s_cbranch_vccz .LBB40_1806
; %bb.1797:
	v_cmp_lt_i16_e64 s[16:17], s26, 24
	s_and_b64 vcc, exec, s[16:17]
	s_cbranch_vccnz .LBB40_1809
; %bb.1798:
	v_cmp_gt_i16_e64 s[16:17], s26, 24
	s_and_b64 vcc, exec, s[16:17]
	s_cbranch_vccz .LBB40_1810
; %bb.1799:
	global_load_ubyte v5, v[20:21], off
	s_movk_i32 s16, 0x7f
                                        ; implicit-def: $sgpr22
	s_waitcnt vmcnt(0)
	v_cmp_lt_i16_e32 vcc, s16, v5
	s_mov_b64 s[16:17], 0
	s_and_saveexec_b64 s[18:19], vcc
	s_xor_b64 s[18:19], exec, s[18:19]
	s_cbranch_execz .LBB40_1822
; %bb.1800:
	s_movk_i32 s16, 0x80
	v_cmp_eq_u16_e32 vcc, s16, v5
	s_mov_b64 s[16:17], -1
                                        ; implicit-def: $sgpr22
	s_and_saveexec_b64 s[20:21], vcc
; %bb.1801:
	s_mov_b32 s22, 0x7f800001
	s_xor_b64 s[16:17], exec, -1
; %bb.1802:
	s_or_b64 exec, exec, s[20:21]
	s_and_b64 s[16:17], s[16:17], exec
	s_or_saveexec_b64 s[18:19], s[18:19]
	v_mov_b32_e32 v3, s22
	s_xor_b64 exec, exec, s[18:19]
	s_cbranch_execnz .LBB40_1823
.LBB40_1803:
	s_or_b64 exec, exec, s[18:19]
	s_and_saveexec_b64 s[18:19], s[16:17]
	s_cbranch_execz .LBB40_1805
.LBB40_1804:
	v_lshlrev_b32_e32 v3, 24, v5
	v_and_b32_e32 v5, 0xffff, v5
	v_and_b32_e32 v7, 3, v5
	v_ffbh_u32_e32 v11, v7
	v_min_u32_e32 v11, 32, v11
	v_subrev_u32_e32 v13, 29, v11
	v_bfe_u32 v9, v5, 2, 5
	v_lshlrev_b32_e32 v5, v13, v5
	v_sub_u32_e32 v11, 30, v11
	v_and_b32_e32 v5, 3, v5
	v_cmp_eq_u32_e32 vcc, 0, v9
	v_cndmask_b32_e32 v9, v9, v11, vcc
	v_cndmask_b32_e32 v5, v7, v5, vcc
	v_mov_b32_e32 v7, 0x37800000
	v_lshlrev_b32_e32 v5, 21, v5
	v_and_b32_e32 v3, 0x80000000, v3
	v_lshl_add_u32 v7, v9, 23, v7
	v_or3_b32 v3, v3, v7, v5
.LBB40_1805:
	s_or_b64 exec, exec, s[18:19]
	s_mov_b64 s[16:17], 0
	s_branch .LBB40_1811
.LBB40_1806:
	s_mov_b64 s[16:17], -1
                                        ; implicit-def: $vgpr3
	s_branch .LBB40_1817
.LBB40_1807:
	s_or_saveexec_b64 s[20:21], s[20:21]
	v_mov_b32_e32 v3, s27
	s_xor_b64 exec, exec, s[20:21]
	s_cbranch_execz .LBB40_1791
.LBB40_1808:
	v_cmp_ne_u16_e32 vcc, 0, v5
	s_andn2_b64 s[18:19], s[18:19], exec
	s_and_b64 s[22:23], vcc, exec
	v_mov_b32_e32 v3, 0
	s_or_b64 s[18:19], s[18:19], s[22:23]
	s_or_b64 exec, exec, s[20:21]
	s_and_saveexec_b64 s[20:21], s[18:19]
	s_cbranch_execnz .LBB40_1792
	s_branch .LBB40_1793
.LBB40_1809:
	s_mov_b64 s[16:17], -1
                                        ; implicit-def: $vgpr3
	s_branch .LBB40_1814
.LBB40_1810:
	s_mov_b64 s[16:17], -1
                                        ; implicit-def: $vgpr3
.LBB40_1811:
	s_and_b64 vcc, exec, s[16:17]
	s_cbranch_vccz .LBB40_1813
; %bb.1812:
	global_load_ubyte v3, v[20:21], off
	s_mov_b32 s16, 0x7f800000
	s_waitcnt vmcnt(0)
	v_lshlrev_b32_e32 v3, 24, v3
	v_and_b32_e32 v5, 0x7f000000, v3
	v_ffbh_u32_e32 v7, v5
	v_min_u32_e32 v7, 32, v7
	v_sub_u32_e64 v7, v7, 4 clamp
	v_lshlrev_b32_e32 v11, v7, v5
	v_lshlrev_b32_e32 v7, 23, v7
	v_lshrrev_b32_e32 v11, 4, v11
	v_add_u32_e32 v9, 0x1000000, v5
	v_sub_u32_e32 v7, v11, v7
	v_ashrrev_i32_e32 v9, 8, v9
	v_add_u32_e32 v7, 0x3c000000, v7
	v_and_or_b32 v7, v9, s16, v7
	v_cmp_ne_u32_e32 vcc, 0, v5
	v_cndmask_b32_e32 v5, 0, v7, vcc
	s_brev_b32 s16, 1
	v_and_or_b32 v3, v3, s16, v5
.LBB40_1813:
	s_mov_b64 s[16:17], 0
.LBB40_1814:
	s_andn2_b64 vcc, exec, s[16:17]
	s_cbranch_vccnz .LBB40_1816
; %bb.1815:
	global_load_ubyte v3, v[20:21], off
	s_movk_i32 s16, 0x7f00
	s_brev_b32 s17, 16
	s_waitcnt vmcnt(0)
	v_lshlrev_b16_e32 v5, 8, v3
	v_lshlrev_b32_e32 v3, 25, v3
	v_lshrrev_b32_e32 v7, 4, v3
	v_and_or_b32 v9, v5, s16, 0.5
	v_or_b32_e32 v7, 0x70000000, v7
	v_add_f32_e32 v9, -0.5, v9
	v_mul_f32_e32 v7, 0x7800000, v7
	v_cmp_gt_u32_e32 vcc, s17, v3
	v_bfe_i32 v5, v5, 0, 16
	v_cndmask_b32_e32 v3, v7, v9, vcc
	s_brev_b32 s16, 1
	v_and_or_b32 v3, v5, s16, v3
.LBB40_1816:
	s_mov_b64 s[16:17], 0
	s_mov_b64 s[18:19], -1
.LBB40_1817:
	s_andn2_b64 vcc, exec, s[16:17]
	s_mov_b64 s[16:17], 0
	s_cbranch_vccnz .LBB40_1828
; %bb.1818:
	v_cmp_gt_i16_e64 s[16:17], s26, 14
	s_and_b64 vcc, exec, s[16:17]
	s_cbranch_vccz .LBB40_1821
; %bb.1819:
	v_cmp_eq_u16_e64 s[6:7], s26, 15
	s_and_b64 vcc, exec, s[6:7]
	s_cbranch_vccz .LBB40_1824
; %bb.1820:
	global_load_ushort v3, v[20:21], off
	s_mov_b64 s[6:7], 0
	s_mov_b64 s[18:19], -1
	s_waitcnt vmcnt(0)
	v_lshlrev_b32_e32 v3, 16, v3
	s_branch .LBB40_1825
.LBB40_1821:
	s_mov_b64 s[20:21], -1
                                        ; implicit-def: $vgpr3
	s_branch .LBB40_1826
.LBB40_1822:
	s_or_saveexec_b64 s[18:19], s[18:19]
	v_mov_b32_e32 v3, s22
	s_xor_b64 exec, exec, s[18:19]
	s_cbranch_execz .LBB40_1803
.LBB40_1823:
	v_cmp_ne_u16_e32 vcc, 0, v5
	s_andn2_b64 s[16:17], s[16:17], exec
	s_and_b64 s[20:21], vcc, exec
	v_mov_b32_e32 v3, 0
	s_or_b64 s[16:17], s[16:17], s[20:21]
	s_or_b64 exec, exec, s[18:19]
	s_and_saveexec_b64 s[18:19], s[16:17]
	s_cbranch_execnz .LBB40_1804
	s_branch .LBB40_1805
.LBB40_1824:
	s_mov_b64 s[6:7], -1
                                        ; implicit-def: $vgpr3
.LBB40_1825:
	s_mov_b64 s[20:21], 0
.LBB40_1826:
	s_mov_b64 s[16:17], 0
	s_and_b64 vcc, exec, s[20:21]
	s_cbranch_vccz .LBB40_1828
; %bb.1827:
	v_cmp_ne_u16_e64 s[6:7], s26, 11
	s_mov_b64 s[16:17], -1
                                        ; implicit-def: $vgpr3
.LBB40_1828:
	s_and_b64 vcc, exec, s[6:7]
	s_cbranch_vccnz .LBB40_1891
; %bb.1829:
	s_andn2_b64 vcc, exec, s[16:17]
	s_cbranch_vccnz .LBB40_1831
.LBB40_1830:
	global_load_ubyte v3, v[20:21], off
	s_mov_b64 s[18:19], -1
	s_waitcnt vmcnt(0)
	v_cmp_ne_u16_e32 vcc, 0, v3
	v_cndmask_b32_e64 v3, 0, 1.0, vcc
.LBB40_1831:
	s_branch .LBB40_1758
.LBB40_1832:
	v_cmp_lt_i16_e64 s[6:7], s26, 5
	s_and_b64 vcc, exec, s[6:7]
	s_cbranch_vccnz .LBB40_1837
; %bb.1833:
	v_cmp_lt_i16_e64 s[6:7], s26, 8
	s_and_b64 vcc, exec, s[6:7]
	s_cbranch_vccnz .LBB40_1838
; %bb.1834:
	;; [unrolled: 4-line block ×3, first 2 shown]
	v_cmp_gt_i16_e64 s[6:7], s26, 9
	s_and_b64 vcc, exec, s[6:7]
	s_cbranch_vccz .LBB40_1840
; %bb.1836:
	global_load_dwordx2 v[22:23], v[20:21], off
	s_mov_b64 s[6:7], 0
	s_waitcnt vmcnt(0)
	v_cvt_f32_f64_e32 v3, v[22:23]
	s_branch .LBB40_1841
.LBB40_1837:
                                        ; implicit-def: $vgpr3
	s_branch .LBB40_1859
.LBB40_1838:
	s_mov_b64 s[6:7], -1
                                        ; implicit-def: $vgpr3
	s_branch .LBB40_1847
.LBB40_1839:
	s_mov_b64 s[6:7], -1
                                        ; implicit-def: $vgpr3
	s_branch .LBB40_1844
.LBB40_1840:
	s_mov_b64 s[6:7], -1
                                        ; implicit-def: $vgpr3
.LBB40_1841:
	s_andn2_b64 vcc, exec, s[6:7]
	s_cbranch_vccnz .LBB40_1843
; %bb.1842:
	global_load_dword v3, v[20:21], off
.LBB40_1843:
	s_mov_b64 s[6:7], 0
.LBB40_1844:
	s_andn2_b64 vcc, exec, s[6:7]
	s_cbranch_vccnz .LBB40_1846
; %bb.1845:
	global_load_dword v3, v[20:21], off
	s_waitcnt vmcnt(0)
	v_cvt_f32_f16_e32 v3, v3
.LBB40_1846:
	s_mov_b64 s[6:7], 0
.LBB40_1847:
	s_andn2_b64 vcc, exec, s[6:7]
	s_cbranch_vccnz .LBB40_1858
; %bb.1848:
	v_cmp_lt_i16_e64 s[6:7], s26, 6
	s_and_b64 vcc, exec, s[6:7]
	s_cbranch_vccnz .LBB40_1851
; %bb.1849:
	v_cmp_gt_i16_e64 s[6:7], s26, 6
	s_and_b64 vcc, exec, s[6:7]
	s_cbranch_vccz .LBB40_1852
; %bb.1850:
	global_load_dwordx2 v[22:23], v[20:21], off
	s_mov_b64 s[6:7], 0
	s_waitcnt vmcnt(0)
	v_cvt_f32_f64_e32 v3, v[22:23]
	s_branch .LBB40_1853
.LBB40_1851:
	s_mov_b64 s[6:7], -1
                                        ; implicit-def: $vgpr3
	s_branch .LBB40_1856
.LBB40_1852:
	s_mov_b64 s[6:7], -1
                                        ; implicit-def: $vgpr3
.LBB40_1853:
	s_andn2_b64 vcc, exec, s[6:7]
	s_cbranch_vccnz .LBB40_1855
; %bb.1854:
	global_load_dword v3, v[20:21], off
.LBB40_1855:
	s_mov_b64 s[6:7], 0
.LBB40_1856:
	s_andn2_b64 vcc, exec, s[6:7]
	s_cbranch_vccnz .LBB40_1858
; %bb.1857:
	global_load_ushort v3, v[20:21], off
	s_waitcnt vmcnt(0)
	v_cvt_f32_f16_e32 v3, v3
.LBB40_1858:
	s_cbranch_execnz .LBB40_1878
.LBB40_1859:
	v_cmp_lt_i16_e64 s[6:7], s26, 2
	s_and_b64 vcc, exec, s[6:7]
	s_cbranch_vccnz .LBB40_1863
; %bb.1860:
	v_cmp_lt_i16_e64 s[6:7], s26, 3
	s_and_b64 vcc, exec, s[6:7]
	s_cbranch_vccnz .LBB40_1864
; %bb.1861:
	v_cmp_gt_i16_e64 s[6:7], s26, 3
	s_and_b64 vcc, exec, s[6:7]
	s_cbranch_vccz .LBB40_1865
; %bb.1862:
	global_load_dwordx2 v[22:23], v[20:21], off
	s_mov_b64 s[6:7], 0
	s_waitcnt vmcnt(0)
	v_xor_b32_e32 v5, v22, v23
	v_ffbh_i32_e32 v3, v23
	v_ashrrev_i32_e32 v5, 31, v5
	v_add_u32_e32 v3, -1, v3
	v_add_u32_e32 v5, 32, v5
	v_min_u32_e32 v3, v3, v5
	v_lshlrev_b64 v[22:23], v3, v[22:23]
	v_min_u32_e32 v5, 1, v22
	v_or_b32_e32 v5, v23, v5
	v_cvt_f32_i32_e32 v5, v5
	v_sub_u32_e32 v3, 32, v3
	v_ldexp_f32 v3, v5, v3
	s_branch .LBB40_1866
.LBB40_1863:
	s_mov_b64 s[6:7], -1
                                        ; implicit-def: $vgpr3
	s_branch .LBB40_1872
.LBB40_1864:
	s_mov_b64 s[6:7], -1
                                        ; implicit-def: $vgpr3
	s_branch .LBB40_1869
.LBB40_1865:
	s_mov_b64 s[6:7], -1
                                        ; implicit-def: $vgpr3
.LBB40_1866:
	s_andn2_b64 vcc, exec, s[6:7]
	s_cbranch_vccnz .LBB40_1868
; %bb.1867:
	global_load_dword v3, v[20:21], off
	s_waitcnt vmcnt(0)
	v_cvt_f32_i32_e32 v3, v3
.LBB40_1868:
	s_mov_b64 s[6:7], 0
.LBB40_1869:
	s_andn2_b64 vcc, exec, s[6:7]
	s_cbranch_vccnz .LBB40_1871
; %bb.1870:
	global_load_sshort v3, v[20:21], off
	s_waitcnt vmcnt(0)
	v_cvt_f32_i32_e32 v3, v3
.LBB40_1871:
	s_mov_b64 s[6:7], 0
.LBB40_1872:
	s_andn2_b64 vcc, exec, s[6:7]
	s_cbranch_vccnz .LBB40_1878
; %bb.1873:
	v_cmp_gt_i16_e64 s[6:7], s26, 0
	s_and_b64 vcc, exec, s[6:7]
	s_cbranch_vccz .LBB40_1875
; %bb.1874:
	global_load_sbyte v3, v[20:21], off
	s_mov_b64 s[6:7], 0
	s_waitcnt vmcnt(0)
	v_cvt_f32_i32_e32 v3, v3
	s_branch .LBB40_1876
.LBB40_1875:
	s_mov_b64 s[6:7], -1
                                        ; implicit-def: $vgpr3
.LBB40_1876:
	s_andn2_b64 vcc, exec, s[6:7]
	s_cbranch_vccnz .LBB40_1878
; %bb.1877:
	global_load_ubyte v3, v[20:21], off
	s_waitcnt vmcnt(0)
	v_cvt_f32_ubyte0_e32 v3, v3
.LBB40_1878:
.LBB40_1879:
	v_mov_b32_e32 v5, s11
	v_add_co_u32_e32 v18, vcc, s10, v18
	v_addc_co_u32_e32 v19, vcc, 0, v5, vcc
	v_mov_b32_e32 v5, 11
	v_cmp_lt_i16_sdwa s[6:7], s25, v5 src0_sel:BYTE_0 src1_sel:DWORD
	s_and_b64 vcc, exec, s[6:7]
	s_cbranch_vccnz .LBB40_1886
; %bb.1880:
	v_mov_b32_e32 v5, 25
	v_cmp_gt_i16_sdwa s[6:7], s25, v5 src0_sel:BYTE_0 src1_sel:DWORD
	s_mov_b64 s[16:17], 0
	s_and_b64 vcc, exec, s[6:7]
	s_cbranch_vccz .LBB40_1888
; %bb.1881:
	v_mov_b32_e32 v5, 28
	v_cmp_gt_i16_sdwa s[6:7], s25, v5 src0_sel:BYTE_0 src1_sel:DWORD
	s_and_b64 vcc, exec, s[6:7]
	s_cbranch_vccz .LBB40_1889
; %bb.1882:
	v_mov_b32_e32 v5, 43
	v_cmp_gt_i16_sdwa s[6:7], s25, v5 src0_sel:BYTE_0 src1_sel:DWORD
	;; [unrolled: 5-line block ×3, first 2 shown]
	s_and_b64 vcc, exec, s[6:7]
	s_cbranch_vccz .LBB40_1892
; %bb.1884:
	v_mov_b32_e32 v5, 46
	v_cmp_eq_u16_sdwa s[6:7], s25, v5 src0_sel:BYTE_0 src1_sel:DWORD
	s_mov_b64 s[20:21], 0
	s_and_b64 vcc, exec, s[6:7]
	s_cbranch_vccz .LBB40_1893
; %bb.1885:
	global_load_dword v5, v[18:19], off
	s_mov_b64 s[6:7], 0
	s_mov_b64 s[18:19], -1
	s_waitcnt vmcnt(0)
	v_lshlrev_b32_e32 v5, 16, v5
	s_branch .LBB40_1894
.LBB40_1886:
	s_mov_b64 s[18:19], 0
                                        ; implicit-def: $vgpr5
	s_cbranch_execnz .LBB40_1960
.LBB40_1887:
	s_andn2_b64 vcc, exec, s[18:19]
	s_cbranch_vccnz .LBB40_3113
	s_branch .LBB40_2008
.LBB40_1888:
	s_mov_b64 s[20:21], -1
	s_mov_b64 s[18:19], 0
	s_mov_b64 s[6:7], 0
                                        ; implicit-def: $vgpr5
	s_branch .LBB40_1923
.LBB40_1889:
	s_mov_b64 s[20:21], -1
	s_mov_b64 s[18:19], 0
	s_mov_b64 s[6:7], 0
                                        ; implicit-def: $vgpr5
	s_branch .LBB40_1904
.LBB40_1890:
	s_mov_b64 s[20:21], -1
	s_mov_b64 s[18:19], 0
	s_mov_b64 s[6:7], 0
                                        ; implicit-def: $vgpr5
	s_branch .LBB40_1899
.LBB40_1891:
	s_trap 2
	s_or_b64 s[4:5], s[4:5], exec
                                        ; implicit-def: $vgpr3
	s_cbranch_execz .LBB40_1830
	s_branch .LBB40_1831
.LBB40_1892:
	s_mov_b64 s[20:21], -1
	s_mov_b64 s[18:19], 0
	s_mov_b64 s[6:7], 0
                                        ; implicit-def: $vgpr5
	s_branch .LBB40_1894
.LBB40_1893:
	s_mov_b64 s[6:7], -1
                                        ; implicit-def: $vgpr5
	s_mov_b64 s[18:19], 0
.LBB40_1894:
	s_and_b64 vcc, exec, s[20:21]
	s_cbranch_vccz .LBB40_1898
; %bb.1895:
	v_mov_b32_e32 v5, 44
	v_cmp_eq_u16_sdwa s[6:7], s25, v5 src0_sel:BYTE_0 src1_sel:DWORD
	s_and_b64 vcc, exec, s[6:7]
	s_cbranch_vccz .LBB40_1897
; %bb.1896:
	global_load_ubyte v5, v[18:19], off
	s_movk_i32 s18, 0xff
	v_mov_b32_e32 v7, 0x7f800001
	v_mov_b32_e32 v9, 0x400000
	s_mov_b64 s[6:7], 0
	s_waitcnt vmcnt(0)
	v_lshlrev_b32_e32 v11, 23, v5
	v_cmp_ne_u32_e32 vcc, s18, v5
	v_cndmask_b32_e32 v7, v7, v11, vcc
	v_cmp_ne_u32_e32 vcc, 0, v5
	v_cndmask_b32_e32 v5, v9, v7, vcc
	s_mov_b64 s[18:19], -1
	s_branch .LBB40_1898
.LBB40_1897:
	s_mov_b64 s[6:7], -1
                                        ; implicit-def: $vgpr5
.LBB40_1898:
	s_mov_b64 s[20:21], 0
.LBB40_1899:
	s_and_b64 vcc, exec, s[20:21]
	s_cbranch_vccz .LBB40_1903
; %bb.1900:
	v_mov_b32_e32 v5, 29
	v_cmp_eq_u16_sdwa s[6:7], s25, v5 src0_sel:BYTE_0 src1_sel:DWORD
	s_and_b64 vcc, exec, s[6:7]
	s_cbranch_vccz .LBB40_1902
; %bb.1901:
	global_load_dwordx2 v[20:21], v[18:19], off
	s_mov_b64 s[6:7], 0
	s_mov_b64 s[18:19], -1
	s_mov_b64 s[20:21], 0
	s_waitcnt vmcnt(0)
	v_ffbh_u32_e32 v5, v21
	v_min_u32_e32 v5, 32, v5
	v_lshlrev_b64 v[20:21], v5, v[20:21]
	v_min_u32_e32 v7, 1, v20
	v_or_b32_e32 v7, v21, v7
	v_cvt_f32_u32_e32 v7, v7
	v_sub_u32_e32 v5, 32, v5
	v_ldexp_f32 v5, v7, v5
	s_branch .LBB40_1904
.LBB40_1902:
	s_mov_b64 s[6:7], -1
                                        ; implicit-def: $vgpr5
.LBB40_1903:
	s_mov_b64 s[20:21], 0
.LBB40_1904:
	s_and_b64 vcc, exec, s[20:21]
	s_cbranch_vccz .LBB40_1922
; %bb.1905:
	v_mov_b32_e32 v5, 27
	v_cmp_lt_i16_sdwa s[18:19], s25, v5 src0_sel:BYTE_0 src1_sel:DWORD
	s_and_b64 vcc, exec, s[18:19]
	s_cbranch_vccnz .LBB40_1908
; %bb.1906:
	v_cmp_gt_i16_sdwa s[18:19], s25, v5 src0_sel:BYTE_0 src1_sel:DWORD
	s_and_b64 vcc, exec, s[18:19]
	s_cbranch_vccz .LBB40_1909
; %bb.1907:
	global_load_dword v5, v[18:19], off
	s_mov_b64 s[18:19], 0
	s_waitcnt vmcnt(0)
	v_cvt_f32_u32_e32 v5, v5
	s_branch .LBB40_1910
.LBB40_1908:
	s_mov_b64 s[18:19], -1
                                        ; implicit-def: $vgpr5
	s_branch .LBB40_1913
.LBB40_1909:
	s_mov_b64 s[18:19], -1
                                        ; implicit-def: $vgpr5
.LBB40_1910:
	s_andn2_b64 vcc, exec, s[18:19]
	s_cbranch_vccnz .LBB40_1912
; %bb.1911:
	global_load_ushort v5, v[18:19], off
	s_waitcnt vmcnt(0)
	v_cvt_f32_u32_e32 v5, v5
.LBB40_1912:
	s_mov_b64 s[18:19], 0
.LBB40_1913:
	s_andn2_b64 vcc, exec, s[18:19]
	s_cbranch_vccnz .LBB40_1921
; %bb.1914:
	global_load_ubyte v7, v[18:19], off
	s_movk_i32 s18, 0x7f
                                        ; implicit-def: $sgpr27
	s_waitcnt vmcnt(0)
	v_cmp_lt_i16_e32 vcc, s18, v7
	s_mov_b64 s[18:19], 0
	s_and_saveexec_b64 s[20:21], vcc
	s_xor_b64 s[20:21], exec, s[20:21]
	s_cbranch_execz .LBB40_1935
; %bb.1915:
	s_movk_i32 s18, 0x80
	v_cmp_eq_u16_e32 vcc, s18, v7
	s_mov_b64 s[18:19], -1
                                        ; implicit-def: $sgpr27
	s_and_saveexec_b64 s[22:23], vcc
; %bb.1916:
	s_mov_b32 s27, 0x7f800001
	s_xor_b64 s[18:19], exec, -1
; %bb.1917:
	s_or_b64 exec, exec, s[22:23]
	s_and_b64 s[18:19], s[18:19], exec
	s_or_saveexec_b64 s[20:21], s[20:21]
	v_mov_b32_e32 v5, s27
	s_xor_b64 exec, exec, s[20:21]
	s_cbranch_execnz .LBB40_1936
.LBB40_1918:
	s_or_b64 exec, exec, s[20:21]
	s_and_saveexec_b64 s[20:21], s[18:19]
	s_cbranch_execz .LBB40_1920
.LBB40_1919:
	v_lshlrev_b32_e32 v5, 24, v7
	v_and_b32_e32 v7, 0xffff, v7
	v_and_b32_e32 v9, 7, v7
	v_ffbh_u32_e32 v13, v9
	v_min_u32_e32 v13, 32, v13
	v_subrev_u32_e32 v15, 28, v13
	v_bfe_u32 v11, v7, 3, 4
	v_lshlrev_b32_e32 v7, v15, v7
	v_sub_u32_e32 v13, 29, v13
	v_and_b32_e32 v7, 7, v7
	v_cmp_eq_u32_e32 vcc, 0, v11
	v_cndmask_b32_e32 v11, v11, v13, vcc
	v_cndmask_b32_e32 v7, v9, v7, vcc
	v_mov_b32_e32 v9, 0x3b800000
	v_lshlrev_b32_e32 v7, 20, v7
	v_and_b32_e32 v5, 0x80000000, v5
	v_lshl_add_u32 v9, v11, 23, v9
	v_or3_b32 v5, v5, v9, v7
.LBB40_1920:
	s_or_b64 exec, exec, s[20:21]
.LBB40_1921:
	s_mov_b64 s[18:19], -1
.LBB40_1922:
	s_mov_b64 s[20:21], 0
.LBB40_1923:
	s_and_b64 vcc, exec, s[20:21]
	s_cbranch_vccz .LBB40_1956
; %bb.1924:
	v_mov_b32_e32 v5, 22
	v_cmp_gt_i16_sdwa s[16:17], s25, v5 src0_sel:BYTE_0 src1_sel:DWORD
	s_and_b64 vcc, exec, s[16:17]
	s_cbranch_vccz .LBB40_1934
; %bb.1925:
	v_mov_b32_e32 v5, 24
	v_cmp_lt_i16_sdwa s[16:17], s25, v5 src0_sel:BYTE_0 src1_sel:DWORD
	s_and_b64 vcc, exec, s[16:17]
	s_cbranch_vccnz .LBB40_1937
; %bb.1926:
	v_cmp_gt_i16_sdwa s[16:17], s25, v5 src0_sel:BYTE_0 src1_sel:DWORD
	s_and_b64 vcc, exec, s[16:17]
	s_cbranch_vccz .LBB40_1938
; %bb.1927:
	global_load_ubyte v7, v[18:19], off
	s_movk_i32 s16, 0x7f
                                        ; implicit-def: $sgpr22
	s_waitcnt vmcnt(0)
	v_cmp_lt_i16_e32 vcc, s16, v7
	s_mov_b64 s[16:17], 0
	s_and_saveexec_b64 s[18:19], vcc
	s_xor_b64 s[18:19], exec, s[18:19]
	s_cbranch_execz .LBB40_1950
; %bb.1928:
	s_movk_i32 s16, 0x80
	v_cmp_eq_u16_e32 vcc, s16, v7
	s_mov_b64 s[16:17], -1
                                        ; implicit-def: $sgpr22
	s_and_saveexec_b64 s[20:21], vcc
; %bb.1929:
	s_mov_b32 s22, 0x7f800001
	s_xor_b64 s[16:17], exec, -1
; %bb.1930:
	s_or_b64 exec, exec, s[20:21]
	s_and_b64 s[16:17], s[16:17], exec
	s_or_saveexec_b64 s[18:19], s[18:19]
	v_mov_b32_e32 v5, s22
	s_xor_b64 exec, exec, s[18:19]
	s_cbranch_execnz .LBB40_1951
.LBB40_1931:
	s_or_b64 exec, exec, s[18:19]
	s_and_saveexec_b64 s[18:19], s[16:17]
	s_cbranch_execz .LBB40_1933
.LBB40_1932:
	v_lshlrev_b32_e32 v5, 24, v7
	v_and_b32_e32 v7, 0xffff, v7
	v_and_b32_e32 v9, 3, v7
	v_ffbh_u32_e32 v13, v9
	v_min_u32_e32 v13, 32, v13
	v_subrev_u32_e32 v15, 29, v13
	v_bfe_u32 v11, v7, 2, 5
	v_lshlrev_b32_e32 v7, v15, v7
	v_sub_u32_e32 v13, 30, v13
	v_and_b32_e32 v7, 3, v7
	v_cmp_eq_u32_e32 vcc, 0, v11
	v_cndmask_b32_e32 v11, v11, v13, vcc
	v_cndmask_b32_e32 v7, v9, v7, vcc
	v_mov_b32_e32 v9, 0x37800000
	v_lshlrev_b32_e32 v7, 21, v7
	v_and_b32_e32 v5, 0x80000000, v5
	v_lshl_add_u32 v9, v11, 23, v9
	v_or3_b32 v5, v5, v9, v7
.LBB40_1933:
	s_or_b64 exec, exec, s[18:19]
	s_mov_b64 s[16:17], 0
	s_branch .LBB40_1939
.LBB40_1934:
	s_mov_b64 s[16:17], -1
                                        ; implicit-def: $vgpr5
	s_branch .LBB40_1945
.LBB40_1935:
	s_or_saveexec_b64 s[20:21], s[20:21]
	v_mov_b32_e32 v5, s27
	s_xor_b64 exec, exec, s[20:21]
	s_cbranch_execz .LBB40_1918
.LBB40_1936:
	v_cmp_ne_u16_e32 vcc, 0, v7
	s_andn2_b64 s[18:19], s[18:19], exec
	s_and_b64 s[22:23], vcc, exec
	v_mov_b32_e32 v5, 0
	s_or_b64 s[18:19], s[18:19], s[22:23]
	s_or_b64 exec, exec, s[20:21]
	s_and_saveexec_b64 s[20:21], s[18:19]
	s_cbranch_execnz .LBB40_1919
	s_branch .LBB40_1920
.LBB40_1937:
	s_mov_b64 s[16:17], -1
                                        ; implicit-def: $vgpr5
	s_branch .LBB40_1942
.LBB40_1938:
	s_mov_b64 s[16:17], -1
                                        ; implicit-def: $vgpr5
.LBB40_1939:
	s_and_b64 vcc, exec, s[16:17]
	s_cbranch_vccz .LBB40_1941
; %bb.1940:
	global_load_ubyte v5, v[18:19], off
	s_mov_b32 s16, 0x7f800000
	s_waitcnt vmcnt(0)
	v_lshlrev_b32_e32 v5, 24, v5
	v_and_b32_e32 v7, 0x7f000000, v5
	v_ffbh_u32_e32 v9, v7
	v_min_u32_e32 v9, 32, v9
	v_sub_u32_e64 v9, v9, 4 clamp
	v_lshlrev_b32_e32 v13, v9, v7
	v_lshlrev_b32_e32 v9, 23, v9
	v_lshrrev_b32_e32 v13, 4, v13
	v_add_u32_e32 v11, 0x1000000, v7
	v_sub_u32_e32 v9, v13, v9
	v_ashrrev_i32_e32 v11, 8, v11
	v_add_u32_e32 v9, 0x3c000000, v9
	v_and_or_b32 v9, v11, s16, v9
	v_cmp_ne_u32_e32 vcc, 0, v7
	v_cndmask_b32_e32 v7, 0, v9, vcc
	s_brev_b32 s16, 1
	v_and_or_b32 v5, v5, s16, v7
.LBB40_1941:
	s_mov_b64 s[16:17], 0
.LBB40_1942:
	s_andn2_b64 vcc, exec, s[16:17]
	s_cbranch_vccnz .LBB40_1944
; %bb.1943:
	global_load_ubyte v5, v[18:19], off
	s_movk_i32 s16, 0x7f00
	s_brev_b32 s17, 16
	s_waitcnt vmcnt(0)
	v_lshlrev_b16_e32 v7, 8, v5
	v_lshlrev_b32_e32 v5, 25, v5
	v_lshrrev_b32_e32 v9, 4, v5
	v_and_or_b32 v11, v7, s16, 0.5
	v_or_b32_e32 v9, 0x70000000, v9
	v_add_f32_e32 v11, -0.5, v11
	v_mul_f32_e32 v9, 0x7800000, v9
	v_cmp_gt_u32_e32 vcc, s17, v5
	v_bfe_i32 v7, v7, 0, 16
	v_cndmask_b32_e32 v5, v9, v11, vcc
	s_brev_b32 s16, 1
	v_and_or_b32 v5, v7, s16, v5
.LBB40_1944:
	s_mov_b64 s[16:17], 0
	s_mov_b64 s[18:19], -1
.LBB40_1945:
	s_andn2_b64 vcc, exec, s[16:17]
	s_mov_b64 s[16:17], 0
	s_cbranch_vccnz .LBB40_1956
; %bb.1946:
	v_mov_b32_e32 v5, 14
	v_cmp_gt_i16_sdwa s[16:17], s25, v5 src0_sel:BYTE_0 src1_sel:DWORD
	s_and_b64 vcc, exec, s[16:17]
	s_cbranch_vccz .LBB40_1949
; %bb.1947:
	v_mov_b32_e32 v5, 15
	v_cmp_eq_u16_sdwa s[6:7], s25, v5 src0_sel:BYTE_0 src1_sel:DWORD
	s_and_b64 vcc, exec, s[6:7]
	s_cbranch_vccz .LBB40_1952
; %bb.1948:
	global_load_ushort v5, v[18:19], off
	s_mov_b64 s[6:7], 0
	s_mov_b64 s[18:19], -1
	s_waitcnt vmcnt(0)
	v_lshlrev_b32_e32 v5, 16, v5
	s_branch .LBB40_1953
.LBB40_1949:
	s_mov_b64 s[20:21], -1
                                        ; implicit-def: $vgpr5
	s_branch .LBB40_1954
.LBB40_1950:
	s_or_saveexec_b64 s[18:19], s[18:19]
	v_mov_b32_e32 v5, s22
	s_xor_b64 exec, exec, s[18:19]
	s_cbranch_execz .LBB40_1931
.LBB40_1951:
	v_cmp_ne_u16_e32 vcc, 0, v7
	s_andn2_b64 s[16:17], s[16:17], exec
	s_and_b64 s[20:21], vcc, exec
	v_mov_b32_e32 v5, 0
	s_or_b64 s[16:17], s[16:17], s[20:21]
	s_or_b64 exec, exec, s[18:19]
	s_and_saveexec_b64 s[18:19], s[16:17]
	s_cbranch_execnz .LBB40_1932
	s_branch .LBB40_1933
.LBB40_1952:
	s_mov_b64 s[6:7], -1
                                        ; implicit-def: $vgpr5
.LBB40_1953:
	s_mov_b64 s[20:21], 0
.LBB40_1954:
	s_mov_b64 s[16:17], 0
	s_and_b64 vcc, exec, s[20:21]
	s_cbranch_vccz .LBB40_1956
; %bb.1955:
	v_mov_b32_e32 v5, 11
	v_cmp_ne_u16_sdwa s[6:7], s25, v5 src0_sel:BYTE_0 src1_sel:DWORD
	s_mov_b64 s[16:17], -1
                                        ; implicit-def: $vgpr5
.LBB40_1956:
	s_and_b64 vcc, exec, s[6:7]
	s_cbranch_vccnz .LBB40_2019
; %bb.1957:
	s_andn2_b64 vcc, exec, s[16:17]
	s_cbranch_vccnz .LBB40_1959
.LBB40_1958:
	global_load_ubyte v5, v[18:19], off
	s_mov_b64 s[18:19], -1
	s_waitcnt vmcnt(0)
	v_cmp_ne_u16_e32 vcc, 0, v5
	v_cndmask_b32_e64 v5, 0, 1.0, vcc
.LBB40_1959:
	s_branch .LBB40_1887
.LBB40_1960:
	v_mov_b32_e32 v5, 5
	v_cmp_lt_i16_sdwa s[6:7], s25, v5 src0_sel:BYTE_0 src1_sel:DWORD
	s_and_b64 vcc, exec, s[6:7]
	s_cbranch_vccnz .LBB40_1965
; %bb.1961:
	v_mov_b32_e32 v5, 8
	v_cmp_lt_i16_sdwa s[6:7], s25, v5 src0_sel:BYTE_0 src1_sel:DWORD
	s_and_b64 vcc, exec, s[6:7]
	s_cbranch_vccnz .LBB40_1966
; %bb.1962:
	;; [unrolled: 5-line block ×3, first 2 shown]
	v_cmp_gt_i16_sdwa s[6:7], s25, v5 src0_sel:BYTE_0 src1_sel:DWORD
	s_and_b64 vcc, exec, s[6:7]
	s_cbranch_vccz .LBB40_1968
; %bb.1964:
	global_load_dwordx2 v[20:21], v[18:19], off
	s_mov_b64 s[6:7], 0
	s_waitcnt vmcnt(0)
	v_cvt_f32_f64_e32 v5, v[20:21]
	s_branch .LBB40_1969
.LBB40_1965:
	s_mov_b64 s[6:7], -1
                                        ; implicit-def: $vgpr5
	s_branch .LBB40_1987
.LBB40_1966:
	s_mov_b64 s[6:7], -1
                                        ; implicit-def: $vgpr5
	s_branch .LBB40_1975
.LBB40_1967:
	s_mov_b64 s[6:7], -1
                                        ; implicit-def: $vgpr5
	s_branch .LBB40_1972
.LBB40_1968:
	s_mov_b64 s[6:7], -1
                                        ; implicit-def: $vgpr5
.LBB40_1969:
	s_andn2_b64 vcc, exec, s[6:7]
	s_cbranch_vccnz .LBB40_1971
; %bb.1970:
	global_load_dword v5, v[18:19], off
.LBB40_1971:
	s_mov_b64 s[6:7], 0
.LBB40_1972:
	s_andn2_b64 vcc, exec, s[6:7]
	s_cbranch_vccnz .LBB40_1974
; %bb.1973:
	global_load_dword v5, v[18:19], off
	s_waitcnt vmcnt(0)
	v_cvt_f32_f16_e32 v5, v5
.LBB40_1974:
	s_mov_b64 s[6:7], 0
.LBB40_1975:
	s_andn2_b64 vcc, exec, s[6:7]
	s_cbranch_vccnz .LBB40_1986
; %bb.1976:
	s_waitcnt vmcnt(0)
	v_mov_b32_e32 v5, 6
	v_cmp_lt_i16_sdwa s[6:7], s25, v5 src0_sel:BYTE_0 src1_sel:DWORD
	s_and_b64 vcc, exec, s[6:7]
	s_cbranch_vccnz .LBB40_1979
; %bb.1977:
	v_cmp_gt_i16_sdwa s[6:7], s25, v5 src0_sel:BYTE_0 src1_sel:DWORD
	s_and_b64 vcc, exec, s[6:7]
	s_cbranch_vccz .LBB40_1980
; %bb.1978:
	global_load_dwordx2 v[20:21], v[18:19], off
	s_mov_b64 s[6:7], 0
	s_waitcnt vmcnt(0)
	v_cvt_f32_f64_e32 v5, v[20:21]
	s_branch .LBB40_1981
.LBB40_1979:
	s_mov_b64 s[6:7], -1
                                        ; implicit-def: $vgpr5
	s_branch .LBB40_1984
.LBB40_1980:
	s_mov_b64 s[6:7], -1
                                        ; implicit-def: $vgpr5
.LBB40_1981:
	s_andn2_b64 vcc, exec, s[6:7]
	s_cbranch_vccnz .LBB40_1983
; %bb.1982:
	global_load_dword v5, v[18:19], off
.LBB40_1983:
	s_mov_b64 s[6:7], 0
.LBB40_1984:
	s_andn2_b64 vcc, exec, s[6:7]
	s_cbranch_vccnz .LBB40_1986
; %bb.1985:
	global_load_ushort v5, v[18:19], off
	s_waitcnt vmcnt(0)
	v_cvt_f32_f16_e32 v5, v5
.LBB40_1986:
	s_mov_b64 s[6:7], 0
.LBB40_1987:
	s_andn2_b64 vcc, exec, s[6:7]
	s_cbranch_vccnz .LBB40_2007
; %bb.1988:
	s_waitcnt vmcnt(0)
	v_mov_b32_e32 v5, 2
	v_cmp_lt_i16_sdwa s[6:7], s25, v5 src0_sel:BYTE_0 src1_sel:DWORD
	s_and_b64 vcc, exec, s[6:7]
	s_cbranch_vccnz .LBB40_1992
; %bb.1989:
	v_mov_b32_e32 v5, 3
	v_cmp_lt_i16_sdwa s[6:7], s25, v5 src0_sel:BYTE_0 src1_sel:DWORD
	s_and_b64 vcc, exec, s[6:7]
	s_cbranch_vccnz .LBB40_1993
; %bb.1990:
	v_cmp_gt_i16_sdwa s[6:7], s25, v5 src0_sel:BYTE_0 src1_sel:DWORD
	s_and_b64 vcc, exec, s[6:7]
	s_cbranch_vccz .LBB40_1994
; %bb.1991:
	global_load_dwordx2 v[20:21], v[18:19], off
	s_mov_b64 s[6:7], 0
	s_waitcnt vmcnt(0)
	v_xor_b32_e32 v7, v20, v21
	v_ffbh_i32_e32 v5, v21
	v_ashrrev_i32_e32 v7, 31, v7
	v_add_u32_e32 v5, -1, v5
	v_add_u32_e32 v7, 32, v7
	v_min_u32_e32 v5, v5, v7
	v_lshlrev_b64 v[20:21], v5, v[20:21]
	v_min_u32_e32 v7, 1, v20
	v_or_b32_e32 v7, v21, v7
	v_cvt_f32_i32_e32 v7, v7
	v_sub_u32_e32 v5, 32, v5
	v_ldexp_f32 v5, v7, v5
	s_branch .LBB40_1995
.LBB40_1992:
	s_mov_b64 s[6:7], -1
                                        ; implicit-def: $vgpr5
	s_branch .LBB40_2001
.LBB40_1993:
	s_mov_b64 s[6:7], -1
                                        ; implicit-def: $vgpr5
	s_branch .LBB40_1998
.LBB40_1994:
	s_mov_b64 s[6:7], -1
                                        ; implicit-def: $vgpr5
.LBB40_1995:
	s_andn2_b64 vcc, exec, s[6:7]
	s_cbranch_vccnz .LBB40_1997
; %bb.1996:
	global_load_dword v5, v[18:19], off
	s_waitcnt vmcnt(0)
	v_cvt_f32_i32_e32 v5, v5
.LBB40_1997:
	s_mov_b64 s[6:7], 0
.LBB40_1998:
	s_andn2_b64 vcc, exec, s[6:7]
	s_cbranch_vccnz .LBB40_2000
; %bb.1999:
	global_load_sshort v5, v[18:19], off
	s_waitcnt vmcnt(0)
	v_cvt_f32_i32_e32 v5, v5
.LBB40_2000:
	s_mov_b64 s[6:7], 0
.LBB40_2001:
	s_andn2_b64 vcc, exec, s[6:7]
	s_cbranch_vccnz .LBB40_2007
; %bb.2002:
	v_mov_b32_e32 v5, 0
	v_cmp_gt_i16_sdwa s[6:7], s25, v5 src0_sel:BYTE_0 src1_sel:DWORD
	s_and_b64 vcc, exec, s[6:7]
	s_cbranch_vccz .LBB40_2004
; %bb.2003:
	global_load_sbyte v5, v[18:19], off
	s_mov_b64 s[6:7], 0
	s_waitcnt vmcnt(0)
	v_cvt_f32_i32_e32 v5, v5
	s_branch .LBB40_2005
.LBB40_2004:
	s_mov_b64 s[6:7], -1
                                        ; implicit-def: $vgpr5
.LBB40_2005:
	s_andn2_b64 vcc, exec, s[6:7]
	s_cbranch_vccnz .LBB40_2007
; %bb.2006:
	global_load_ubyte v5, v[18:19], off
	s_waitcnt vmcnt(0)
	v_cvt_f32_ubyte0_e32 v5, v5
.LBB40_2007:
.LBB40_2008:
	v_mov_b32_e32 v7, s1
	v_add_co_u32_e32 v16, vcc, s0, v16
	v_addc_co_u32_e32 v17, vcc, 0, v7, vcc
	s_and_b64 vcc, exec, s[2:3]
	s_cbranch_vccnz .LBB40_2015
; %bb.2009:
	v_cmp_gt_i16_e64 s[6:7], s26, 25
	s_mov_b64 s[16:17], 0
	s_and_b64 vcc, exec, s[6:7]
	s_cbranch_vccz .LBB40_2016
; %bb.2010:
	v_cmp_gt_i16_e64 s[6:7], s26, 28
	s_and_b64 vcc, exec, s[6:7]
	s_cbranch_vccz .LBB40_2017
; %bb.2011:
	v_cmp_gt_i16_e64 s[6:7], s26, 43
	;; [unrolled: 4-line block ×3, first 2 shown]
	s_and_b64 vcc, exec, s[6:7]
	s_cbranch_vccz .LBB40_2020
; %bb.2013:
	v_cmp_eq_u16_e64 s[6:7], s26, 46
	s_mov_b64 s[20:21], 0
	s_and_b64 vcc, exec, s[6:7]
	s_cbranch_vccz .LBB40_2021
; %bb.2014:
	global_load_dword v7, v[16:17], off
	s_mov_b64 s[6:7], 0
	s_mov_b64 s[18:19], -1
	s_waitcnt vmcnt(0)
	v_lshlrev_b32_e32 v18, 16, v7
	s_branch .LBB40_2022
.LBB40_2015:
	s_mov_b64 s[6:7], -1
	s_mov_b64 s[18:19], 0
                                        ; implicit-def: $vgpr18
	s_branch .LBB40_2088
.LBB40_2016:
	s_mov_b64 s[20:21], -1
	s_mov_b64 s[18:19], 0
	s_mov_b64 s[6:7], 0
                                        ; implicit-def: $vgpr18
	s_branch .LBB40_2051
.LBB40_2017:
	s_mov_b64 s[20:21], -1
	s_mov_b64 s[18:19], 0
	s_mov_b64 s[6:7], 0
                                        ; implicit-def: $vgpr18
	s_branch .LBB40_2032
.LBB40_2018:
	s_mov_b64 s[20:21], -1
	s_mov_b64 s[18:19], 0
	s_mov_b64 s[6:7], 0
                                        ; implicit-def: $vgpr18
	s_branch .LBB40_2027
.LBB40_2019:
	s_trap 2
	s_or_b64 s[4:5], s[4:5], exec
                                        ; implicit-def: $vgpr5
	s_cbranch_execz .LBB40_1958
	s_branch .LBB40_1959
.LBB40_2020:
	s_mov_b64 s[20:21], -1
	s_mov_b64 s[18:19], 0
	s_mov_b64 s[6:7], 0
                                        ; implicit-def: $vgpr18
	s_branch .LBB40_2022
.LBB40_2021:
	s_mov_b64 s[6:7], -1
                                        ; implicit-def: $vgpr18
	s_mov_b64 s[18:19], 0
.LBB40_2022:
	s_and_b64 vcc, exec, s[20:21]
	s_cbranch_vccz .LBB40_2026
; %bb.2023:
	v_cmp_eq_u16_e64 s[6:7], s26, 44
	s_and_b64 vcc, exec, s[6:7]
	s_cbranch_vccz .LBB40_2025
; %bb.2024:
	global_load_ubyte v7, v[16:17], off
	s_movk_i32 s18, 0xff
	v_mov_b32_e32 v9, 0x7f800001
	v_mov_b32_e32 v11, 0x400000
	s_mov_b64 s[6:7], 0
	s_waitcnt vmcnt(0)
	v_lshlrev_b32_e32 v13, 23, v7
	v_cmp_ne_u32_e32 vcc, s18, v7
	v_cndmask_b32_e32 v9, v9, v13, vcc
	v_cmp_ne_u32_e32 vcc, 0, v7
	v_cndmask_b32_e32 v18, v11, v9, vcc
	s_mov_b64 s[18:19], -1
	s_branch .LBB40_2026
.LBB40_2025:
	s_mov_b64 s[6:7], -1
                                        ; implicit-def: $vgpr18
.LBB40_2026:
	s_mov_b64 s[20:21], 0
.LBB40_2027:
	s_and_b64 vcc, exec, s[20:21]
	s_cbranch_vccz .LBB40_2031
; %bb.2028:
	v_cmp_eq_u16_e64 s[6:7], s26, 29
	s_and_b64 vcc, exec, s[6:7]
	s_cbranch_vccz .LBB40_2030
; %bb.2029:
	global_load_dwordx2 v[18:19], v[16:17], off
	s_mov_b64 s[6:7], 0
	s_mov_b64 s[18:19], -1
	s_mov_b64 s[20:21], 0
	s_waitcnt vmcnt(0)
	v_ffbh_u32_e32 v7, v19
	v_min_u32_e32 v7, 32, v7
	v_lshlrev_b64 v[18:19], v7, v[18:19]
	v_min_u32_e32 v9, 1, v18
	v_or_b32_e32 v9, v19, v9
	v_cvt_f32_u32_e32 v9, v9
	v_sub_u32_e32 v7, 32, v7
	v_ldexp_f32 v18, v9, v7
	s_branch .LBB40_2032
.LBB40_2030:
	s_mov_b64 s[6:7], -1
                                        ; implicit-def: $vgpr18
.LBB40_2031:
	s_mov_b64 s[20:21], 0
.LBB40_2032:
	s_and_b64 vcc, exec, s[20:21]
	s_cbranch_vccz .LBB40_2050
; %bb.2033:
	v_cmp_lt_i16_e64 s[18:19], s26, 27
	s_and_b64 vcc, exec, s[18:19]
	s_cbranch_vccnz .LBB40_2036
; %bb.2034:
	v_cmp_gt_i16_e64 s[18:19], s26, 27
	s_and_b64 vcc, exec, s[18:19]
	s_cbranch_vccz .LBB40_2037
; %bb.2035:
	global_load_dword v7, v[16:17], off
	s_mov_b64 s[18:19], 0
	s_waitcnt vmcnt(0)
	v_cvt_f32_u32_e32 v18, v7
	s_branch .LBB40_2038
.LBB40_2036:
	s_mov_b64 s[18:19], -1
                                        ; implicit-def: $vgpr18
	s_branch .LBB40_2041
.LBB40_2037:
	s_mov_b64 s[18:19], -1
                                        ; implicit-def: $vgpr18
.LBB40_2038:
	s_andn2_b64 vcc, exec, s[18:19]
	s_cbranch_vccnz .LBB40_2040
; %bb.2039:
	global_load_ushort v7, v[16:17], off
	s_waitcnt vmcnt(0)
	v_cvt_f32_u32_e32 v18, v7
.LBB40_2040:
	s_mov_b64 s[18:19], 0
.LBB40_2041:
	s_andn2_b64 vcc, exec, s[18:19]
	s_cbranch_vccnz .LBB40_2049
; %bb.2042:
	global_load_ubyte v7, v[16:17], off
	s_movk_i32 s18, 0x7f
                                        ; implicit-def: $sgpr27
	s_waitcnt vmcnt(0)
	v_cmp_lt_i16_e32 vcc, s18, v7
	s_mov_b64 s[18:19], 0
	s_and_saveexec_b64 s[20:21], vcc
	s_xor_b64 s[20:21], exec, s[20:21]
	s_cbranch_execz .LBB40_2063
; %bb.2043:
	s_movk_i32 s18, 0x80
	v_cmp_eq_u16_e32 vcc, s18, v7
	s_mov_b64 s[18:19], -1
                                        ; implicit-def: $sgpr27
	s_and_saveexec_b64 s[22:23], vcc
; %bb.2044:
	s_mov_b32 s27, 0x7f800001
	s_xor_b64 s[18:19], exec, -1
; %bb.2045:
	s_or_b64 exec, exec, s[22:23]
	s_and_b64 s[18:19], s[18:19], exec
	s_or_saveexec_b64 s[20:21], s[20:21]
	v_mov_b32_e32 v18, s27
	s_xor_b64 exec, exec, s[20:21]
	s_cbranch_execnz .LBB40_2064
.LBB40_2046:
	s_or_b64 exec, exec, s[20:21]
	s_and_saveexec_b64 s[20:21], s[18:19]
	s_cbranch_execz .LBB40_2048
.LBB40_2047:
	v_lshlrev_b32_e32 v9, 24, v7
	v_and_b32_e32 v7, 0xffff, v7
	v_and_b32_e32 v11, 7, v7
	v_ffbh_u32_e32 v15, v11
	v_min_u32_e32 v15, 32, v15
	v_subrev_u32_e32 v18, 28, v15
	v_bfe_u32 v13, v7, 3, 4
	v_lshlrev_b32_e32 v7, v18, v7
	v_sub_u32_e32 v15, 29, v15
	v_and_b32_e32 v7, 7, v7
	v_cmp_eq_u32_e32 vcc, 0, v13
	v_cndmask_b32_e32 v13, v13, v15, vcc
	v_cndmask_b32_e32 v7, v11, v7, vcc
	v_mov_b32_e32 v11, 0x3b800000
	v_lshlrev_b32_e32 v7, 20, v7
	v_and_b32_e32 v9, 0x80000000, v9
	v_lshl_add_u32 v11, v13, 23, v11
	v_or3_b32 v18, v9, v11, v7
.LBB40_2048:
	s_or_b64 exec, exec, s[20:21]
.LBB40_2049:
	s_mov_b64 s[18:19], -1
.LBB40_2050:
	s_mov_b64 s[20:21], 0
.LBB40_2051:
	s_and_b64 vcc, exec, s[20:21]
	s_cbranch_vccz .LBB40_2084
; %bb.2052:
	v_cmp_gt_i16_e64 s[16:17], s26, 22
	s_and_b64 vcc, exec, s[16:17]
	s_cbranch_vccz .LBB40_2062
; %bb.2053:
	v_cmp_lt_i16_e64 s[16:17], s26, 24
	s_and_b64 vcc, exec, s[16:17]
	s_cbranch_vccnz .LBB40_2065
; %bb.2054:
	v_cmp_gt_i16_e64 s[16:17], s26, 24
	s_and_b64 vcc, exec, s[16:17]
	s_cbranch_vccz .LBB40_2066
; %bb.2055:
	global_load_ubyte v7, v[16:17], off
	s_movk_i32 s16, 0x7f
                                        ; implicit-def: $sgpr22
	s_waitcnt vmcnt(0)
	v_cmp_lt_i16_e32 vcc, s16, v7
	s_mov_b64 s[16:17], 0
	s_and_saveexec_b64 s[18:19], vcc
	s_xor_b64 s[18:19], exec, s[18:19]
	s_cbranch_execz .LBB40_2078
; %bb.2056:
	s_movk_i32 s16, 0x80
	v_cmp_eq_u16_e32 vcc, s16, v7
	s_mov_b64 s[16:17], -1
                                        ; implicit-def: $sgpr22
	s_and_saveexec_b64 s[20:21], vcc
; %bb.2057:
	s_mov_b32 s22, 0x7f800001
	s_xor_b64 s[16:17], exec, -1
; %bb.2058:
	s_or_b64 exec, exec, s[20:21]
	s_and_b64 s[16:17], s[16:17], exec
	s_or_saveexec_b64 s[18:19], s[18:19]
	v_mov_b32_e32 v18, s22
	s_xor_b64 exec, exec, s[18:19]
	s_cbranch_execnz .LBB40_2079
.LBB40_2059:
	s_or_b64 exec, exec, s[18:19]
	s_and_saveexec_b64 s[18:19], s[16:17]
	s_cbranch_execz .LBB40_2061
.LBB40_2060:
	v_lshlrev_b32_e32 v9, 24, v7
	v_and_b32_e32 v7, 0xffff, v7
	v_and_b32_e32 v11, 3, v7
	v_ffbh_u32_e32 v15, v11
	v_min_u32_e32 v15, 32, v15
	v_subrev_u32_e32 v18, 29, v15
	v_bfe_u32 v13, v7, 2, 5
	v_lshlrev_b32_e32 v7, v18, v7
	v_sub_u32_e32 v15, 30, v15
	v_and_b32_e32 v7, 3, v7
	v_cmp_eq_u32_e32 vcc, 0, v13
	v_cndmask_b32_e32 v13, v13, v15, vcc
	v_cndmask_b32_e32 v7, v11, v7, vcc
	v_mov_b32_e32 v11, 0x37800000
	v_lshlrev_b32_e32 v7, 21, v7
	v_and_b32_e32 v9, 0x80000000, v9
	v_lshl_add_u32 v11, v13, 23, v11
	v_or3_b32 v18, v9, v11, v7
.LBB40_2061:
	s_or_b64 exec, exec, s[18:19]
	s_mov_b64 s[16:17], 0
	s_branch .LBB40_2067
.LBB40_2062:
	s_mov_b64 s[16:17], -1
                                        ; implicit-def: $vgpr18
	s_branch .LBB40_2073
.LBB40_2063:
	s_or_saveexec_b64 s[20:21], s[20:21]
	v_mov_b32_e32 v18, s27
	s_xor_b64 exec, exec, s[20:21]
	s_cbranch_execz .LBB40_2046
.LBB40_2064:
	v_cmp_ne_u16_e32 vcc, 0, v7
	s_andn2_b64 s[18:19], s[18:19], exec
	s_and_b64 s[22:23], vcc, exec
	v_mov_b32_e32 v18, 0
	s_or_b64 s[18:19], s[18:19], s[22:23]
	s_or_b64 exec, exec, s[20:21]
	s_and_saveexec_b64 s[20:21], s[18:19]
	s_cbranch_execnz .LBB40_2047
	s_branch .LBB40_2048
.LBB40_2065:
	s_mov_b64 s[16:17], -1
                                        ; implicit-def: $vgpr18
	s_branch .LBB40_2070
.LBB40_2066:
	s_mov_b64 s[16:17], -1
                                        ; implicit-def: $vgpr18
.LBB40_2067:
	s_and_b64 vcc, exec, s[16:17]
	s_cbranch_vccz .LBB40_2069
; %bb.2068:
	global_load_ubyte v7, v[16:17], off
	s_mov_b32 s16, 0x7f800000
	s_waitcnt vmcnt(0)
	v_lshlrev_b32_e32 v7, 24, v7
	v_and_b32_e32 v9, 0x7f000000, v7
	v_ffbh_u32_e32 v11, v9
	v_min_u32_e32 v11, 32, v11
	v_sub_u32_e64 v11, v11, 4 clamp
	v_lshlrev_b32_e32 v15, v11, v9
	v_lshlrev_b32_e32 v11, 23, v11
	v_lshrrev_b32_e32 v15, 4, v15
	v_add_u32_e32 v13, 0x1000000, v9
	v_sub_u32_e32 v11, v15, v11
	v_ashrrev_i32_e32 v13, 8, v13
	v_add_u32_e32 v11, 0x3c000000, v11
	v_and_or_b32 v11, v13, s16, v11
	v_cmp_ne_u32_e32 vcc, 0, v9
	v_cndmask_b32_e32 v9, 0, v11, vcc
	s_brev_b32 s16, 1
	v_and_or_b32 v18, v7, s16, v9
.LBB40_2069:
	s_mov_b64 s[16:17], 0
.LBB40_2070:
	s_andn2_b64 vcc, exec, s[16:17]
	s_cbranch_vccnz .LBB40_2072
; %bb.2071:
	global_load_ubyte v7, v[16:17], off
	s_movk_i32 s16, 0x7f00
	s_brev_b32 s17, 16
	s_waitcnt vmcnt(0)
	v_lshlrev_b16_e32 v9, 8, v7
	v_lshlrev_b32_e32 v7, 25, v7
	v_lshrrev_b32_e32 v11, 4, v7
	v_and_or_b32 v13, v9, s16, 0.5
	v_or_b32_e32 v11, 0x70000000, v11
	v_add_f32_e32 v13, -0.5, v13
	v_mul_f32_e32 v11, 0x7800000, v11
	v_cmp_gt_u32_e32 vcc, s17, v7
	v_bfe_i32 v9, v9, 0, 16
	v_cndmask_b32_e32 v7, v11, v13, vcc
	s_brev_b32 s16, 1
	v_and_or_b32 v18, v9, s16, v7
.LBB40_2072:
	s_mov_b64 s[16:17], 0
	s_mov_b64 s[18:19], -1
.LBB40_2073:
	s_andn2_b64 vcc, exec, s[16:17]
	s_mov_b64 s[16:17], 0
	s_cbranch_vccnz .LBB40_2084
; %bb.2074:
	v_cmp_gt_i16_e64 s[16:17], s26, 14
	s_and_b64 vcc, exec, s[16:17]
	s_cbranch_vccz .LBB40_2077
; %bb.2075:
	v_cmp_eq_u16_e64 s[6:7], s26, 15
	s_and_b64 vcc, exec, s[6:7]
	s_cbranch_vccz .LBB40_2080
; %bb.2076:
	global_load_ushort v7, v[16:17], off
	s_mov_b64 s[6:7], 0
	s_mov_b64 s[18:19], -1
	s_waitcnt vmcnt(0)
	v_lshlrev_b32_e32 v18, 16, v7
	s_branch .LBB40_2081
.LBB40_2077:
	s_mov_b64 s[20:21], -1
                                        ; implicit-def: $vgpr18
	s_branch .LBB40_2082
.LBB40_2078:
	s_or_saveexec_b64 s[18:19], s[18:19]
	v_mov_b32_e32 v18, s22
	s_xor_b64 exec, exec, s[18:19]
	s_cbranch_execz .LBB40_2059
.LBB40_2079:
	v_cmp_ne_u16_e32 vcc, 0, v7
	s_andn2_b64 s[16:17], s[16:17], exec
	s_and_b64 s[20:21], vcc, exec
	v_mov_b32_e32 v18, 0
	s_or_b64 s[16:17], s[16:17], s[20:21]
	s_or_b64 exec, exec, s[18:19]
	s_and_saveexec_b64 s[18:19], s[16:17]
	s_cbranch_execnz .LBB40_2060
	s_branch .LBB40_2061
.LBB40_2080:
	s_mov_b64 s[6:7], -1
                                        ; implicit-def: $vgpr18
.LBB40_2081:
	s_mov_b64 s[20:21], 0
.LBB40_2082:
	s_mov_b64 s[16:17], 0
	s_and_b64 vcc, exec, s[20:21]
	s_cbranch_vccz .LBB40_2084
; %bb.2083:
	v_cmp_ne_u16_e64 s[6:7], s26, 11
	s_mov_b64 s[16:17], -1
                                        ; implicit-def: $vgpr18
.LBB40_2084:
	s_and_b64 vcc, exec, s[6:7]
	s_cbranch_vccnz .LBB40_2149
; %bb.2085:
	s_andn2_b64 vcc, exec, s[16:17]
	s_cbranch_vccnz .LBB40_2087
.LBB40_2086:
	global_load_ubyte v7, v[16:17], off
	s_mov_b64 s[18:19], -1
	s_waitcnt vmcnt(0)
	v_cmp_ne_u16_e32 vcc, 0, v7
	v_cndmask_b32_e64 v18, 0, 1.0, vcc
.LBB40_2087:
	s_mov_b64 s[6:7], 0
.LBB40_2088:
	s_and_b64 vcc, exec, s[6:7]
	s_cbranch_vccz .LBB40_2137
; %bb.2089:
	v_cmp_lt_i16_e64 s[6:7], s26, 5
	s_and_b64 vcc, exec, s[6:7]
	s_cbranch_vccnz .LBB40_2094
; %bb.2090:
	v_cmp_lt_i16_e64 s[6:7], s26, 8
	s_and_b64 vcc, exec, s[6:7]
	s_cbranch_vccnz .LBB40_2095
	;; [unrolled: 4-line block ×3, first 2 shown]
; %bb.2092:
	v_cmp_gt_i16_e64 s[6:7], s26, 9
	s_and_b64 vcc, exec, s[6:7]
	s_cbranch_vccz .LBB40_2097
; %bb.2093:
	global_load_dwordx2 v[18:19], v[16:17], off
	s_mov_b64 s[6:7], 0
	s_waitcnt vmcnt(0)
	v_cvt_f32_f64_e32 v18, v[18:19]
	s_branch .LBB40_2098
.LBB40_2094:
	s_mov_b64 s[6:7], -1
                                        ; implicit-def: $vgpr18
	s_branch .LBB40_2116
.LBB40_2095:
	s_mov_b64 s[6:7], -1
                                        ; implicit-def: $vgpr18
	s_branch .LBB40_2104
.LBB40_2096:
	s_mov_b64 s[6:7], -1
                                        ; implicit-def: $vgpr18
	s_branch .LBB40_2101
.LBB40_2097:
	s_mov_b64 s[6:7], -1
                                        ; implicit-def: $vgpr18
.LBB40_2098:
	s_andn2_b64 vcc, exec, s[6:7]
	s_cbranch_vccnz .LBB40_2100
; %bb.2099:
	global_load_dword v18, v[16:17], off
.LBB40_2100:
	s_mov_b64 s[6:7], 0
.LBB40_2101:
	s_andn2_b64 vcc, exec, s[6:7]
	s_cbranch_vccnz .LBB40_2103
; %bb.2102:
	global_load_dword v7, v[16:17], off
	s_waitcnt vmcnt(0)
	v_cvt_f32_f16_e32 v18, v7
.LBB40_2103:
	s_mov_b64 s[6:7], 0
.LBB40_2104:
	s_andn2_b64 vcc, exec, s[6:7]
	s_cbranch_vccnz .LBB40_2115
; %bb.2105:
	v_cmp_lt_i16_e64 s[6:7], s26, 6
	s_and_b64 vcc, exec, s[6:7]
	s_cbranch_vccnz .LBB40_2108
; %bb.2106:
	v_cmp_gt_i16_e64 s[6:7], s26, 6
	s_and_b64 vcc, exec, s[6:7]
	s_cbranch_vccz .LBB40_2109
; %bb.2107:
	global_load_dwordx2 v[18:19], v[16:17], off
	s_mov_b64 s[6:7], 0
	s_waitcnt vmcnt(0)
	v_cvt_f32_f64_e32 v18, v[18:19]
	s_branch .LBB40_2110
.LBB40_2108:
	s_mov_b64 s[6:7], -1
                                        ; implicit-def: $vgpr18
	s_branch .LBB40_2113
.LBB40_2109:
	s_mov_b64 s[6:7], -1
                                        ; implicit-def: $vgpr18
.LBB40_2110:
	s_andn2_b64 vcc, exec, s[6:7]
	s_cbranch_vccnz .LBB40_2112
; %bb.2111:
	global_load_dword v18, v[16:17], off
.LBB40_2112:
	s_mov_b64 s[6:7], 0
.LBB40_2113:
	s_andn2_b64 vcc, exec, s[6:7]
	s_cbranch_vccnz .LBB40_2115
; %bb.2114:
	global_load_ushort v7, v[16:17], off
	s_waitcnt vmcnt(0)
	v_cvt_f32_f16_e32 v18, v7
.LBB40_2115:
	s_mov_b64 s[6:7], 0
.LBB40_2116:
	s_andn2_b64 vcc, exec, s[6:7]
	s_cbranch_vccnz .LBB40_2136
; %bb.2117:
	v_cmp_lt_i16_e64 s[6:7], s26, 2
	s_and_b64 vcc, exec, s[6:7]
	s_cbranch_vccnz .LBB40_2121
; %bb.2118:
	v_cmp_lt_i16_e64 s[6:7], s26, 3
	s_and_b64 vcc, exec, s[6:7]
	s_cbranch_vccnz .LBB40_2122
; %bb.2119:
	v_cmp_gt_i16_e64 s[6:7], s26, 3
	s_and_b64 vcc, exec, s[6:7]
	s_cbranch_vccz .LBB40_2123
; %bb.2120:
	global_load_dwordx2 v[18:19], v[16:17], off
	s_mov_b64 s[6:7], 0
	s_waitcnt vmcnt(0)
	v_xor_b32_e32 v9, v18, v19
	v_ffbh_i32_e32 v7, v19
	v_ashrrev_i32_e32 v9, 31, v9
	v_add_u32_e32 v7, -1, v7
	v_add_u32_e32 v9, 32, v9
	v_min_u32_e32 v7, v7, v9
	v_lshlrev_b64 v[18:19], v7, v[18:19]
	v_min_u32_e32 v9, 1, v18
	v_or_b32_e32 v9, v19, v9
	v_cvt_f32_i32_e32 v9, v9
	v_sub_u32_e32 v7, 32, v7
	v_ldexp_f32 v18, v9, v7
	s_branch .LBB40_2124
.LBB40_2121:
	s_mov_b64 s[6:7], -1
                                        ; implicit-def: $vgpr18
	s_branch .LBB40_2130
.LBB40_2122:
	s_mov_b64 s[6:7], -1
                                        ; implicit-def: $vgpr18
	s_branch .LBB40_2127
.LBB40_2123:
	s_mov_b64 s[6:7], -1
                                        ; implicit-def: $vgpr18
.LBB40_2124:
	s_andn2_b64 vcc, exec, s[6:7]
	s_cbranch_vccnz .LBB40_2126
; %bb.2125:
	global_load_dword v7, v[16:17], off
	s_waitcnt vmcnt(0)
	v_cvt_f32_i32_e32 v18, v7
.LBB40_2126:
	s_mov_b64 s[6:7], 0
.LBB40_2127:
	s_andn2_b64 vcc, exec, s[6:7]
	s_cbranch_vccnz .LBB40_2129
; %bb.2128:
	global_load_sshort v7, v[16:17], off
	s_waitcnt vmcnt(0)
	v_cvt_f32_i32_e32 v18, v7
.LBB40_2129:
	s_mov_b64 s[6:7], 0
.LBB40_2130:
	s_andn2_b64 vcc, exec, s[6:7]
	s_cbranch_vccnz .LBB40_2136
; %bb.2131:
	v_cmp_gt_i16_e64 s[6:7], s26, 0
	s_and_b64 vcc, exec, s[6:7]
	s_cbranch_vccz .LBB40_2133
; %bb.2132:
	global_load_sbyte v7, v[16:17], off
	s_mov_b64 s[6:7], 0
	s_waitcnt vmcnt(0)
	v_cvt_f32_i32_e32 v18, v7
	s_branch .LBB40_2134
.LBB40_2133:
	s_mov_b64 s[6:7], -1
                                        ; implicit-def: $vgpr18
.LBB40_2134:
	s_andn2_b64 vcc, exec, s[6:7]
	s_cbranch_vccnz .LBB40_2136
; %bb.2135:
	global_load_ubyte v7, v[16:17], off
	s_waitcnt vmcnt(0)
	v_cvt_f32_ubyte0_e32 v18, v7
.LBB40_2136:
	s_mov_b64 s[18:19], -1
.LBB40_2137:
	s_andn2_b64 vcc, exec, s[18:19]
	s_cbranch_vccnz .LBB40_3113
; %bb.2138:
	v_mov_b32_e32 v7, s11
	v_add_co_u32_e32 v14, vcc, s10, v14
	v_addc_co_u32_e32 v15, vcc, 0, v7, vcc
	v_mov_b32_e32 v7, 11
	v_cmp_lt_i16_sdwa s[6:7], s25, v7 src0_sel:BYTE_0 src1_sel:DWORD
	s_and_b64 vcc, exec, s[6:7]
	s_cbranch_vccnz .LBB40_2145
; %bb.2139:
	v_mov_b32_e32 v7, 25
	v_cmp_gt_i16_sdwa s[6:7], s25, v7 src0_sel:BYTE_0 src1_sel:DWORD
	s_mov_b64 s[16:17], 0
	s_and_b64 vcc, exec, s[6:7]
	s_cbranch_vccz .LBB40_2146
; %bb.2140:
	v_mov_b32_e32 v7, 28
	v_cmp_gt_i16_sdwa s[6:7], s25, v7 src0_sel:BYTE_0 src1_sel:DWORD
	s_and_b64 vcc, exec, s[6:7]
	s_cbranch_vccz .LBB40_2147
; %bb.2141:
	v_mov_b32_e32 v7, 43
	v_cmp_gt_i16_sdwa s[6:7], s25, v7 src0_sel:BYTE_0 src1_sel:DWORD
	;; [unrolled: 5-line block ×3, first 2 shown]
	s_and_b64 vcc, exec, s[6:7]
	s_cbranch_vccz .LBB40_2150
; %bb.2143:
	v_mov_b32_e32 v7, 46
	v_cmp_eq_u16_sdwa s[6:7], s25, v7 src0_sel:BYTE_0 src1_sel:DWORD
	s_mov_b64 s[20:21], 0
	s_and_b64 vcc, exec, s[6:7]
	s_cbranch_vccz .LBB40_2151
; %bb.2144:
	global_load_dword v7, v[14:15], off
	s_mov_b64 s[6:7], 0
	s_mov_b64 s[18:19], -1
	s_waitcnt vmcnt(0)
	v_lshlrev_b32_e32 v16, 16, v7
	s_branch .LBB40_2152
.LBB40_2145:
	s_mov_b64 s[6:7], -1
	s_mov_b64 s[18:19], 0
                                        ; implicit-def: $vgpr16
	s_branch .LBB40_2218
.LBB40_2146:
	s_mov_b64 s[20:21], -1
	s_mov_b64 s[18:19], 0
	s_mov_b64 s[6:7], 0
                                        ; implicit-def: $vgpr16
	s_branch .LBB40_2181
.LBB40_2147:
	s_mov_b64 s[20:21], -1
	s_mov_b64 s[18:19], 0
	s_mov_b64 s[6:7], 0
                                        ; implicit-def: $vgpr16
	s_branch .LBB40_2162
.LBB40_2148:
	s_mov_b64 s[20:21], -1
	s_mov_b64 s[18:19], 0
	s_mov_b64 s[6:7], 0
                                        ; implicit-def: $vgpr16
	s_branch .LBB40_2157
.LBB40_2149:
	s_trap 2
	s_or_b64 s[4:5], s[4:5], exec
                                        ; implicit-def: $vgpr18
	s_cbranch_execz .LBB40_2086
	s_branch .LBB40_2087
.LBB40_2150:
	s_mov_b64 s[20:21], -1
	s_mov_b64 s[18:19], 0
	s_mov_b64 s[6:7], 0
                                        ; implicit-def: $vgpr16
	s_branch .LBB40_2152
.LBB40_2151:
	s_mov_b64 s[6:7], -1
                                        ; implicit-def: $vgpr16
	s_mov_b64 s[18:19], 0
.LBB40_2152:
	s_and_b64 vcc, exec, s[20:21]
	s_cbranch_vccz .LBB40_2156
; %bb.2153:
	v_mov_b32_e32 v7, 44
	v_cmp_eq_u16_sdwa s[6:7], s25, v7 src0_sel:BYTE_0 src1_sel:DWORD
	s_and_b64 vcc, exec, s[6:7]
	s_cbranch_vccz .LBB40_2155
; %bb.2154:
	global_load_ubyte v7, v[14:15], off
	s_movk_i32 s18, 0xff
	v_mov_b32_e32 v9, 0x7f800001
	v_mov_b32_e32 v11, 0x400000
	s_mov_b64 s[6:7], 0
	s_waitcnt vmcnt(0)
	v_lshlrev_b32_e32 v13, 23, v7
	v_cmp_ne_u32_e32 vcc, s18, v7
	v_cndmask_b32_e32 v9, v9, v13, vcc
	v_cmp_ne_u32_e32 vcc, 0, v7
	v_cndmask_b32_e32 v16, v11, v9, vcc
	s_mov_b64 s[18:19], -1
	s_branch .LBB40_2156
.LBB40_2155:
	s_mov_b64 s[6:7], -1
                                        ; implicit-def: $vgpr16
.LBB40_2156:
	s_mov_b64 s[20:21], 0
.LBB40_2157:
	s_and_b64 vcc, exec, s[20:21]
	s_cbranch_vccz .LBB40_2161
; %bb.2158:
	v_mov_b32_e32 v7, 29
	v_cmp_eq_u16_sdwa s[6:7], s25, v7 src0_sel:BYTE_0 src1_sel:DWORD
	s_and_b64 vcc, exec, s[6:7]
	s_cbranch_vccz .LBB40_2160
; %bb.2159:
	global_load_dwordx2 v[16:17], v[14:15], off
	s_mov_b64 s[6:7], 0
	s_mov_b64 s[18:19], -1
	s_mov_b64 s[20:21], 0
	s_waitcnt vmcnt(0)
	v_ffbh_u32_e32 v7, v17
	v_min_u32_e32 v7, 32, v7
	v_lshlrev_b64 v[16:17], v7, v[16:17]
	v_min_u32_e32 v9, 1, v16
	v_or_b32_e32 v9, v17, v9
	v_cvt_f32_u32_e32 v9, v9
	v_sub_u32_e32 v7, 32, v7
	v_ldexp_f32 v16, v9, v7
	s_branch .LBB40_2162
.LBB40_2160:
	s_mov_b64 s[6:7], -1
                                        ; implicit-def: $vgpr16
.LBB40_2161:
	s_mov_b64 s[20:21], 0
.LBB40_2162:
	s_and_b64 vcc, exec, s[20:21]
	s_cbranch_vccz .LBB40_2180
; %bb.2163:
	v_mov_b32_e32 v7, 27
	v_cmp_lt_i16_sdwa s[18:19], s25, v7 src0_sel:BYTE_0 src1_sel:DWORD
	s_and_b64 vcc, exec, s[18:19]
	s_cbranch_vccnz .LBB40_2166
; %bb.2164:
	v_cmp_gt_i16_sdwa s[18:19], s25, v7 src0_sel:BYTE_0 src1_sel:DWORD
	s_and_b64 vcc, exec, s[18:19]
	s_cbranch_vccz .LBB40_2167
; %bb.2165:
	global_load_dword v7, v[14:15], off
	s_mov_b64 s[18:19], 0
	s_waitcnt vmcnt(0)
	v_cvt_f32_u32_e32 v16, v7
	s_branch .LBB40_2168
.LBB40_2166:
	s_mov_b64 s[18:19], -1
                                        ; implicit-def: $vgpr16
	s_branch .LBB40_2171
.LBB40_2167:
	s_mov_b64 s[18:19], -1
                                        ; implicit-def: $vgpr16
.LBB40_2168:
	s_andn2_b64 vcc, exec, s[18:19]
	s_cbranch_vccnz .LBB40_2170
; %bb.2169:
	global_load_ushort v7, v[14:15], off
	s_waitcnt vmcnt(0)
	v_cvt_f32_u32_e32 v16, v7
.LBB40_2170:
	s_mov_b64 s[18:19], 0
.LBB40_2171:
	s_andn2_b64 vcc, exec, s[18:19]
	s_cbranch_vccnz .LBB40_2179
; %bb.2172:
	global_load_ubyte v7, v[14:15], off
	s_movk_i32 s18, 0x7f
                                        ; implicit-def: $sgpr27
	s_waitcnt vmcnt(0)
	v_cmp_lt_i16_e32 vcc, s18, v7
	s_mov_b64 s[18:19], 0
	s_and_saveexec_b64 s[20:21], vcc
	s_xor_b64 s[20:21], exec, s[20:21]
	s_cbranch_execz .LBB40_2193
; %bb.2173:
	s_movk_i32 s18, 0x80
	v_cmp_eq_u16_e32 vcc, s18, v7
	s_mov_b64 s[18:19], -1
                                        ; implicit-def: $sgpr27
	s_and_saveexec_b64 s[22:23], vcc
; %bb.2174:
	s_mov_b32 s27, 0x7f800001
	s_xor_b64 s[18:19], exec, -1
; %bb.2175:
	s_or_b64 exec, exec, s[22:23]
	s_and_b64 s[18:19], s[18:19], exec
	s_or_saveexec_b64 s[20:21], s[20:21]
	v_mov_b32_e32 v16, s27
	s_xor_b64 exec, exec, s[20:21]
	s_cbranch_execnz .LBB40_2194
.LBB40_2176:
	s_or_b64 exec, exec, s[20:21]
	s_and_saveexec_b64 s[20:21], s[18:19]
	s_cbranch_execz .LBB40_2178
.LBB40_2177:
	v_lshlrev_b32_e32 v9, 24, v7
	v_and_b32_e32 v7, 0xffff, v7
	v_and_b32_e32 v11, 7, v7
	v_ffbh_u32_e32 v16, v11
	v_min_u32_e32 v16, 32, v16
	v_subrev_u32_e32 v17, 28, v16
	v_bfe_u32 v13, v7, 3, 4
	v_lshlrev_b32_e32 v7, v17, v7
	v_sub_u32_e32 v16, 29, v16
	v_and_b32_e32 v7, 7, v7
	v_cmp_eq_u32_e32 vcc, 0, v13
	v_cndmask_b32_e32 v13, v13, v16, vcc
	v_cndmask_b32_e32 v7, v11, v7, vcc
	v_mov_b32_e32 v11, 0x3b800000
	v_lshlrev_b32_e32 v7, 20, v7
	v_and_b32_e32 v9, 0x80000000, v9
	v_lshl_add_u32 v11, v13, 23, v11
	v_or3_b32 v16, v9, v11, v7
.LBB40_2178:
	s_or_b64 exec, exec, s[20:21]
.LBB40_2179:
	s_mov_b64 s[18:19], -1
.LBB40_2180:
	s_mov_b64 s[20:21], 0
.LBB40_2181:
	s_and_b64 vcc, exec, s[20:21]
	s_cbranch_vccz .LBB40_2214
; %bb.2182:
	v_mov_b32_e32 v7, 22
	v_cmp_gt_i16_sdwa s[16:17], s25, v7 src0_sel:BYTE_0 src1_sel:DWORD
	s_and_b64 vcc, exec, s[16:17]
	s_cbranch_vccz .LBB40_2192
; %bb.2183:
	v_mov_b32_e32 v7, 24
	v_cmp_lt_i16_sdwa s[16:17], s25, v7 src0_sel:BYTE_0 src1_sel:DWORD
	s_and_b64 vcc, exec, s[16:17]
	s_cbranch_vccnz .LBB40_2195
; %bb.2184:
	v_cmp_gt_i16_sdwa s[16:17], s25, v7 src0_sel:BYTE_0 src1_sel:DWORD
	s_and_b64 vcc, exec, s[16:17]
	s_cbranch_vccz .LBB40_2196
; %bb.2185:
	global_load_ubyte v7, v[14:15], off
	s_movk_i32 s16, 0x7f
                                        ; implicit-def: $sgpr22
	s_waitcnt vmcnt(0)
	v_cmp_lt_i16_e32 vcc, s16, v7
	s_mov_b64 s[16:17], 0
	s_and_saveexec_b64 s[18:19], vcc
	s_xor_b64 s[18:19], exec, s[18:19]
	s_cbranch_execz .LBB40_2208
; %bb.2186:
	s_movk_i32 s16, 0x80
	v_cmp_eq_u16_e32 vcc, s16, v7
	s_mov_b64 s[16:17], -1
                                        ; implicit-def: $sgpr22
	s_and_saveexec_b64 s[20:21], vcc
; %bb.2187:
	s_mov_b32 s22, 0x7f800001
	s_xor_b64 s[16:17], exec, -1
; %bb.2188:
	s_or_b64 exec, exec, s[20:21]
	s_and_b64 s[16:17], s[16:17], exec
	s_or_saveexec_b64 s[18:19], s[18:19]
	v_mov_b32_e32 v16, s22
	s_xor_b64 exec, exec, s[18:19]
	s_cbranch_execnz .LBB40_2209
.LBB40_2189:
	s_or_b64 exec, exec, s[18:19]
	s_and_saveexec_b64 s[18:19], s[16:17]
	s_cbranch_execz .LBB40_2191
.LBB40_2190:
	v_lshlrev_b32_e32 v9, 24, v7
	v_and_b32_e32 v7, 0xffff, v7
	v_and_b32_e32 v11, 3, v7
	v_ffbh_u32_e32 v16, v11
	v_min_u32_e32 v16, 32, v16
	v_subrev_u32_e32 v17, 29, v16
	v_bfe_u32 v13, v7, 2, 5
	v_lshlrev_b32_e32 v7, v17, v7
	v_sub_u32_e32 v16, 30, v16
	v_and_b32_e32 v7, 3, v7
	v_cmp_eq_u32_e32 vcc, 0, v13
	v_cndmask_b32_e32 v13, v13, v16, vcc
	v_cndmask_b32_e32 v7, v11, v7, vcc
	v_mov_b32_e32 v11, 0x37800000
	v_lshlrev_b32_e32 v7, 21, v7
	v_and_b32_e32 v9, 0x80000000, v9
	v_lshl_add_u32 v11, v13, 23, v11
	v_or3_b32 v16, v9, v11, v7
.LBB40_2191:
	s_or_b64 exec, exec, s[18:19]
	s_mov_b64 s[16:17], 0
	s_branch .LBB40_2197
.LBB40_2192:
	s_mov_b64 s[16:17], -1
                                        ; implicit-def: $vgpr16
	s_branch .LBB40_2203
.LBB40_2193:
	s_or_saveexec_b64 s[20:21], s[20:21]
	v_mov_b32_e32 v16, s27
	s_xor_b64 exec, exec, s[20:21]
	s_cbranch_execz .LBB40_2176
.LBB40_2194:
	v_cmp_ne_u16_e32 vcc, 0, v7
	s_andn2_b64 s[18:19], s[18:19], exec
	s_and_b64 s[22:23], vcc, exec
	v_mov_b32_e32 v16, 0
	s_or_b64 s[18:19], s[18:19], s[22:23]
	s_or_b64 exec, exec, s[20:21]
	s_and_saveexec_b64 s[20:21], s[18:19]
	s_cbranch_execnz .LBB40_2177
	s_branch .LBB40_2178
.LBB40_2195:
	s_mov_b64 s[16:17], -1
                                        ; implicit-def: $vgpr16
	s_branch .LBB40_2200
.LBB40_2196:
	s_mov_b64 s[16:17], -1
                                        ; implicit-def: $vgpr16
.LBB40_2197:
	s_and_b64 vcc, exec, s[16:17]
	s_cbranch_vccz .LBB40_2199
; %bb.2198:
	global_load_ubyte v7, v[14:15], off
	s_mov_b32 s16, 0x7f800000
	s_waitcnt vmcnt(0)
	v_lshlrev_b32_e32 v7, 24, v7
	v_and_b32_e32 v9, 0x7f000000, v7
	v_ffbh_u32_e32 v11, v9
	v_min_u32_e32 v11, 32, v11
	v_sub_u32_e64 v11, v11, 4 clamp
	v_lshlrev_b32_e32 v16, v11, v9
	v_lshlrev_b32_e32 v11, 23, v11
	v_lshrrev_b32_e32 v16, 4, v16
	v_add_u32_e32 v13, 0x1000000, v9
	v_sub_u32_e32 v11, v16, v11
	v_ashrrev_i32_e32 v13, 8, v13
	v_add_u32_e32 v11, 0x3c000000, v11
	v_and_or_b32 v11, v13, s16, v11
	v_cmp_ne_u32_e32 vcc, 0, v9
	v_cndmask_b32_e32 v9, 0, v11, vcc
	s_brev_b32 s16, 1
	v_and_or_b32 v16, v7, s16, v9
.LBB40_2199:
	s_mov_b64 s[16:17], 0
.LBB40_2200:
	s_andn2_b64 vcc, exec, s[16:17]
	s_cbranch_vccnz .LBB40_2202
; %bb.2201:
	global_load_ubyte v7, v[14:15], off
	s_movk_i32 s16, 0x7f00
	s_brev_b32 s17, 16
	s_waitcnt vmcnt(0)
	v_lshlrev_b16_e32 v9, 8, v7
	v_lshlrev_b32_e32 v7, 25, v7
	v_lshrrev_b32_e32 v11, 4, v7
	v_and_or_b32 v13, v9, s16, 0.5
	v_or_b32_e32 v11, 0x70000000, v11
	v_add_f32_e32 v13, -0.5, v13
	v_mul_f32_e32 v11, 0x7800000, v11
	v_cmp_gt_u32_e32 vcc, s17, v7
	v_bfe_i32 v9, v9, 0, 16
	v_cndmask_b32_e32 v7, v11, v13, vcc
	s_brev_b32 s16, 1
	v_and_or_b32 v16, v9, s16, v7
.LBB40_2202:
	s_mov_b64 s[16:17], 0
	s_mov_b64 s[18:19], -1
.LBB40_2203:
	s_andn2_b64 vcc, exec, s[16:17]
	s_mov_b64 s[16:17], 0
	s_cbranch_vccnz .LBB40_2214
; %bb.2204:
	v_mov_b32_e32 v7, 14
	v_cmp_gt_i16_sdwa s[16:17], s25, v7 src0_sel:BYTE_0 src1_sel:DWORD
	s_and_b64 vcc, exec, s[16:17]
	s_cbranch_vccz .LBB40_2207
; %bb.2205:
	v_mov_b32_e32 v7, 15
	v_cmp_eq_u16_sdwa s[6:7], s25, v7 src0_sel:BYTE_0 src1_sel:DWORD
	s_and_b64 vcc, exec, s[6:7]
	s_cbranch_vccz .LBB40_2210
; %bb.2206:
	global_load_ushort v7, v[14:15], off
	s_mov_b64 s[6:7], 0
	s_mov_b64 s[18:19], -1
	s_waitcnt vmcnt(0)
	v_lshlrev_b32_e32 v16, 16, v7
	s_branch .LBB40_2211
.LBB40_2207:
	s_mov_b64 s[20:21], -1
                                        ; implicit-def: $vgpr16
	s_branch .LBB40_2212
.LBB40_2208:
	s_or_saveexec_b64 s[18:19], s[18:19]
	v_mov_b32_e32 v16, s22
	s_xor_b64 exec, exec, s[18:19]
	s_cbranch_execz .LBB40_2189
.LBB40_2209:
	v_cmp_ne_u16_e32 vcc, 0, v7
	s_andn2_b64 s[16:17], s[16:17], exec
	s_and_b64 s[20:21], vcc, exec
	v_mov_b32_e32 v16, 0
	s_or_b64 s[16:17], s[16:17], s[20:21]
	s_or_b64 exec, exec, s[18:19]
	s_and_saveexec_b64 s[18:19], s[16:17]
	s_cbranch_execnz .LBB40_2190
	s_branch .LBB40_2191
.LBB40_2210:
	s_mov_b64 s[6:7], -1
                                        ; implicit-def: $vgpr16
.LBB40_2211:
	s_mov_b64 s[20:21], 0
.LBB40_2212:
	s_mov_b64 s[16:17], 0
	s_and_b64 vcc, exec, s[20:21]
	s_cbranch_vccz .LBB40_2214
; %bb.2213:
	v_mov_b32_e32 v7, 11
	v_cmp_ne_u16_sdwa s[6:7], s25, v7 src0_sel:BYTE_0 src1_sel:DWORD
	s_mov_b64 s[16:17], -1
                                        ; implicit-def: $vgpr16
.LBB40_2214:
	s_and_b64 vcc, exec, s[6:7]
	s_cbranch_vccnz .LBB40_2279
; %bb.2215:
	s_andn2_b64 vcc, exec, s[16:17]
	s_cbranch_vccnz .LBB40_2217
.LBB40_2216:
	global_load_ubyte v7, v[14:15], off
	s_mov_b64 s[18:19], -1
	s_waitcnt vmcnt(0)
	v_cmp_ne_u16_e32 vcc, 0, v7
	v_cndmask_b32_e64 v16, 0, 1.0, vcc
.LBB40_2217:
	s_mov_b64 s[6:7], 0
.LBB40_2218:
	s_and_b64 vcc, exec, s[6:7]
	s_cbranch_vccz .LBB40_2267
; %bb.2219:
	v_mov_b32_e32 v7, 5
	v_cmp_lt_i16_sdwa s[6:7], s25, v7 src0_sel:BYTE_0 src1_sel:DWORD
	s_and_b64 vcc, exec, s[6:7]
	s_cbranch_vccnz .LBB40_2224
; %bb.2220:
	v_mov_b32_e32 v7, 8
	v_cmp_lt_i16_sdwa s[6:7], s25, v7 src0_sel:BYTE_0 src1_sel:DWORD
	s_and_b64 vcc, exec, s[6:7]
	s_cbranch_vccnz .LBB40_2225
	;; [unrolled: 5-line block ×3, first 2 shown]
; %bb.2222:
	v_cmp_gt_i16_sdwa s[6:7], s25, v7 src0_sel:BYTE_0 src1_sel:DWORD
	s_and_b64 vcc, exec, s[6:7]
	s_cbranch_vccz .LBB40_2227
; %bb.2223:
	global_load_dwordx2 v[16:17], v[14:15], off
	s_mov_b64 s[6:7], 0
	s_waitcnt vmcnt(0)
	v_cvt_f32_f64_e32 v16, v[16:17]
	s_branch .LBB40_2228
.LBB40_2224:
	s_mov_b64 s[6:7], -1
                                        ; implicit-def: $vgpr16
	s_branch .LBB40_2246
.LBB40_2225:
	s_mov_b64 s[6:7], -1
                                        ; implicit-def: $vgpr16
	s_branch .LBB40_2234
.LBB40_2226:
	s_mov_b64 s[6:7], -1
                                        ; implicit-def: $vgpr16
	s_branch .LBB40_2231
.LBB40_2227:
	s_mov_b64 s[6:7], -1
                                        ; implicit-def: $vgpr16
.LBB40_2228:
	s_andn2_b64 vcc, exec, s[6:7]
	s_cbranch_vccnz .LBB40_2230
; %bb.2229:
	global_load_dword v16, v[14:15], off
.LBB40_2230:
	s_mov_b64 s[6:7], 0
.LBB40_2231:
	s_andn2_b64 vcc, exec, s[6:7]
	s_cbranch_vccnz .LBB40_2233
; %bb.2232:
	global_load_dword v7, v[14:15], off
	s_waitcnt vmcnt(0)
	v_cvt_f32_f16_e32 v16, v7
.LBB40_2233:
	s_mov_b64 s[6:7], 0
.LBB40_2234:
	s_andn2_b64 vcc, exec, s[6:7]
	s_cbranch_vccnz .LBB40_2245
; %bb.2235:
	v_mov_b32_e32 v7, 6
	v_cmp_lt_i16_sdwa s[6:7], s25, v7 src0_sel:BYTE_0 src1_sel:DWORD
	s_and_b64 vcc, exec, s[6:7]
	s_cbranch_vccnz .LBB40_2238
; %bb.2236:
	v_cmp_gt_i16_sdwa s[6:7], s25, v7 src0_sel:BYTE_0 src1_sel:DWORD
	s_and_b64 vcc, exec, s[6:7]
	s_cbranch_vccz .LBB40_2239
; %bb.2237:
	global_load_dwordx2 v[16:17], v[14:15], off
	s_mov_b64 s[6:7], 0
	s_waitcnt vmcnt(0)
	v_cvt_f32_f64_e32 v16, v[16:17]
	s_branch .LBB40_2240
.LBB40_2238:
	s_mov_b64 s[6:7], -1
                                        ; implicit-def: $vgpr16
	s_branch .LBB40_2243
.LBB40_2239:
	s_mov_b64 s[6:7], -1
                                        ; implicit-def: $vgpr16
.LBB40_2240:
	s_andn2_b64 vcc, exec, s[6:7]
	s_cbranch_vccnz .LBB40_2242
; %bb.2241:
	global_load_dword v16, v[14:15], off
.LBB40_2242:
	s_mov_b64 s[6:7], 0
.LBB40_2243:
	s_andn2_b64 vcc, exec, s[6:7]
	s_cbranch_vccnz .LBB40_2245
; %bb.2244:
	global_load_ushort v7, v[14:15], off
	s_waitcnt vmcnt(0)
	v_cvt_f32_f16_e32 v16, v7
.LBB40_2245:
	s_mov_b64 s[6:7], 0
.LBB40_2246:
	s_andn2_b64 vcc, exec, s[6:7]
	s_cbranch_vccnz .LBB40_2266
; %bb.2247:
	v_mov_b32_e32 v7, 2
	v_cmp_lt_i16_sdwa s[6:7], s25, v7 src0_sel:BYTE_0 src1_sel:DWORD
	s_and_b64 vcc, exec, s[6:7]
	s_cbranch_vccnz .LBB40_2251
; %bb.2248:
	v_mov_b32_e32 v7, 3
	v_cmp_lt_i16_sdwa s[6:7], s25, v7 src0_sel:BYTE_0 src1_sel:DWORD
	s_and_b64 vcc, exec, s[6:7]
	s_cbranch_vccnz .LBB40_2252
; %bb.2249:
	v_cmp_gt_i16_sdwa s[6:7], s25, v7 src0_sel:BYTE_0 src1_sel:DWORD
	s_and_b64 vcc, exec, s[6:7]
	s_cbranch_vccz .LBB40_2253
; %bb.2250:
	global_load_dwordx2 v[16:17], v[14:15], off
	s_mov_b64 s[6:7], 0
	s_waitcnt vmcnt(0)
	v_xor_b32_e32 v9, v16, v17
	v_ffbh_i32_e32 v7, v17
	v_ashrrev_i32_e32 v9, 31, v9
	v_add_u32_e32 v7, -1, v7
	v_add_u32_e32 v9, 32, v9
	v_min_u32_e32 v7, v7, v9
	v_lshlrev_b64 v[16:17], v7, v[16:17]
	v_min_u32_e32 v9, 1, v16
	v_or_b32_e32 v9, v17, v9
	v_cvt_f32_i32_e32 v9, v9
	v_sub_u32_e32 v7, 32, v7
	v_ldexp_f32 v16, v9, v7
	s_branch .LBB40_2254
.LBB40_2251:
	s_mov_b64 s[6:7], -1
                                        ; implicit-def: $vgpr16
	s_branch .LBB40_2260
.LBB40_2252:
	s_mov_b64 s[6:7], -1
                                        ; implicit-def: $vgpr16
	s_branch .LBB40_2257
.LBB40_2253:
	s_mov_b64 s[6:7], -1
                                        ; implicit-def: $vgpr16
.LBB40_2254:
	s_andn2_b64 vcc, exec, s[6:7]
	s_cbranch_vccnz .LBB40_2256
; %bb.2255:
	global_load_dword v7, v[14:15], off
	s_waitcnt vmcnt(0)
	v_cvt_f32_i32_e32 v16, v7
.LBB40_2256:
	s_mov_b64 s[6:7], 0
.LBB40_2257:
	s_andn2_b64 vcc, exec, s[6:7]
	s_cbranch_vccnz .LBB40_2259
; %bb.2258:
	global_load_sshort v7, v[14:15], off
	s_waitcnt vmcnt(0)
	v_cvt_f32_i32_e32 v16, v7
.LBB40_2259:
	s_mov_b64 s[6:7], 0
.LBB40_2260:
	s_andn2_b64 vcc, exec, s[6:7]
	s_cbranch_vccnz .LBB40_2266
; %bb.2261:
	v_mov_b32_e32 v7, 0
	v_cmp_gt_i16_sdwa s[6:7], s25, v7 src0_sel:BYTE_0 src1_sel:DWORD
	s_and_b64 vcc, exec, s[6:7]
	s_cbranch_vccz .LBB40_2263
; %bb.2262:
	global_load_sbyte v7, v[14:15], off
	s_mov_b64 s[6:7], 0
	s_waitcnt vmcnt(0)
	v_cvt_f32_i32_e32 v16, v7
	s_branch .LBB40_2264
.LBB40_2263:
	s_mov_b64 s[6:7], -1
                                        ; implicit-def: $vgpr16
.LBB40_2264:
	s_andn2_b64 vcc, exec, s[6:7]
	s_cbranch_vccnz .LBB40_2266
; %bb.2265:
	global_load_ubyte v7, v[14:15], off
	s_waitcnt vmcnt(0)
	v_cvt_f32_ubyte0_e32 v16, v7
.LBB40_2266:
	s_mov_b64 s[18:19], -1
.LBB40_2267:
	s_andn2_b64 vcc, exec, s[18:19]
	s_cbranch_vccnz .LBB40_3113
; %bb.2268:
	v_mov_b32_e32 v7, s1
	v_add_co_u32_e32 v12, vcc, s0, v12
	v_addc_co_u32_e32 v13, vcc, 0, v7, vcc
	s_and_b64 vcc, exec, s[2:3]
	s_cbranch_vccnz .LBB40_2275
; %bb.2269:
	v_cmp_gt_i16_e64 s[6:7], s26, 25
	s_mov_b64 s[16:17], 0
	s_and_b64 vcc, exec, s[6:7]
	s_cbranch_vccz .LBB40_2276
; %bb.2270:
	v_cmp_gt_i16_e64 s[6:7], s26, 28
	s_and_b64 vcc, exec, s[6:7]
	s_cbranch_vccz .LBB40_2277
; %bb.2271:
	v_cmp_gt_i16_e64 s[6:7], s26, 43
	;; [unrolled: 4-line block ×3, first 2 shown]
	s_and_b64 vcc, exec, s[6:7]
	s_cbranch_vccz .LBB40_2280
; %bb.2273:
	v_cmp_eq_u16_e64 s[6:7], s26, 46
	s_mov_b64 s[20:21], 0
	s_and_b64 vcc, exec, s[6:7]
	s_cbranch_vccz .LBB40_2283
; %bb.2274:
	global_load_dword v7, v[12:13], off
	s_mov_b64 s[6:7], 0
	s_mov_b64 s[18:19], -1
	s_waitcnt vmcnt(0)
	v_lshlrev_b32_e32 v14, 16, v7
	s_branch .LBB40_2284
.LBB40_2275:
	s_mov_b64 s[6:7], -1
	s_mov_b64 s[18:19], 0
                                        ; implicit-def: $vgpr14
	s_branch .LBB40_2350
.LBB40_2276:
	s_mov_b64 s[20:21], -1
	s_mov_b64 s[18:19], 0
	s_mov_b64 s[6:7], 0
                                        ; implicit-def: $vgpr14
	s_branch .LBB40_2313
.LBB40_2277:
	s_mov_b64 s[20:21], -1
	s_mov_b64 s[18:19], 0
	s_mov_b64 s[6:7], 0
                                        ; implicit-def: $vgpr14
	s_branch .LBB40_2294
.LBB40_2278:
	s_mov_b64 s[20:21], -1
	s_mov_b64 s[18:19], 0
	s_mov_b64 s[6:7], 0
                                        ; implicit-def: $vgpr14
	s_branch .LBB40_2289
.LBB40_2279:
	s_trap 2
	s_or_b64 s[4:5], s[4:5], exec
                                        ; implicit-def: $vgpr16
	s_cbranch_execz .LBB40_2216
	s_branch .LBB40_2217
.LBB40_2280:
	s_mov_b64 s[20:21], -1
	s_mov_b64 s[18:19], 0
	s_mov_b64 s[6:7], 0
                                        ; implicit-def: $vgpr14
	s_branch .LBB40_2284
.LBB40_2281:
	s_or_saveexec_b64 s[62:63], s[62:63]
                                        ; implicit-def: $sgpr64
	s_xor_b64 exec, exec, s[62:63]
	s_cbranch_execz .LBB40_1116
.LBB40_2282:
	s_mov_b32 s64, 0x42800000
	v_add_f32_e64 v3, |v2|, s64
	v_and_b32_e32 v3, 0xff, v3
	v_cmp_ne_u32_e32 vcc, 0, v3
	s_andn2_b64 s[60:61], s[60:61], exec
	s_and_b64 s[70:71], vcc, exec
	s_mov_b32 s64, 0
	s_or_b64 s[60:61], s[60:61], s[70:71]
	s_or_b64 exec, exec, s[62:63]
	v_mov_b32_e32 v4, s64
	s_and_saveexec_b64 s[62:63], s[60:61]
	s_cbranch_execnz .LBB40_1117
	s_branch .LBB40_1118
.LBB40_2283:
	s_mov_b64 s[6:7], -1
                                        ; implicit-def: $vgpr14
	s_mov_b64 s[18:19], 0
.LBB40_2284:
	s_and_b64 vcc, exec, s[20:21]
	s_cbranch_vccz .LBB40_2288
; %bb.2285:
	v_cmp_eq_u16_e64 s[6:7], s26, 44
	s_and_b64 vcc, exec, s[6:7]
	s_cbranch_vccz .LBB40_2287
; %bb.2286:
	global_load_ubyte v7, v[12:13], off
	s_movk_i32 s18, 0xff
	v_mov_b32_e32 v9, 0x7f800001
	v_mov_b32_e32 v11, 0x400000
	s_mov_b64 s[6:7], 0
	s_waitcnt vmcnt(0)
	v_lshlrev_b32_e32 v14, 23, v7
	v_cmp_ne_u32_e32 vcc, s18, v7
	v_cndmask_b32_e32 v9, v9, v14, vcc
	v_cmp_ne_u32_e32 vcc, 0, v7
	v_cndmask_b32_e32 v14, v11, v9, vcc
	s_mov_b64 s[18:19], -1
	s_branch .LBB40_2288
.LBB40_2287:
	s_mov_b64 s[6:7], -1
                                        ; implicit-def: $vgpr14
.LBB40_2288:
	s_mov_b64 s[20:21], 0
.LBB40_2289:
	s_and_b64 vcc, exec, s[20:21]
	s_cbranch_vccz .LBB40_2293
; %bb.2290:
	v_cmp_eq_u16_e64 s[6:7], s26, 29
	s_and_b64 vcc, exec, s[6:7]
	s_cbranch_vccz .LBB40_2292
; %bb.2291:
	global_load_dwordx2 v[14:15], v[12:13], off
	s_mov_b64 s[6:7], 0
	s_mov_b64 s[18:19], -1
	s_mov_b64 s[20:21], 0
	s_waitcnt vmcnt(0)
	v_ffbh_u32_e32 v7, v15
	v_min_u32_e32 v7, 32, v7
	v_lshlrev_b64 v[14:15], v7, v[14:15]
	v_min_u32_e32 v9, 1, v14
	v_or_b32_e32 v9, v15, v9
	v_cvt_f32_u32_e32 v9, v9
	v_sub_u32_e32 v7, 32, v7
	v_ldexp_f32 v14, v9, v7
	s_branch .LBB40_2294
.LBB40_2292:
	s_mov_b64 s[6:7], -1
                                        ; implicit-def: $vgpr14
.LBB40_2293:
	s_mov_b64 s[20:21], 0
.LBB40_2294:
	s_and_b64 vcc, exec, s[20:21]
	s_cbranch_vccz .LBB40_2312
; %bb.2295:
	v_cmp_lt_i16_e64 s[18:19], s26, 27
	s_and_b64 vcc, exec, s[18:19]
	s_cbranch_vccnz .LBB40_2298
; %bb.2296:
	v_cmp_gt_i16_e64 s[18:19], s26, 27
	s_and_b64 vcc, exec, s[18:19]
	s_cbranch_vccz .LBB40_2299
; %bb.2297:
	global_load_dword v7, v[12:13], off
	s_mov_b64 s[18:19], 0
	s_waitcnt vmcnt(0)
	v_cvt_f32_u32_e32 v14, v7
	s_branch .LBB40_2300
.LBB40_2298:
	s_mov_b64 s[18:19], -1
                                        ; implicit-def: $vgpr14
	s_branch .LBB40_2303
.LBB40_2299:
	s_mov_b64 s[18:19], -1
                                        ; implicit-def: $vgpr14
.LBB40_2300:
	s_andn2_b64 vcc, exec, s[18:19]
	s_cbranch_vccnz .LBB40_2302
; %bb.2301:
	global_load_ushort v7, v[12:13], off
	s_waitcnt vmcnt(0)
	v_cvt_f32_u32_e32 v14, v7
.LBB40_2302:
	s_mov_b64 s[18:19], 0
.LBB40_2303:
	s_andn2_b64 vcc, exec, s[18:19]
	s_cbranch_vccnz .LBB40_2311
; %bb.2304:
	global_load_ubyte v7, v[12:13], off
	s_movk_i32 s18, 0x7f
                                        ; implicit-def: $sgpr27
	s_waitcnt vmcnt(0)
	v_cmp_lt_i16_e32 vcc, s18, v7
	s_mov_b64 s[18:19], 0
	s_and_saveexec_b64 s[20:21], vcc
	s_xor_b64 s[20:21], exec, s[20:21]
	s_cbranch_execz .LBB40_2325
; %bb.2305:
	s_movk_i32 s18, 0x80
	v_cmp_eq_u16_e32 vcc, s18, v7
	s_mov_b64 s[18:19], -1
                                        ; implicit-def: $sgpr27
	s_and_saveexec_b64 s[22:23], vcc
; %bb.2306:
	s_mov_b32 s27, 0x7f800001
	s_xor_b64 s[18:19], exec, -1
; %bb.2307:
	s_or_b64 exec, exec, s[22:23]
	s_and_b64 s[18:19], s[18:19], exec
	s_or_saveexec_b64 s[20:21], s[20:21]
	v_mov_b32_e32 v14, s27
	s_xor_b64 exec, exec, s[20:21]
	s_cbranch_execnz .LBB40_2326
.LBB40_2308:
	s_or_b64 exec, exec, s[20:21]
	s_and_saveexec_b64 s[20:21], s[18:19]
	s_cbranch_execz .LBB40_2310
.LBB40_2309:
	v_lshlrev_b32_e32 v9, 24, v7
	v_and_b32_e32 v7, 0xffff, v7
	v_and_b32_e32 v11, 7, v7
	v_ffbh_u32_e32 v15, v11
	v_min_u32_e32 v15, 32, v15
	v_subrev_u32_e32 v17, 28, v15
	v_bfe_u32 v14, v7, 3, 4
	v_lshlrev_b32_e32 v7, v17, v7
	v_sub_u32_e32 v15, 29, v15
	v_and_b32_e32 v7, 7, v7
	v_cmp_eq_u32_e32 vcc, 0, v14
	v_cndmask_b32_e32 v14, v14, v15, vcc
	v_cndmask_b32_e32 v7, v11, v7, vcc
	v_mov_b32_e32 v11, 0x3b800000
	v_lshlrev_b32_e32 v7, 20, v7
	v_and_b32_e32 v9, 0x80000000, v9
	v_lshl_add_u32 v11, v14, 23, v11
	v_or3_b32 v14, v9, v11, v7
.LBB40_2310:
	s_or_b64 exec, exec, s[20:21]
.LBB40_2311:
	s_mov_b64 s[18:19], -1
.LBB40_2312:
	s_mov_b64 s[20:21], 0
.LBB40_2313:
	s_and_b64 vcc, exec, s[20:21]
	s_cbranch_vccz .LBB40_2346
; %bb.2314:
	v_cmp_gt_i16_e64 s[16:17], s26, 22
	s_and_b64 vcc, exec, s[16:17]
	s_cbranch_vccz .LBB40_2324
; %bb.2315:
	v_cmp_lt_i16_e64 s[16:17], s26, 24
	s_and_b64 vcc, exec, s[16:17]
	s_cbranch_vccnz .LBB40_2327
; %bb.2316:
	v_cmp_gt_i16_e64 s[16:17], s26, 24
	s_and_b64 vcc, exec, s[16:17]
	s_cbranch_vccz .LBB40_2328
; %bb.2317:
	global_load_ubyte v7, v[12:13], off
	s_movk_i32 s16, 0x7f
                                        ; implicit-def: $sgpr22
	s_waitcnt vmcnt(0)
	v_cmp_lt_i16_e32 vcc, s16, v7
	s_mov_b64 s[16:17], 0
	s_and_saveexec_b64 s[18:19], vcc
	s_xor_b64 s[18:19], exec, s[18:19]
	s_cbranch_execz .LBB40_2340
; %bb.2318:
	s_movk_i32 s16, 0x80
	v_cmp_eq_u16_e32 vcc, s16, v7
	s_mov_b64 s[16:17], -1
                                        ; implicit-def: $sgpr22
	s_and_saveexec_b64 s[20:21], vcc
; %bb.2319:
	s_mov_b32 s22, 0x7f800001
	s_xor_b64 s[16:17], exec, -1
; %bb.2320:
	s_or_b64 exec, exec, s[20:21]
	s_and_b64 s[16:17], s[16:17], exec
	s_or_saveexec_b64 s[18:19], s[18:19]
	v_mov_b32_e32 v14, s22
	s_xor_b64 exec, exec, s[18:19]
	s_cbranch_execnz .LBB40_2341
.LBB40_2321:
	s_or_b64 exec, exec, s[18:19]
	s_and_saveexec_b64 s[18:19], s[16:17]
	s_cbranch_execz .LBB40_2323
.LBB40_2322:
	v_lshlrev_b32_e32 v9, 24, v7
	v_and_b32_e32 v7, 0xffff, v7
	v_and_b32_e32 v11, 3, v7
	v_ffbh_u32_e32 v15, v11
	v_min_u32_e32 v15, 32, v15
	v_subrev_u32_e32 v17, 29, v15
	v_bfe_u32 v14, v7, 2, 5
	v_lshlrev_b32_e32 v7, v17, v7
	v_sub_u32_e32 v15, 30, v15
	v_and_b32_e32 v7, 3, v7
	v_cmp_eq_u32_e32 vcc, 0, v14
	v_cndmask_b32_e32 v14, v14, v15, vcc
	v_cndmask_b32_e32 v7, v11, v7, vcc
	v_mov_b32_e32 v11, 0x37800000
	v_lshlrev_b32_e32 v7, 21, v7
	v_and_b32_e32 v9, 0x80000000, v9
	v_lshl_add_u32 v11, v14, 23, v11
	v_or3_b32 v14, v9, v11, v7
.LBB40_2323:
	s_or_b64 exec, exec, s[18:19]
	s_mov_b64 s[16:17], 0
	s_branch .LBB40_2329
.LBB40_2324:
	s_mov_b64 s[16:17], -1
                                        ; implicit-def: $vgpr14
	s_branch .LBB40_2335
.LBB40_2325:
	s_or_saveexec_b64 s[20:21], s[20:21]
	v_mov_b32_e32 v14, s27
	s_xor_b64 exec, exec, s[20:21]
	s_cbranch_execz .LBB40_2308
.LBB40_2326:
	v_cmp_ne_u16_e32 vcc, 0, v7
	s_andn2_b64 s[18:19], s[18:19], exec
	s_and_b64 s[22:23], vcc, exec
	v_mov_b32_e32 v14, 0
	s_or_b64 s[18:19], s[18:19], s[22:23]
	s_or_b64 exec, exec, s[20:21]
	s_and_saveexec_b64 s[20:21], s[18:19]
	s_cbranch_execnz .LBB40_2309
	s_branch .LBB40_2310
.LBB40_2327:
	s_mov_b64 s[16:17], -1
                                        ; implicit-def: $vgpr14
	s_branch .LBB40_2332
.LBB40_2328:
	s_mov_b64 s[16:17], -1
                                        ; implicit-def: $vgpr14
.LBB40_2329:
	s_and_b64 vcc, exec, s[16:17]
	s_cbranch_vccz .LBB40_2331
; %bb.2330:
	global_load_ubyte v7, v[12:13], off
	s_mov_b32 s16, 0x7f800000
	s_waitcnt vmcnt(0)
	v_lshlrev_b32_e32 v7, 24, v7
	v_and_b32_e32 v9, 0x7f000000, v7
	v_ffbh_u32_e32 v11, v9
	v_min_u32_e32 v11, 32, v11
	v_sub_u32_e64 v11, v11, 4 clamp
	v_lshlrev_b32_e32 v15, v11, v9
	v_lshlrev_b32_e32 v11, 23, v11
	v_lshrrev_b32_e32 v15, 4, v15
	v_add_u32_e32 v14, 0x1000000, v9
	v_sub_u32_e32 v11, v15, v11
	v_ashrrev_i32_e32 v14, 8, v14
	v_add_u32_e32 v11, 0x3c000000, v11
	v_and_or_b32 v11, v14, s16, v11
	v_cmp_ne_u32_e32 vcc, 0, v9
	v_cndmask_b32_e32 v9, 0, v11, vcc
	s_brev_b32 s16, 1
	v_and_or_b32 v14, v7, s16, v9
.LBB40_2331:
	s_mov_b64 s[16:17], 0
.LBB40_2332:
	s_andn2_b64 vcc, exec, s[16:17]
	s_cbranch_vccnz .LBB40_2334
; %bb.2333:
	global_load_ubyte v7, v[12:13], off
	s_movk_i32 s16, 0x7f00
	s_brev_b32 s17, 16
	s_waitcnt vmcnt(0)
	v_lshlrev_b16_e32 v9, 8, v7
	v_lshlrev_b32_e32 v7, 25, v7
	v_lshrrev_b32_e32 v11, 4, v7
	v_and_or_b32 v14, v9, s16, 0.5
	v_or_b32_e32 v11, 0x70000000, v11
	v_add_f32_e32 v14, -0.5, v14
	v_mul_f32_e32 v11, 0x7800000, v11
	v_cmp_gt_u32_e32 vcc, s17, v7
	v_bfe_i32 v9, v9, 0, 16
	v_cndmask_b32_e32 v7, v11, v14, vcc
	s_brev_b32 s16, 1
	v_and_or_b32 v14, v9, s16, v7
.LBB40_2334:
	s_mov_b64 s[16:17], 0
	s_mov_b64 s[18:19], -1
.LBB40_2335:
	s_andn2_b64 vcc, exec, s[16:17]
	s_mov_b64 s[16:17], 0
	s_cbranch_vccnz .LBB40_2346
; %bb.2336:
	v_cmp_gt_i16_e64 s[16:17], s26, 14
	s_and_b64 vcc, exec, s[16:17]
	s_cbranch_vccz .LBB40_2339
; %bb.2337:
	v_cmp_eq_u16_e64 s[6:7], s26, 15
	s_and_b64 vcc, exec, s[6:7]
	s_cbranch_vccz .LBB40_2342
; %bb.2338:
	global_load_ushort v7, v[12:13], off
	s_mov_b64 s[6:7], 0
	s_mov_b64 s[18:19], -1
	s_waitcnt vmcnt(0)
	v_lshlrev_b32_e32 v14, 16, v7
	s_branch .LBB40_2343
.LBB40_2339:
	s_mov_b64 s[20:21], -1
                                        ; implicit-def: $vgpr14
	s_branch .LBB40_2344
.LBB40_2340:
	s_or_saveexec_b64 s[18:19], s[18:19]
	v_mov_b32_e32 v14, s22
	s_xor_b64 exec, exec, s[18:19]
	s_cbranch_execz .LBB40_2321
.LBB40_2341:
	v_cmp_ne_u16_e32 vcc, 0, v7
	s_andn2_b64 s[16:17], s[16:17], exec
	s_and_b64 s[20:21], vcc, exec
	v_mov_b32_e32 v14, 0
	s_or_b64 s[16:17], s[16:17], s[20:21]
	s_or_b64 exec, exec, s[18:19]
	s_and_saveexec_b64 s[18:19], s[16:17]
	s_cbranch_execnz .LBB40_2322
	s_branch .LBB40_2323
.LBB40_2342:
	s_mov_b64 s[6:7], -1
                                        ; implicit-def: $vgpr14
.LBB40_2343:
	s_mov_b64 s[20:21], 0
.LBB40_2344:
	s_mov_b64 s[16:17], 0
	s_and_b64 vcc, exec, s[20:21]
	s_cbranch_vccz .LBB40_2346
; %bb.2345:
	v_cmp_ne_u16_e64 s[6:7], s26, 11
	s_mov_b64 s[16:17], -1
                                        ; implicit-def: $vgpr14
.LBB40_2346:
	s_and_b64 vcc, exec, s[6:7]
	s_cbranch_vccnz .LBB40_2411
; %bb.2347:
	s_andn2_b64 vcc, exec, s[16:17]
	s_cbranch_vccnz .LBB40_2349
.LBB40_2348:
	global_load_ubyte v7, v[12:13], off
	s_mov_b64 s[18:19], -1
	s_waitcnt vmcnt(0)
	v_cmp_ne_u16_e32 vcc, 0, v7
	v_cndmask_b32_e64 v14, 0, 1.0, vcc
.LBB40_2349:
	s_mov_b64 s[6:7], 0
.LBB40_2350:
	s_and_b64 vcc, exec, s[6:7]
	s_cbranch_vccz .LBB40_2399
; %bb.2351:
	v_cmp_lt_i16_e64 s[6:7], s26, 5
	s_and_b64 vcc, exec, s[6:7]
	s_cbranch_vccnz .LBB40_2356
; %bb.2352:
	v_cmp_lt_i16_e64 s[6:7], s26, 8
	s_and_b64 vcc, exec, s[6:7]
	s_cbranch_vccnz .LBB40_2357
	;; [unrolled: 4-line block ×3, first 2 shown]
; %bb.2354:
	v_cmp_gt_i16_e64 s[6:7], s26, 9
	s_and_b64 vcc, exec, s[6:7]
	s_cbranch_vccz .LBB40_2359
; %bb.2355:
	global_load_dwordx2 v[14:15], v[12:13], off
	s_mov_b64 s[6:7], 0
	s_waitcnt vmcnt(0)
	v_cvt_f32_f64_e32 v14, v[14:15]
	s_branch .LBB40_2360
.LBB40_2356:
	s_mov_b64 s[6:7], -1
                                        ; implicit-def: $vgpr14
	s_branch .LBB40_2378
.LBB40_2357:
	s_mov_b64 s[6:7], -1
                                        ; implicit-def: $vgpr14
	s_branch .LBB40_2366
.LBB40_2358:
	s_mov_b64 s[6:7], -1
                                        ; implicit-def: $vgpr14
	s_branch .LBB40_2363
.LBB40_2359:
	s_mov_b64 s[6:7], -1
                                        ; implicit-def: $vgpr14
.LBB40_2360:
	s_andn2_b64 vcc, exec, s[6:7]
	s_cbranch_vccnz .LBB40_2362
; %bb.2361:
	global_load_dword v14, v[12:13], off
.LBB40_2362:
	s_mov_b64 s[6:7], 0
.LBB40_2363:
	s_andn2_b64 vcc, exec, s[6:7]
	s_cbranch_vccnz .LBB40_2365
; %bb.2364:
	global_load_dword v7, v[12:13], off
	s_waitcnt vmcnt(0)
	v_cvt_f32_f16_e32 v14, v7
.LBB40_2365:
	s_mov_b64 s[6:7], 0
.LBB40_2366:
	s_andn2_b64 vcc, exec, s[6:7]
	s_cbranch_vccnz .LBB40_2377
; %bb.2367:
	v_cmp_lt_i16_e64 s[6:7], s26, 6
	s_and_b64 vcc, exec, s[6:7]
	s_cbranch_vccnz .LBB40_2370
; %bb.2368:
	v_cmp_gt_i16_e64 s[6:7], s26, 6
	s_and_b64 vcc, exec, s[6:7]
	s_cbranch_vccz .LBB40_2371
; %bb.2369:
	global_load_dwordx2 v[14:15], v[12:13], off
	s_mov_b64 s[6:7], 0
	s_waitcnt vmcnt(0)
	v_cvt_f32_f64_e32 v14, v[14:15]
	s_branch .LBB40_2372
.LBB40_2370:
	s_mov_b64 s[6:7], -1
                                        ; implicit-def: $vgpr14
	s_branch .LBB40_2375
.LBB40_2371:
	s_mov_b64 s[6:7], -1
                                        ; implicit-def: $vgpr14
.LBB40_2372:
	s_andn2_b64 vcc, exec, s[6:7]
	s_cbranch_vccnz .LBB40_2374
; %bb.2373:
	global_load_dword v14, v[12:13], off
.LBB40_2374:
	s_mov_b64 s[6:7], 0
.LBB40_2375:
	s_andn2_b64 vcc, exec, s[6:7]
	s_cbranch_vccnz .LBB40_2377
; %bb.2376:
	global_load_ushort v7, v[12:13], off
	s_waitcnt vmcnt(0)
	v_cvt_f32_f16_e32 v14, v7
.LBB40_2377:
	s_mov_b64 s[6:7], 0
.LBB40_2378:
	s_andn2_b64 vcc, exec, s[6:7]
	s_cbranch_vccnz .LBB40_2398
; %bb.2379:
	v_cmp_lt_i16_e64 s[6:7], s26, 2
	s_and_b64 vcc, exec, s[6:7]
	s_cbranch_vccnz .LBB40_2383
; %bb.2380:
	v_cmp_lt_i16_e64 s[6:7], s26, 3
	s_and_b64 vcc, exec, s[6:7]
	s_cbranch_vccnz .LBB40_2384
; %bb.2381:
	v_cmp_gt_i16_e64 s[6:7], s26, 3
	s_and_b64 vcc, exec, s[6:7]
	s_cbranch_vccz .LBB40_2385
; %bb.2382:
	global_load_dwordx2 v[14:15], v[12:13], off
	s_mov_b64 s[6:7], 0
	s_waitcnt vmcnt(0)
	v_xor_b32_e32 v9, v14, v15
	v_ffbh_i32_e32 v7, v15
	v_ashrrev_i32_e32 v9, 31, v9
	v_add_u32_e32 v7, -1, v7
	v_add_u32_e32 v9, 32, v9
	v_min_u32_e32 v7, v7, v9
	v_lshlrev_b64 v[14:15], v7, v[14:15]
	v_min_u32_e32 v9, 1, v14
	v_or_b32_e32 v9, v15, v9
	v_cvt_f32_i32_e32 v9, v9
	v_sub_u32_e32 v7, 32, v7
	v_ldexp_f32 v14, v9, v7
	s_branch .LBB40_2386
.LBB40_2383:
	s_mov_b64 s[6:7], -1
                                        ; implicit-def: $vgpr14
	s_branch .LBB40_2392
.LBB40_2384:
	s_mov_b64 s[6:7], -1
                                        ; implicit-def: $vgpr14
	s_branch .LBB40_2389
.LBB40_2385:
	s_mov_b64 s[6:7], -1
                                        ; implicit-def: $vgpr14
.LBB40_2386:
	s_andn2_b64 vcc, exec, s[6:7]
	s_cbranch_vccnz .LBB40_2388
; %bb.2387:
	global_load_dword v7, v[12:13], off
	s_waitcnt vmcnt(0)
	v_cvt_f32_i32_e32 v14, v7
.LBB40_2388:
	s_mov_b64 s[6:7], 0
.LBB40_2389:
	s_andn2_b64 vcc, exec, s[6:7]
	s_cbranch_vccnz .LBB40_2391
; %bb.2390:
	global_load_sshort v7, v[12:13], off
	s_waitcnt vmcnt(0)
	v_cvt_f32_i32_e32 v14, v7
.LBB40_2391:
	s_mov_b64 s[6:7], 0
.LBB40_2392:
	s_andn2_b64 vcc, exec, s[6:7]
	s_cbranch_vccnz .LBB40_2398
; %bb.2393:
	v_cmp_gt_i16_e64 s[6:7], s26, 0
	s_and_b64 vcc, exec, s[6:7]
	s_cbranch_vccz .LBB40_2395
; %bb.2394:
	global_load_sbyte v7, v[12:13], off
	s_mov_b64 s[6:7], 0
	s_waitcnt vmcnt(0)
	v_cvt_f32_i32_e32 v14, v7
	s_branch .LBB40_2396
.LBB40_2395:
	s_mov_b64 s[6:7], -1
                                        ; implicit-def: $vgpr14
.LBB40_2396:
	s_andn2_b64 vcc, exec, s[6:7]
	s_cbranch_vccnz .LBB40_2398
; %bb.2397:
	global_load_ubyte v7, v[12:13], off
	s_waitcnt vmcnt(0)
	v_cvt_f32_ubyte0_e32 v14, v7
.LBB40_2398:
	s_mov_b64 s[18:19], -1
.LBB40_2399:
	s_andn2_b64 vcc, exec, s[18:19]
	s_cbranch_vccnz .LBB40_3113
; %bb.2400:
	v_mov_b32_e32 v7, s11
	v_add_co_u32_e32 v10, vcc, s10, v10
	v_addc_co_u32_e32 v11, vcc, 0, v7, vcc
	v_mov_b32_e32 v7, 11
	v_cmp_lt_i16_sdwa s[6:7], s25, v7 src0_sel:BYTE_0 src1_sel:DWORD
	s_and_b64 vcc, exec, s[6:7]
	s_cbranch_vccnz .LBB40_2407
; %bb.2401:
	v_mov_b32_e32 v7, 25
	v_cmp_gt_i16_sdwa s[6:7], s25, v7 src0_sel:BYTE_0 src1_sel:DWORD
	s_mov_b64 s[10:11], 0
	s_and_b64 vcc, exec, s[6:7]
	s_cbranch_vccz .LBB40_2408
; %bb.2402:
	v_mov_b32_e32 v7, 28
	v_cmp_gt_i16_sdwa s[6:7], s25, v7 src0_sel:BYTE_0 src1_sel:DWORD
	s_and_b64 vcc, exec, s[6:7]
	s_cbranch_vccz .LBB40_2409
; %bb.2403:
	v_mov_b32_e32 v7, 43
	v_cmp_gt_i16_sdwa s[6:7], s25, v7 src0_sel:BYTE_0 src1_sel:DWORD
	;; [unrolled: 5-line block ×3, first 2 shown]
	s_and_b64 vcc, exec, s[6:7]
	s_cbranch_vccz .LBB40_2412
; %bb.2405:
	v_mov_b32_e32 v7, 46
	v_cmp_eq_u16_sdwa s[6:7], s25, v7 src0_sel:BYTE_0 src1_sel:DWORD
	s_mov_b64 s[18:19], 0
	s_and_b64 vcc, exec, s[6:7]
	s_cbranch_vccz .LBB40_2413
; %bb.2406:
	global_load_dword v7, v[10:11], off
	s_mov_b64 s[6:7], 0
	s_mov_b64 s[16:17], -1
	s_waitcnt vmcnt(0)
	v_lshlrev_b32_e32 v12, 16, v7
	s_branch .LBB40_2414
.LBB40_2407:
	s_mov_b64 s[6:7], -1
	s_mov_b64 s[16:17], 0
                                        ; implicit-def: $vgpr12
	s_branch .LBB40_2480
.LBB40_2408:
	s_mov_b64 s[18:19], -1
	s_mov_b64 s[16:17], 0
	s_mov_b64 s[6:7], 0
                                        ; implicit-def: $vgpr12
	s_branch .LBB40_2443
.LBB40_2409:
	s_mov_b64 s[18:19], -1
	s_mov_b64 s[16:17], 0
	s_mov_b64 s[6:7], 0
                                        ; implicit-def: $vgpr12
	s_branch .LBB40_2424
.LBB40_2410:
	s_mov_b64 s[18:19], -1
	s_mov_b64 s[16:17], 0
	s_mov_b64 s[6:7], 0
                                        ; implicit-def: $vgpr12
	s_branch .LBB40_2419
.LBB40_2411:
	s_trap 2
	s_or_b64 s[4:5], s[4:5], exec
                                        ; implicit-def: $vgpr14
	s_cbranch_execz .LBB40_2348
	s_branch .LBB40_2349
.LBB40_2412:
	s_mov_b64 s[18:19], -1
	s_mov_b64 s[16:17], 0
	s_mov_b64 s[6:7], 0
                                        ; implicit-def: $vgpr12
	s_branch .LBB40_2414
.LBB40_2413:
	s_mov_b64 s[6:7], -1
                                        ; implicit-def: $vgpr12
	s_mov_b64 s[16:17], 0
.LBB40_2414:
	s_and_b64 vcc, exec, s[18:19]
	s_cbranch_vccz .LBB40_2418
; %bb.2415:
	v_mov_b32_e32 v7, 44
	v_cmp_eq_u16_sdwa s[6:7], s25, v7 src0_sel:BYTE_0 src1_sel:DWORD
	s_and_b64 vcc, exec, s[6:7]
	s_cbranch_vccz .LBB40_2417
; %bb.2416:
	global_load_ubyte v7, v[10:11], off
	s_movk_i32 s16, 0xff
	v_mov_b32_e32 v9, 0x7f800001
	v_mov_b32_e32 v12, 0x400000
	s_mov_b64 s[6:7], 0
	s_waitcnt vmcnt(0)
	v_lshlrev_b32_e32 v13, 23, v7
	v_cmp_ne_u32_e32 vcc, s16, v7
	v_cndmask_b32_e32 v9, v9, v13, vcc
	v_cmp_ne_u32_e32 vcc, 0, v7
	v_cndmask_b32_e32 v12, v12, v9, vcc
	s_mov_b64 s[16:17], -1
	s_branch .LBB40_2418
.LBB40_2417:
	s_mov_b64 s[6:7], -1
                                        ; implicit-def: $vgpr12
.LBB40_2418:
	s_mov_b64 s[18:19], 0
.LBB40_2419:
	s_and_b64 vcc, exec, s[18:19]
	s_cbranch_vccz .LBB40_2423
; %bb.2420:
	v_mov_b32_e32 v7, 29
	v_cmp_eq_u16_sdwa s[6:7], s25, v7 src0_sel:BYTE_0 src1_sel:DWORD
	s_and_b64 vcc, exec, s[6:7]
	s_cbranch_vccz .LBB40_2422
; %bb.2421:
	global_load_dwordx2 v[12:13], v[10:11], off
	s_mov_b64 s[6:7], 0
	s_mov_b64 s[16:17], -1
	s_mov_b64 s[18:19], 0
	s_waitcnt vmcnt(0)
	v_ffbh_u32_e32 v7, v13
	v_min_u32_e32 v7, 32, v7
	v_lshlrev_b64 v[12:13], v7, v[12:13]
	v_min_u32_e32 v9, 1, v12
	v_or_b32_e32 v9, v13, v9
	v_cvt_f32_u32_e32 v9, v9
	v_sub_u32_e32 v7, 32, v7
	v_ldexp_f32 v12, v9, v7
	s_branch .LBB40_2424
.LBB40_2422:
	s_mov_b64 s[6:7], -1
                                        ; implicit-def: $vgpr12
.LBB40_2423:
	s_mov_b64 s[18:19], 0
.LBB40_2424:
	s_and_b64 vcc, exec, s[18:19]
	s_cbranch_vccz .LBB40_2442
; %bb.2425:
	v_mov_b32_e32 v7, 27
	v_cmp_lt_i16_sdwa s[16:17], s25, v7 src0_sel:BYTE_0 src1_sel:DWORD
	s_and_b64 vcc, exec, s[16:17]
	s_cbranch_vccnz .LBB40_2428
; %bb.2426:
	v_cmp_gt_i16_sdwa s[16:17], s25, v7 src0_sel:BYTE_0 src1_sel:DWORD
	s_and_b64 vcc, exec, s[16:17]
	s_cbranch_vccz .LBB40_2429
; %bb.2427:
	global_load_dword v7, v[10:11], off
	s_mov_b64 s[16:17], 0
	s_waitcnt vmcnt(0)
	v_cvt_f32_u32_e32 v12, v7
	s_branch .LBB40_2430
.LBB40_2428:
	s_mov_b64 s[16:17], -1
                                        ; implicit-def: $vgpr12
	s_branch .LBB40_2433
.LBB40_2429:
	s_mov_b64 s[16:17], -1
                                        ; implicit-def: $vgpr12
.LBB40_2430:
	s_andn2_b64 vcc, exec, s[16:17]
	s_cbranch_vccnz .LBB40_2432
; %bb.2431:
	global_load_ushort v7, v[10:11], off
	s_waitcnt vmcnt(0)
	v_cvt_f32_u32_e32 v12, v7
.LBB40_2432:
	s_mov_b64 s[16:17], 0
.LBB40_2433:
	s_andn2_b64 vcc, exec, s[16:17]
	s_cbranch_vccnz .LBB40_2441
; %bb.2434:
	global_load_ubyte v7, v[10:11], off
	s_movk_i32 s16, 0x7f
                                        ; implicit-def: $sgpr22
	s_waitcnt vmcnt(0)
	v_cmp_lt_i16_e32 vcc, s16, v7
	s_mov_b64 s[16:17], 0
	s_and_saveexec_b64 s[18:19], vcc
	s_xor_b64 s[18:19], exec, s[18:19]
	s_cbranch_execz .LBB40_2455
; %bb.2435:
	s_movk_i32 s16, 0x80
	v_cmp_eq_u16_e32 vcc, s16, v7
	s_mov_b64 s[16:17], -1
                                        ; implicit-def: $sgpr22
	s_and_saveexec_b64 s[20:21], vcc
; %bb.2436:
	s_mov_b32 s22, 0x7f800001
	s_xor_b64 s[16:17], exec, -1
; %bb.2437:
	s_or_b64 exec, exec, s[20:21]
	s_and_b64 s[16:17], s[16:17], exec
	s_or_saveexec_b64 s[18:19], s[18:19]
	v_mov_b32_e32 v12, s22
	s_xor_b64 exec, exec, s[18:19]
	s_cbranch_execnz .LBB40_2456
.LBB40_2438:
	s_or_b64 exec, exec, s[18:19]
	s_and_saveexec_b64 s[18:19], s[16:17]
	s_cbranch_execz .LBB40_2440
.LBB40_2439:
	v_lshlrev_b32_e32 v9, 24, v7
	v_and_b32_e32 v7, 0xffff, v7
	v_and_b32_e32 v12, 7, v7
	v_ffbh_u32_e32 v15, v12
	v_min_u32_e32 v15, 32, v15
	v_subrev_u32_e32 v17, 28, v15
	v_bfe_u32 v13, v7, 3, 4
	v_lshlrev_b32_e32 v7, v17, v7
	v_sub_u32_e32 v15, 29, v15
	v_and_b32_e32 v7, 7, v7
	v_cmp_eq_u32_e32 vcc, 0, v13
	v_cndmask_b32_e32 v13, v13, v15, vcc
	v_cndmask_b32_e32 v7, v12, v7, vcc
	v_mov_b32_e32 v12, 0x3b800000
	v_lshlrev_b32_e32 v7, 20, v7
	v_and_b32_e32 v9, 0x80000000, v9
	v_lshl_add_u32 v12, v13, 23, v12
	v_or3_b32 v12, v9, v12, v7
.LBB40_2440:
	s_or_b64 exec, exec, s[18:19]
.LBB40_2441:
	s_mov_b64 s[16:17], -1
.LBB40_2442:
	s_mov_b64 s[18:19], 0
.LBB40_2443:
	s_and_b64 vcc, exec, s[18:19]
	s_cbranch_vccz .LBB40_2476
; %bb.2444:
	v_mov_b32_e32 v7, 22
	v_cmp_gt_i16_sdwa s[10:11], s25, v7 src0_sel:BYTE_0 src1_sel:DWORD
	s_and_b64 vcc, exec, s[10:11]
	s_cbranch_vccz .LBB40_2454
; %bb.2445:
	v_mov_b32_e32 v7, 24
	v_cmp_lt_i16_sdwa s[10:11], s25, v7 src0_sel:BYTE_0 src1_sel:DWORD
	s_and_b64 vcc, exec, s[10:11]
	s_cbranch_vccnz .LBB40_2457
; %bb.2446:
	v_cmp_gt_i16_sdwa s[10:11], s25, v7 src0_sel:BYTE_0 src1_sel:DWORD
	s_and_b64 vcc, exec, s[10:11]
	s_cbranch_vccz .LBB40_2458
; %bb.2447:
	global_load_ubyte v7, v[10:11], off
	s_movk_i32 s10, 0x7f
                                        ; implicit-def: $sgpr20
	s_waitcnt vmcnt(0)
	v_cmp_lt_i16_e32 vcc, s10, v7
	s_mov_b64 s[10:11], 0
	s_and_saveexec_b64 s[16:17], vcc
	s_xor_b64 s[16:17], exec, s[16:17]
	s_cbranch_execz .LBB40_2470
; %bb.2448:
	s_movk_i32 s10, 0x80
	v_cmp_eq_u16_e32 vcc, s10, v7
	s_mov_b64 s[10:11], -1
                                        ; implicit-def: $sgpr20
	s_and_saveexec_b64 s[18:19], vcc
; %bb.2449:
	s_mov_b32 s20, 0x7f800001
	s_xor_b64 s[10:11], exec, -1
; %bb.2450:
	s_or_b64 exec, exec, s[18:19]
	s_and_b64 s[10:11], s[10:11], exec
	s_or_saveexec_b64 s[16:17], s[16:17]
	v_mov_b32_e32 v12, s20
	s_xor_b64 exec, exec, s[16:17]
	s_cbranch_execnz .LBB40_2471
.LBB40_2451:
	s_or_b64 exec, exec, s[16:17]
	s_and_saveexec_b64 s[16:17], s[10:11]
	s_cbranch_execz .LBB40_2453
.LBB40_2452:
	v_lshlrev_b32_e32 v9, 24, v7
	v_and_b32_e32 v7, 0xffff, v7
	v_and_b32_e32 v12, 3, v7
	v_ffbh_u32_e32 v15, v12
	v_min_u32_e32 v15, 32, v15
	v_subrev_u32_e32 v17, 29, v15
	v_bfe_u32 v13, v7, 2, 5
	v_lshlrev_b32_e32 v7, v17, v7
	v_sub_u32_e32 v15, 30, v15
	v_and_b32_e32 v7, 3, v7
	v_cmp_eq_u32_e32 vcc, 0, v13
	v_cndmask_b32_e32 v13, v13, v15, vcc
	v_cndmask_b32_e32 v7, v12, v7, vcc
	v_mov_b32_e32 v12, 0x37800000
	v_lshlrev_b32_e32 v7, 21, v7
	v_and_b32_e32 v9, 0x80000000, v9
	v_lshl_add_u32 v12, v13, 23, v12
	v_or3_b32 v12, v9, v12, v7
.LBB40_2453:
	s_or_b64 exec, exec, s[16:17]
	s_mov_b64 s[10:11], 0
	s_branch .LBB40_2459
.LBB40_2454:
	s_mov_b64 s[10:11], -1
                                        ; implicit-def: $vgpr12
	s_branch .LBB40_2465
.LBB40_2455:
	s_or_saveexec_b64 s[18:19], s[18:19]
	v_mov_b32_e32 v12, s22
	s_xor_b64 exec, exec, s[18:19]
	s_cbranch_execz .LBB40_2438
.LBB40_2456:
	v_cmp_ne_u16_e32 vcc, 0, v7
	s_andn2_b64 s[16:17], s[16:17], exec
	s_and_b64 s[20:21], vcc, exec
	v_mov_b32_e32 v12, 0
	s_or_b64 s[16:17], s[16:17], s[20:21]
	s_or_b64 exec, exec, s[18:19]
	s_and_saveexec_b64 s[18:19], s[16:17]
	s_cbranch_execnz .LBB40_2439
	s_branch .LBB40_2440
.LBB40_2457:
	s_mov_b64 s[10:11], -1
                                        ; implicit-def: $vgpr12
	s_branch .LBB40_2462
.LBB40_2458:
	s_mov_b64 s[10:11], -1
                                        ; implicit-def: $vgpr12
.LBB40_2459:
	s_and_b64 vcc, exec, s[10:11]
	s_cbranch_vccz .LBB40_2461
; %bb.2460:
	global_load_ubyte v7, v[10:11], off
	s_mov_b32 s10, 0x7f800000
	s_waitcnt vmcnt(0)
	v_lshlrev_b32_e32 v7, 24, v7
	v_and_b32_e32 v9, 0x7f000000, v7
	v_ffbh_u32_e32 v12, v9
	v_min_u32_e32 v12, 32, v12
	v_sub_u32_e64 v12, v12, 4 clamp
	v_lshlrev_b32_e32 v15, v12, v9
	v_lshlrev_b32_e32 v12, 23, v12
	v_lshrrev_b32_e32 v15, 4, v15
	v_add_u32_e32 v13, 0x1000000, v9
	v_sub_u32_e32 v12, v15, v12
	v_ashrrev_i32_e32 v13, 8, v13
	v_add_u32_e32 v12, 0x3c000000, v12
	v_and_or_b32 v12, v13, s10, v12
	v_cmp_ne_u32_e32 vcc, 0, v9
	v_cndmask_b32_e32 v9, 0, v12, vcc
	s_brev_b32 s10, 1
	v_and_or_b32 v12, v7, s10, v9
.LBB40_2461:
	s_mov_b64 s[10:11], 0
.LBB40_2462:
	s_andn2_b64 vcc, exec, s[10:11]
	s_cbranch_vccnz .LBB40_2464
; %bb.2463:
	global_load_ubyte v7, v[10:11], off
	s_movk_i32 s10, 0x7f00
	s_brev_b32 s11, 16
	s_waitcnt vmcnt(0)
	v_lshlrev_b16_e32 v9, 8, v7
	v_lshlrev_b32_e32 v7, 25, v7
	v_lshrrev_b32_e32 v12, 4, v7
	v_and_or_b32 v13, v9, s10, 0.5
	v_or_b32_e32 v12, 0x70000000, v12
	v_add_f32_e32 v13, -0.5, v13
	v_mul_f32_e32 v12, 0x7800000, v12
	v_cmp_gt_u32_e32 vcc, s11, v7
	v_bfe_i32 v9, v9, 0, 16
	v_cndmask_b32_e32 v7, v12, v13, vcc
	s_brev_b32 s10, 1
	v_and_or_b32 v12, v9, s10, v7
.LBB40_2464:
	s_mov_b64 s[10:11], 0
	s_mov_b64 s[16:17], -1
.LBB40_2465:
	s_andn2_b64 vcc, exec, s[10:11]
	s_mov_b64 s[10:11], 0
	s_cbranch_vccnz .LBB40_2476
; %bb.2466:
	v_mov_b32_e32 v7, 14
	v_cmp_gt_i16_sdwa s[10:11], s25, v7 src0_sel:BYTE_0 src1_sel:DWORD
	s_and_b64 vcc, exec, s[10:11]
	s_cbranch_vccz .LBB40_2469
; %bb.2467:
	v_mov_b32_e32 v7, 15
	v_cmp_eq_u16_sdwa s[6:7], s25, v7 src0_sel:BYTE_0 src1_sel:DWORD
	s_and_b64 vcc, exec, s[6:7]
	s_cbranch_vccz .LBB40_2472
; %bb.2468:
	global_load_ushort v7, v[10:11], off
	s_mov_b64 s[6:7], 0
	s_mov_b64 s[16:17], -1
	s_waitcnt vmcnt(0)
	v_lshlrev_b32_e32 v12, 16, v7
	s_branch .LBB40_2473
.LBB40_2469:
	s_mov_b64 s[18:19], -1
                                        ; implicit-def: $vgpr12
	s_branch .LBB40_2474
.LBB40_2470:
	s_or_saveexec_b64 s[16:17], s[16:17]
	v_mov_b32_e32 v12, s20
	s_xor_b64 exec, exec, s[16:17]
	s_cbranch_execz .LBB40_2451
.LBB40_2471:
	v_cmp_ne_u16_e32 vcc, 0, v7
	s_andn2_b64 s[10:11], s[10:11], exec
	s_and_b64 s[18:19], vcc, exec
	v_mov_b32_e32 v12, 0
	s_or_b64 s[10:11], s[10:11], s[18:19]
	s_or_b64 exec, exec, s[16:17]
	s_and_saveexec_b64 s[16:17], s[10:11]
	s_cbranch_execnz .LBB40_2452
	s_branch .LBB40_2453
.LBB40_2472:
	s_mov_b64 s[6:7], -1
                                        ; implicit-def: $vgpr12
.LBB40_2473:
	s_mov_b64 s[18:19], 0
.LBB40_2474:
	s_mov_b64 s[10:11], 0
	s_and_b64 vcc, exec, s[18:19]
	s_cbranch_vccz .LBB40_2476
; %bb.2475:
	v_mov_b32_e32 v7, 11
	v_cmp_ne_u16_sdwa s[6:7], s25, v7 src0_sel:BYTE_0 src1_sel:DWORD
	s_mov_b64 s[10:11], -1
                                        ; implicit-def: $vgpr12
.LBB40_2476:
	s_and_b64 vcc, exec, s[6:7]
	s_cbranch_vccnz .LBB40_2541
; %bb.2477:
	s_andn2_b64 vcc, exec, s[10:11]
	s_cbranch_vccnz .LBB40_2479
.LBB40_2478:
	global_load_ubyte v7, v[10:11], off
	s_mov_b64 s[16:17], -1
	s_waitcnt vmcnt(0)
	v_cmp_ne_u16_e32 vcc, 0, v7
	v_cndmask_b32_e64 v12, 0, 1.0, vcc
.LBB40_2479:
	s_mov_b64 s[6:7], 0
.LBB40_2480:
	s_and_b64 vcc, exec, s[6:7]
	s_cbranch_vccz .LBB40_2529
; %bb.2481:
	v_mov_b32_e32 v7, 5
	v_cmp_lt_i16_sdwa s[6:7], s25, v7 src0_sel:BYTE_0 src1_sel:DWORD
	s_and_b64 vcc, exec, s[6:7]
	s_cbranch_vccnz .LBB40_2486
; %bb.2482:
	v_mov_b32_e32 v7, 8
	v_cmp_lt_i16_sdwa s[6:7], s25, v7 src0_sel:BYTE_0 src1_sel:DWORD
	s_and_b64 vcc, exec, s[6:7]
	s_cbranch_vccnz .LBB40_2487
	;; [unrolled: 5-line block ×3, first 2 shown]
; %bb.2484:
	v_cmp_gt_i16_sdwa s[6:7], s25, v7 src0_sel:BYTE_0 src1_sel:DWORD
	s_and_b64 vcc, exec, s[6:7]
	s_cbranch_vccz .LBB40_2489
; %bb.2485:
	global_load_dwordx2 v[12:13], v[10:11], off
	s_mov_b64 s[6:7], 0
	s_waitcnt vmcnt(0)
	v_cvt_f32_f64_e32 v12, v[12:13]
	s_branch .LBB40_2490
.LBB40_2486:
	s_mov_b64 s[6:7], -1
                                        ; implicit-def: $vgpr12
	s_branch .LBB40_2508
.LBB40_2487:
	s_mov_b64 s[6:7], -1
                                        ; implicit-def: $vgpr12
	s_branch .LBB40_2496
.LBB40_2488:
	s_mov_b64 s[6:7], -1
                                        ; implicit-def: $vgpr12
	s_branch .LBB40_2493
.LBB40_2489:
	s_mov_b64 s[6:7], -1
                                        ; implicit-def: $vgpr12
.LBB40_2490:
	s_andn2_b64 vcc, exec, s[6:7]
	s_cbranch_vccnz .LBB40_2492
; %bb.2491:
	global_load_dword v12, v[10:11], off
.LBB40_2492:
	s_mov_b64 s[6:7], 0
.LBB40_2493:
	s_andn2_b64 vcc, exec, s[6:7]
	s_cbranch_vccnz .LBB40_2495
; %bb.2494:
	global_load_dword v7, v[10:11], off
	s_waitcnt vmcnt(0)
	v_cvt_f32_f16_e32 v12, v7
.LBB40_2495:
	s_mov_b64 s[6:7], 0
.LBB40_2496:
	s_andn2_b64 vcc, exec, s[6:7]
	s_cbranch_vccnz .LBB40_2507
; %bb.2497:
	v_mov_b32_e32 v7, 6
	v_cmp_lt_i16_sdwa s[6:7], s25, v7 src0_sel:BYTE_0 src1_sel:DWORD
	s_and_b64 vcc, exec, s[6:7]
	s_cbranch_vccnz .LBB40_2500
; %bb.2498:
	v_cmp_gt_i16_sdwa s[6:7], s25, v7 src0_sel:BYTE_0 src1_sel:DWORD
	s_and_b64 vcc, exec, s[6:7]
	s_cbranch_vccz .LBB40_2501
; %bb.2499:
	global_load_dwordx2 v[12:13], v[10:11], off
	s_mov_b64 s[6:7], 0
	s_waitcnt vmcnt(0)
	v_cvt_f32_f64_e32 v12, v[12:13]
	s_branch .LBB40_2502
.LBB40_2500:
	s_mov_b64 s[6:7], -1
                                        ; implicit-def: $vgpr12
	s_branch .LBB40_2505
.LBB40_2501:
	s_mov_b64 s[6:7], -1
                                        ; implicit-def: $vgpr12
.LBB40_2502:
	s_andn2_b64 vcc, exec, s[6:7]
	s_cbranch_vccnz .LBB40_2504
; %bb.2503:
	global_load_dword v12, v[10:11], off
.LBB40_2504:
	s_mov_b64 s[6:7], 0
.LBB40_2505:
	s_andn2_b64 vcc, exec, s[6:7]
	s_cbranch_vccnz .LBB40_2507
; %bb.2506:
	global_load_ushort v7, v[10:11], off
	s_waitcnt vmcnt(0)
	v_cvt_f32_f16_e32 v12, v7
.LBB40_2507:
	s_mov_b64 s[6:7], 0
.LBB40_2508:
	s_andn2_b64 vcc, exec, s[6:7]
	s_cbranch_vccnz .LBB40_2528
; %bb.2509:
	v_mov_b32_e32 v7, 2
	v_cmp_lt_i16_sdwa s[6:7], s25, v7 src0_sel:BYTE_0 src1_sel:DWORD
	s_and_b64 vcc, exec, s[6:7]
	s_cbranch_vccnz .LBB40_2513
; %bb.2510:
	v_mov_b32_e32 v7, 3
	v_cmp_lt_i16_sdwa s[6:7], s25, v7 src0_sel:BYTE_0 src1_sel:DWORD
	s_and_b64 vcc, exec, s[6:7]
	s_cbranch_vccnz .LBB40_2514
; %bb.2511:
	v_cmp_gt_i16_sdwa s[6:7], s25, v7 src0_sel:BYTE_0 src1_sel:DWORD
	s_and_b64 vcc, exec, s[6:7]
	s_cbranch_vccz .LBB40_2515
; %bb.2512:
	global_load_dwordx2 v[12:13], v[10:11], off
	s_mov_b64 s[6:7], 0
	s_waitcnt vmcnt(0)
	v_xor_b32_e32 v9, v12, v13
	v_ffbh_i32_e32 v7, v13
	v_ashrrev_i32_e32 v9, 31, v9
	v_add_u32_e32 v7, -1, v7
	v_add_u32_e32 v9, 32, v9
	v_min_u32_e32 v7, v7, v9
	v_lshlrev_b64 v[12:13], v7, v[12:13]
	v_min_u32_e32 v9, 1, v12
	v_or_b32_e32 v9, v13, v9
	v_cvt_f32_i32_e32 v9, v9
	v_sub_u32_e32 v7, 32, v7
	v_ldexp_f32 v12, v9, v7
	s_branch .LBB40_2516
.LBB40_2513:
	s_mov_b64 s[6:7], -1
                                        ; implicit-def: $vgpr12
	s_branch .LBB40_2522
.LBB40_2514:
	s_mov_b64 s[6:7], -1
                                        ; implicit-def: $vgpr12
	s_branch .LBB40_2519
.LBB40_2515:
	s_mov_b64 s[6:7], -1
                                        ; implicit-def: $vgpr12
.LBB40_2516:
	s_andn2_b64 vcc, exec, s[6:7]
	s_cbranch_vccnz .LBB40_2518
; %bb.2517:
	global_load_dword v7, v[10:11], off
	s_waitcnt vmcnt(0)
	v_cvt_f32_i32_e32 v12, v7
.LBB40_2518:
	s_mov_b64 s[6:7], 0
.LBB40_2519:
	s_andn2_b64 vcc, exec, s[6:7]
	s_cbranch_vccnz .LBB40_2521
; %bb.2520:
	global_load_sshort v7, v[10:11], off
	s_waitcnt vmcnt(0)
	v_cvt_f32_i32_e32 v12, v7
.LBB40_2521:
	s_mov_b64 s[6:7], 0
.LBB40_2522:
	s_andn2_b64 vcc, exec, s[6:7]
	s_cbranch_vccnz .LBB40_2528
; %bb.2523:
	v_mov_b32_e32 v7, 0
	v_cmp_gt_i16_sdwa s[6:7], s25, v7 src0_sel:BYTE_0 src1_sel:DWORD
	s_and_b64 vcc, exec, s[6:7]
	s_cbranch_vccz .LBB40_2525
; %bb.2524:
	global_load_sbyte v7, v[10:11], off
	s_mov_b64 s[6:7], 0
	s_waitcnt vmcnt(0)
	v_cvt_f32_i32_e32 v12, v7
	s_branch .LBB40_2526
.LBB40_2525:
	s_mov_b64 s[6:7], -1
                                        ; implicit-def: $vgpr12
.LBB40_2526:
	s_andn2_b64 vcc, exec, s[6:7]
	s_cbranch_vccnz .LBB40_2528
; %bb.2527:
	global_load_ubyte v7, v[10:11], off
	s_waitcnt vmcnt(0)
	v_cvt_f32_ubyte0_e32 v12, v7
.LBB40_2528:
	s_mov_b64 s[16:17], -1
.LBB40_2529:
	s_andn2_b64 vcc, exec, s[16:17]
	s_cbranch_vccnz .LBB40_3113
; %bb.2530:
	v_mov_b32_e32 v7, s1
	v_add_co_u32_e32 v8, vcc, s0, v8
	v_addc_co_u32_e32 v9, vcc, 0, v7, vcc
	s_and_b64 vcc, exec, s[2:3]
	s_cbranch_vccnz .LBB40_2537
; %bb.2531:
	v_cmp_gt_i16_e64 s[0:1], s26, 25
	s_mov_b64 s[2:3], 0
	s_and_b64 vcc, exec, s[0:1]
	s_cbranch_vccz .LBB40_2538
; %bb.2532:
	v_cmp_gt_i16_e64 s[0:1], s26, 28
	s_and_b64 vcc, exec, s[0:1]
	s_cbranch_vccz .LBB40_2539
; %bb.2533:
	v_cmp_gt_i16_e64 s[0:1], s26, 43
	;; [unrolled: 4-line block ×3, first 2 shown]
	s_and_b64 vcc, exec, s[0:1]
	s_cbranch_vccz .LBB40_2542
; %bb.2535:
	v_cmp_eq_u16_e64 s[0:1], s26, 46
	s_mov_b64 s[10:11], 0
	s_and_b64 vcc, exec, s[0:1]
	s_cbranch_vccz .LBB40_2543
; %bb.2536:
	global_load_dword v7, v[8:9], off
	s_mov_b64 s[0:1], 0
	s_mov_b64 s[6:7], -1
	s_waitcnt vmcnt(0)
	v_lshlrev_b32_e32 v10, 16, v7
	s_branch .LBB40_2544
.LBB40_2537:
	s_mov_b64 s[0:1], -1
	s_mov_b64 s[6:7], 0
                                        ; implicit-def: $vgpr10
	s_branch .LBB40_2610
.LBB40_2538:
	s_mov_b64 s[10:11], -1
	s_mov_b64 s[6:7], 0
	s_mov_b64 s[0:1], 0
                                        ; implicit-def: $vgpr10
	s_branch .LBB40_2573
.LBB40_2539:
	s_mov_b64 s[10:11], -1
	s_mov_b64 s[6:7], 0
	s_mov_b64 s[0:1], 0
                                        ; implicit-def: $vgpr10
	s_branch .LBB40_2554
.LBB40_2540:
	s_mov_b64 s[10:11], -1
	s_mov_b64 s[6:7], 0
	s_mov_b64 s[0:1], 0
                                        ; implicit-def: $vgpr10
	s_branch .LBB40_2549
.LBB40_2541:
	s_trap 2
	s_or_b64 s[4:5], s[4:5], exec
                                        ; implicit-def: $vgpr12
	s_cbranch_execz .LBB40_2478
	s_branch .LBB40_2479
.LBB40_2542:
	s_mov_b64 s[10:11], -1
	s_mov_b64 s[6:7], 0
	s_mov_b64 s[0:1], 0
                                        ; implicit-def: $vgpr10
	s_branch .LBB40_2544
.LBB40_2543:
	s_mov_b64 s[0:1], -1
                                        ; implicit-def: $vgpr10
	s_mov_b64 s[6:7], 0
.LBB40_2544:
	s_and_b64 vcc, exec, s[10:11]
	s_cbranch_vccz .LBB40_2548
; %bb.2545:
	v_cmp_eq_u16_e64 s[0:1], s26, 44
	s_and_b64 vcc, exec, s[0:1]
	s_cbranch_vccz .LBB40_2547
; %bb.2546:
	global_load_ubyte v7, v[8:9], off
	s_movk_i32 s6, 0xff
	v_mov_b32_e32 v10, 0x7f800001
	v_mov_b32_e32 v11, 0x400000
	s_mov_b64 s[0:1], 0
	s_waitcnt vmcnt(0)
	v_lshlrev_b32_e32 v13, 23, v7
	v_cmp_ne_u32_e32 vcc, s6, v7
	v_cndmask_b32_e32 v10, v10, v13, vcc
	v_cmp_ne_u32_e32 vcc, 0, v7
	v_cndmask_b32_e32 v10, v11, v10, vcc
	s_mov_b64 s[6:7], -1
	s_branch .LBB40_2548
.LBB40_2547:
	s_mov_b64 s[0:1], -1
                                        ; implicit-def: $vgpr10
.LBB40_2548:
	s_mov_b64 s[10:11], 0
.LBB40_2549:
	s_and_b64 vcc, exec, s[10:11]
	s_cbranch_vccz .LBB40_2553
; %bb.2550:
	v_cmp_eq_u16_e64 s[0:1], s26, 29
	s_and_b64 vcc, exec, s[0:1]
	s_cbranch_vccz .LBB40_2552
; %bb.2551:
	global_load_dwordx2 v[10:11], v[8:9], off
	s_mov_b64 s[0:1], 0
	s_mov_b64 s[6:7], -1
	s_mov_b64 s[10:11], 0
	s_waitcnt vmcnt(0)
	v_ffbh_u32_e32 v7, v11
	v_min_u32_e32 v7, 32, v7
	v_lshlrev_b64 v[10:11], v7, v[10:11]
	v_min_u32_e32 v10, 1, v10
	v_or_b32_e32 v10, v11, v10
	v_cvt_f32_u32_e32 v10, v10
	v_sub_u32_e32 v7, 32, v7
	v_ldexp_f32 v10, v10, v7
	s_branch .LBB40_2554
.LBB40_2552:
	s_mov_b64 s[0:1], -1
                                        ; implicit-def: $vgpr10
.LBB40_2553:
	s_mov_b64 s[10:11], 0
.LBB40_2554:
	s_and_b64 vcc, exec, s[10:11]
	s_cbranch_vccz .LBB40_2572
; %bb.2555:
	v_cmp_lt_i16_e64 s[6:7], s26, 27
	s_and_b64 vcc, exec, s[6:7]
	s_cbranch_vccnz .LBB40_2558
; %bb.2556:
	v_cmp_gt_i16_e64 s[6:7], s26, 27
	s_and_b64 vcc, exec, s[6:7]
	s_cbranch_vccz .LBB40_2559
; %bb.2557:
	global_load_dword v7, v[8:9], off
	s_mov_b64 s[6:7], 0
	s_waitcnt vmcnt(0)
	v_cvt_f32_u32_e32 v10, v7
	s_branch .LBB40_2560
.LBB40_2558:
	s_mov_b64 s[6:7], -1
                                        ; implicit-def: $vgpr10
	s_branch .LBB40_2563
.LBB40_2559:
	s_mov_b64 s[6:7], -1
                                        ; implicit-def: $vgpr10
.LBB40_2560:
	s_andn2_b64 vcc, exec, s[6:7]
	s_cbranch_vccnz .LBB40_2562
; %bb.2561:
	global_load_ushort v7, v[8:9], off
	s_waitcnt vmcnt(0)
	v_cvt_f32_u32_e32 v10, v7
.LBB40_2562:
	s_mov_b64 s[6:7], 0
.LBB40_2563:
	s_andn2_b64 vcc, exec, s[6:7]
	s_cbranch_vccnz .LBB40_2571
; %bb.2564:
	global_load_ubyte v7, v[8:9], off
	s_movk_i32 s6, 0x7f
                                        ; implicit-def: $sgpr18
	s_waitcnt vmcnt(0)
	v_cmp_lt_i16_e32 vcc, s6, v7
	s_mov_b64 s[6:7], 0
	s_and_saveexec_b64 s[10:11], vcc
	s_xor_b64 s[10:11], exec, s[10:11]
	s_cbranch_execz .LBB40_2585
; %bb.2565:
	s_movk_i32 s6, 0x80
	v_cmp_eq_u16_e32 vcc, s6, v7
	s_mov_b64 s[6:7], -1
                                        ; implicit-def: $sgpr18
	s_and_saveexec_b64 s[16:17], vcc
; %bb.2566:
	s_mov_b32 s18, 0x7f800001
	s_xor_b64 s[6:7], exec, -1
; %bb.2567:
	s_or_b64 exec, exec, s[16:17]
	s_and_b64 s[6:7], s[6:7], exec
	s_or_saveexec_b64 s[10:11], s[10:11]
	v_mov_b32_e32 v10, s18
	s_xor_b64 exec, exec, s[10:11]
	s_cbranch_execnz .LBB40_2586
.LBB40_2568:
	s_or_b64 exec, exec, s[10:11]
	s_and_saveexec_b64 s[10:11], s[6:7]
	s_cbranch_execz .LBB40_2570
.LBB40_2569:
	v_lshlrev_b32_e32 v10, 24, v7
	v_and_b32_e32 v7, 0xffff, v7
	v_and_b32_e32 v11, 7, v7
	v_ffbh_u32_e32 v15, v11
	v_min_u32_e32 v15, 32, v15
	v_subrev_u32_e32 v17, 28, v15
	v_bfe_u32 v13, v7, 3, 4
	v_lshlrev_b32_e32 v7, v17, v7
	v_sub_u32_e32 v15, 29, v15
	v_and_b32_e32 v7, 7, v7
	v_cmp_eq_u32_e32 vcc, 0, v13
	v_cndmask_b32_e32 v13, v13, v15, vcc
	v_cndmask_b32_e32 v7, v11, v7, vcc
	v_mov_b32_e32 v11, 0x3b800000
	v_lshlrev_b32_e32 v7, 20, v7
	v_and_b32_e32 v10, 0x80000000, v10
	v_lshl_add_u32 v11, v13, 23, v11
	v_or3_b32 v10, v10, v11, v7
.LBB40_2570:
	s_or_b64 exec, exec, s[10:11]
.LBB40_2571:
	s_mov_b64 s[6:7], -1
.LBB40_2572:
	s_mov_b64 s[10:11], 0
.LBB40_2573:
	s_and_b64 vcc, exec, s[10:11]
	s_cbranch_vccz .LBB40_2606
; %bb.2574:
	v_cmp_gt_i16_e64 s[2:3], s26, 22
	s_and_b64 vcc, exec, s[2:3]
	s_cbranch_vccz .LBB40_2584
; %bb.2575:
	v_cmp_lt_i16_e64 s[2:3], s26, 24
	s_and_b64 vcc, exec, s[2:3]
	s_cbranch_vccnz .LBB40_2587
; %bb.2576:
	v_cmp_gt_i16_e64 s[2:3], s26, 24
	s_and_b64 vcc, exec, s[2:3]
	s_cbranch_vccz .LBB40_2588
; %bb.2577:
	global_load_ubyte v7, v[8:9], off
	s_movk_i32 s2, 0x7f
                                        ; implicit-def: $sgpr16
	s_waitcnt vmcnt(0)
	v_cmp_lt_i16_e32 vcc, s2, v7
	s_mov_b64 s[2:3], 0
	s_and_saveexec_b64 s[6:7], vcc
	s_xor_b64 s[6:7], exec, s[6:7]
	s_cbranch_execz .LBB40_2600
; %bb.2578:
	s_movk_i32 s2, 0x80
	v_cmp_eq_u16_e32 vcc, s2, v7
	s_mov_b64 s[2:3], -1
                                        ; implicit-def: $sgpr16
	s_and_saveexec_b64 s[10:11], vcc
; %bb.2579:
	s_mov_b32 s16, 0x7f800001
	s_xor_b64 s[2:3], exec, -1
; %bb.2580:
	s_or_b64 exec, exec, s[10:11]
	s_and_b64 s[2:3], s[2:3], exec
	s_or_saveexec_b64 s[6:7], s[6:7]
	v_mov_b32_e32 v10, s16
	s_xor_b64 exec, exec, s[6:7]
	s_cbranch_execnz .LBB40_2601
.LBB40_2581:
	s_or_b64 exec, exec, s[6:7]
	s_and_saveexec_b64 s[6:7], s[2:3]
	s_cbranch_execz .LBB40_2583
.LBB40_2582:
	v_lshlrev_b32_e32 v10, 24, v7
	v_and_b32_e32 v7, 0xffff, v7
	v_and_b32_e32 v11, 3, v7
	v_ffbh_u32_e32 v15, v11
	v_min_u32_e32 v15, 32, v15
	v_subrev_u32_e32 v17, 29, v15
	v_bfe_u32 v13, v7, 2, 5
	v_lshlrev_b32_e32 v7, v17, v7
	v_sub_u32_e32 v15, 30, v15
	v_and_b32_e32 v7, 3, v7
	v_cmp_eq_u32_e32 vcc, 0, v13
	v_cndmask_b32_e32 v13, v13, v15, vcc
	v_cndmask_b32_e32 v7, v11, v7, vcc
	v_mov_b32_e32 v11, 0x37800000
	v_lshlrev_b32_e32 v7, 21, v7
	v_and_b32_e32 v10, 0x80000000, v10
	v_lshl_add_u32 v11, v13, 23, v11
	v_or3_b32 v10, v10, v11, v7
.LBB40_2583:
	s_or_b64 exec, exec, s[6:7]
	s_mov_b64 s[2:3], 0
	s_branch .LBB40_2589
.LBB40_2584:
	s_mov_b64 s[2:3], -1
                                        ; implicit-def: $vgpr10
	s_branch .LBB40_2595
.LBB40_2585:
	s_or_saveexec_b64 s[10:11], s[10:11]
	v_mov_b32_e32 v10, s18
	s_xor_b64 exec, exec, s[10:11]
	s_cbranch_execz .LBB40_2568
.LBB40_2586:
	v_cmp_ne_u16_e32 vcc, 0, v7
	s_andn2_b64 s[6:7], s[6:7], exec
	s_and_b64 s[16:17], vcc, exec
	v_mov_b32_e32 v10, 0
	s_or_b64 s[6:7], s[6:7], s[16:17]
	s_or_b64 exec, exec, s[10:11]
	s_and_saveexec_b64 s[10:11], s[6:7]
	s_cbranch_execnz .LBB40_2569
	s_branch .LBB40_2570
.LBB40_2587:
	s_mov_b64 s[2:3], -1
                                        ; implicit-def: $vgpr10
	s_branch .LBB40_2592
.LBB40_2588:
	s_mov_b64 s[2:3], -1
                                        ; implicit-def: $vgpr10
.LBB40_2589:
	s_and_b64 vcc, exec, s[2:3]
	s_cbranch_vccz .LBB40_2591
; %bb.2590:
	global_load_ubyte v7, v[8:9], off
	s_mov_b32 s2, 0x7f800000
	s_waitcnt vmcnt(0)
	v_lshlrev_b32_e32 v7, 24, v7
	v_and_b32_e32 v10, 0x7f000000, v7
	v_ffbh_u32_e32 v11, v10
	v_min_u32_e32 v11, 32, v11
	v_sub_u32_e64 v11, v11, 4 clamp
	v_lshlrev_b32_e32 v15, v11, v10
	v_lshlrev_b32_e32 v11, 23, v11
	v_lshrrev_b32_e32 v15, 4, v15
	v_add_u32_e32 v13, 0x1000000, v10
	v_sub_u32_e32 v11, v15, v11
	v_ashrrev_i32_e32 v13, 8, v13
	v_add_u32_e32 v11, 0x3c000000, v11
	v_and_or_b32 v11, v13, s2, v11
	v_cmp_ne_u32_e32 vcc, 0, v10
	v_cndmask_b32_e32 v10, 0, v11, vcc
	s_brev_b32 s2, 1
	v_and_or_b32 v10, v7, s2, v10
.LBB40_2591:
	s_mov_b64 s[2:3], 0
.LBB40_2592:
	s_andn2_b64 vcc, exec, s[2:3]
	s_cbranch_vccnz .LBB40_2594
; %bb.2593:
	global_load_ubyte v7, v[8:9], off
	s_movk_i32 s2, 0x7f00
	s_brev_b32 s3, 16
	s_waitcnt vmcnt(0)
	v_lshlrev_b16_e32 v10, 8, v7
	v_lshlrev_b32_e32 v7, 25, v7
	v_lshrrev_b32_e32 v11, 4, v7
	v_and_or_b32 v13, v10, s2, 0.5
	v_or_b32_e32 v11, 0x70000000, v11
	v_add_f32_e32 v13, -0.5, v13
	v_mul_f32_e32 v11, 0x7800000, v11
	v_cmp_gt_u32_e32 vcc, s3, v7
	v_bfe_i32 v10, v10, 0, 16
	v_cndmask_b32_e32 v7, v11, v13, vcc
	s_brev_b32 s2, 1
	v_and_or_b32 v10, v10, s2, v7
.LBB40_2594:
	s_mov_b64 s[2:3], 0
	s_mov_b64 s[6:7], -1
.LBB40_2595:
	s_andn2_b64 vcc, exec, s[2:3]
	s_mov_b64 s[2:3], 0
	s_cbranch_vccnz .LBB40_2606
; %bb.2596:
	v_cmp_gt_i16_e64 s[2:3], s26, 14
	s_and_b64 vcc, exec, s[2:3]
	s_cbranch_vccz .LBB40_2599
; %bb.2597:
	v_cmp_eq_u16_e64 s[0:1], s26, 15
	s_and_b64 vcc, exec, s[0:1]
	s_cbranch_vccz .LBB40_2602
; %bb.2598:
	global_load_ushort v7, v[8:9], off
	s_mov_b64 s[0:1], 0
	s_mov_b64 s[6:7], -1
	s_waitcnt vmcnt(0)
	v_lshlrev_b32_e32 v10, 16, v7
	s_branch .LBB40_2603
.LBB40_2599:
	s_mov_b64 s[10:11], -1
                                        ; implicit-def: $vgpr10
	s_branch .LBB40_2604
.LBB40_2600:
	s_or_saveexec_b64 s[6:7], s[6:7]
	v_mov_b32_e32 v10, s16
	s_xor_b64 exec, exec, s[6:7]
	s_cbranch_execz .LBB40_2581
.LBB40_2601:
	v_cmp_ne_u16_e32 vcc, 0, v7
	s_andn2_b64 s[2:3], s[2:3], exec
	s_and_b64 s[10:11], vcc, exec
	v_mov_b32_e32 v10, 0
	s_or_b64 s[2:3], s[2:3], s[10:11]
	s_or_b64 exec, exec, s[6:7]
	s_and_saveexec_b64 s[6:7], s[2:3]
	s_cbranch_execnz .LBB40_2582
	s_branch .LBB40_2583
.LBB40_2602:
	s_mov_b64 s[0:1], -1
                                        ; implicit-def: $vgpr10
.LBB40_2603:
	s_mov_b64 s[10:11], 0
.LBB40_2604:
	s_mov_b64 s[2:3], 0
	s_and_b64 vcc, exec, s[10:11]
	s_cbranch_vccz .LBB40_2606
; %bb.2605:
	v_cmp_ne_u16_e64 s[0:1], s26, 11
	s_mov_b64 s[2:3], -1
                                        ; implicit-def: $vgpr10
.LBB40_2606:
	s_and_b64 vcc, exec, s[0:1]
	s_cbranch_vccnz .LBB40_2670
; %bb.2607:
	s_andn2_b64 vcc, exec, s[2:3]
	s_cbranch_vccnz .LBB40_2609
.LBB40_2608:
	global_load_ubyte v7, v[8:9], off
	s_mov_b64 s[6:7], -1
	s_waitcnt vmcnt(0)
	v_cmp_ne_u16_e32 vcc, 0, v7
	v_cndmask_b32_e64 v10, 0, 1.0, vcc
.LBB40_2609:
	s_mov_b64 s[0:1], 0
.LBB40_2610:
	s_and_b64 vcc, exec, s[0:1]
	s_cbranch_vccz .LBB40_2659
; %bb.2611:
	v_cmp_lt_i16_e64 s[0:1], s26, 5
	s_and_b64 vcc, exec, s[0:1]
	s_cbranch_vccnz .LBB40_2616
; %bb.2612:
	v_cmp_lt_i16_e64 s[0:1], s26, 8
	s_and_b64 vcc, exec, s[0:1]
	s_cbranch_vccnz .LBB40_2617
	;; [unrolled: 4-line block ×3, first 2 shown]
; %bb.2614:
	v_cmp_gt_i16_e64 s[0:1], s26, 9
	s_and_b64 vcc, exec, s[0:1]
	s_cbranch_vccz .LBB40_2619
; %bb.2615:
	global_load_dwordx2 v[10:11], v[8:9], off
	s_mov_b64 s[0:1], 0
	s_waitcnt vmcnt(0)
	v_cvt_f32_f64_e32 v10, v[10:11]
	s_branch .LBB40_2620
.LBB40_2616:
	s_mov_b64 s[0:1], -1
                                        ; implicit-def: $vgpr10
	s_branch .LBB40_2638
.LBB40_2617:
	s_mov_b64 s[0:1], -1
                                        ; implicit-def: $vgpr10
	s_branch .LBB40_2626
.LBB40_2618:
	s_mov_b64 s[0:1], -1
                                        ; implicit-def: $vgpr10
	s_branch .LBB40_2623
.LBB40_2619:
	s_mov_b64 s[0:1], -1
                                        ; implicit-def: $vgpr10
.LBB40_2620:
	s_andn2_b64 vcc, exec, s[0:1]
	s_cbranch_vccnz .LBB40_2622
; %bb.2621:
	global_load_dword v10, v[8:9], off
.LBB40_2622:
	s_mov_b64 s[0:1], 0
.LBB40_2623:
	s_andn2_b64 vcc, exec, s[0:1]
	s_cbranch_vccnz .LBB40_2625
; %bb.2624:
	global_load_dword v7, v[8:9], off
	s_waitcnt vmcnt(0)
	v_cvt_f32_f16_e32 v10, v7
.LBB40_2625:
	s_mov_b64 s[0:1], 0
.LBB40_2626:
	s_andn2_b64 vcc, exec, s[0:1]
	s_cbranch_vccnz .LBB40_2637
; %bb.2627:
	v_cmp_lt_i16_e64 s[0:1], s26, 6
	s_and_b64 vcc, exec, s[0:1]
	s_cbranch_vccnz .LBB40_2630
; %bb.2628:
	v_cmp_gt_i16_e64 s[0:1], s26, 6
	s_and_b64 vcc, exec, s[0:1]
	s_cbranch_vccz .LBB40_2631
; %bb.2629:
	global_load_dwordx2 v[10:11], v[8:9], off
	s_mov_b64 s[0:1], 0
	s_waitcnt vmcnt(0)
	v_cvt_f32_f64_e32 v10, v[10:11]
	s_branch .LBB40_2632
.LBB40_2630:
	s_mov_b64 s[0:1], -1
                                        ; implicit-def: $vgpr10
	s_branch .LBB40_2635
.LBB40_2631:
	s_mov_b64 s[0:1], -1
                                        ; implicit-def: $vgpr10
.LBB40_2632:
	s_andn2_b64 vcc, exec, s[0:1]
	s_cbranch_vccnz .LBB40_2634
; %bb.2633:
	global_load_dword v10, v[8:9], off
.LBB40_2634:
	s_mov_b64 s[0:1], 0
.LBB40_2635:
	s_andn2_b64 vcc, exec, s[0:1]
	s_cbranch_vccnz .LBB40_2637
; %bb.2636:
	global_load_ushort v7, v[8:9], off
	s_waitcnt vmcnt(0)
	v_cvt_f32_f16_e32 v10, v7
.LBB40_2637:
	s_mov_b64 s[0:1], 0
.LBB40_2638:
	s_andn2_b64 vcc, exec, s[0:1]
	s_cbranch_vccnz .LBB40_2658
; %bb.2639:
	v_cmp_lt_i16_e64 s[0:1], s26, 2
	s_and_b64 vcc, exec, s[0:1]
	s_cbranch_vccnz .LBB40_2643
; %bb.2640:
	v_cmp_lt_i16_e64 s[0:1], s26, 3
	s_and_b64 vcc, exec, s[0:1]
	s_cbranch_vccnz .LBB40_2644
; %bb.2641:
	v_cmp_gt_i16_e64 s[0:1], s26, 3
	s_and_b64 vcc, exec, s[0:1]
	s_cbranch_vccz .LBB40_2645
; %bb.2642:
	global_load_dwordx2 v[10:11], v[8:9], off
	s_mov_b64 s[0:1], 0
	s_waitcnt vmcnt(0)
	v_xor_b32_e32 v13, v10, v11
	v_ffbh_i32_e32 v7, v11
	v_ashrrev_i32_e32 v13, 31, v13
	v_add_u32_e32 v7, -1, v7
	v_add_u32_e32 v13, 32, v13
	v_min_u32_e32 v7, v7, v13
	v_lshlrev_b64 v[10:11], v7, v[10:11]
	v_min_u32_e32 v10, 1, v10
	v_or_b32_e32 v10, v11, v10
	v_cvt_f32_i32_e32 v10, v10
	v_sub_u32_e32 v7, 32, v7
	v_ldexp_f32 v10, v10, v7
	s_branch .LBB40_2646
.LBB40_2643:
	s_mov_b64 s[0:1], -1
                                        ; implicit-def: $vgpr10
	s_branch .LBB40_2652
.LBB40_2644:
	s_mov_b64 s[0:1], -1
                                        ; implicit-def: $vgpr10
	s_branch .LBB40_2649
.LBB40_2645:
	s_mov_b64 s[0:1], -1
                                        ; implicit-def: $vgpr10
.LBB40_2646:
	s_andn2_b64 vcc, exec, s[0:1]
	s_cbranch_vccnz .LBB40_2648
; %bb.2647:
	global_load_dword v7, v[8:9], off
	s_waitcnt vmcnt(0)
	v_cvt_f32_i32_e32 v10, v7
.LBB40_2648:
	s_mov_b64 s[0:1], 0
.LBB40_2649:
	s_andn2_b64 vcc, exec, s[0:1]
	s_cbranch_vccnz .LBB40_2651
; %bb.2650:
	global_load_sshort v7, v[8:9], off
	s_waitcnt vmcnt(0)
	v_cvt_f32_i32_e32 v10, v7
.LBB40_2651:
	s_mov_b64 s[0:1], 0
.LBB40_2652:
	s_andn2_b64 vcc, exec, s[0:1]
	s_cbranch_vccnz .LBB40_2658
; %bb.2653:
	v_cmp_gt_i16_e64 s[0:1], s26, 0
	s_and_b64 vcc, exec, s[0:1]
	s_cbranch_vccz .LBB40_2655
; %bb.2654:
	global_load_sbyte v7, v[8:9], off
	s_mov_b64 s[0:1], 0
	s_waitcnt vmcnt(0)
	v_cvt_f32_i32_e32 v10, v7
	s_branch .LBB40_2656
.LBB40_2655:
	s_mov_b64 s[0:1], -1
                                        ; implicit-def: $vgpr10
.LBB40_2656:
	s_andn2_b64 vcc, exec, s[0:1]
	s_cbranch_vccnz .LBB40_2658
; %bb.2657:
	global_load_ubyte v7, v[8:9], off
	s_waitcnt vmcnt(0)
	v_cvt_f32_ubyte0_e32 v10, v7
.LBB40_2658:
	s_mov_b64 s[6:7], -1
.LBB40_2659:
	s_andn2_b64 vcc, exec, s[6:7]
	s_cbranch_vccnz .LBB40_3113
; %bb.2660:
	s_waitcnt vmcnt(0)
	v_mul_f32_e32 v3, v1, v3
	v_cmp_lt_f32_e32 vcc, 0, v1
	v_cndmask_b32_e32 v8, v3, v1, vcc
	v_mov_b32_e32 v1, s9
	v_add_co_u32_e32 v6, vcc, s8, v6
	s_lshr_b32 s18, s24, 8
	v_addc_co_u32_e32 v7, vcc, 0, v1, vcc
	v_mov_b32_e32 v1, 11
	v_cmp_lt_i16_sdwa s[0:1], s18, v1 src0_sel:BYTE_0 src1_sel:DWORD
	s_and_b64 vcc, exec, s[0:1]
	s_cbranch_vccnz .LBB40_2667
; %bb.2661:
	v_mov_b32_e32 v1, 25
	v_cmp_gt_i16_sdwa s[0:1], s18, v1 src0_sel:BYTE_0 src1_sel:DWORD
	s_mov_b64 s[10:11], -1
	s_mov_b64 s[2:3], 0
	s_and_b64 vcc, exec, s[0:1]
	s_mov_b64 s[6:7], 0
	s_mov_b64 s[0:1], 0
	s_cbranch_vccz .LBB40_2699
; %bb.2662:
	v_mov_b32_e32 v1, 28
	v_cmp_gt_i16_sdwa s[0:1], s18, v1 src0_sel:BYTE_0 src1_sel:DWORD
	s_and_b64 vcc, exec, s[0:1]
	s_cbranch_vccz .LBB40_2668
; %bb.2663:
	v_mov_b32_e32 v1, 43
	v_cmp_gt_i16_sdwa s[0:1], s18, v1 src0_sel:BYTE_0 src1_sel:DWORD
	s_and_b64 vcc, exec, s[0:1]
	;; [unrolled: 5-line block ×3, first 2 shown]
	s_cbranch_vccz .LBB40_2671
; %bb.2665:
	v_mov_b32_e32 v1, 46
	v_cmp_eq_u16_sdwa s[6:7], s18, v1 src0_sel:BYTE_0 src1_sel:DWORD
	s_mov_b64 s[0:1], -1
	s_mov_b64 s[10:11], 0
	s_and_b64 vcc, exec, s[6:7]
	s_mov_b64 s[6:7], 0
	s_cbranch_vccz .LBB40_2672
; %bb.2666:
	v_bfe_u32 v1, v8, 16, 1
	s_movk_i32 s0, 0x7fff
	v_add3_u32 v1, v8, v1, s0
	v_lshrrev_b32_e32 v1, 16, v1
	v_mov_b32_e32 v3, 0x7fc0
	v_cmp_o_f32_e32 vcc, v8, v8
	v_cndmask_b32_e32 v1, v3, v1, vcc
	global_store_dword v[6:7], v1, off
	s_mov_b64 s[0:1], 0
	s_mov_b64 s[6:7], -1
	s_branch .LBB40_2672
.LBB40_2667:
	s_mov_b64 s[0:1], -1
	s_mov_b64 s[6:7], 0
	s_branch .LBB40_2743
.LBB40_2668:
	s_mov_b64 s[0:1], 0
	s_branch .LBB40_2682
.LBB40_2669:
	s_mov_b64 s[0:1], 0
	s_branch .LBB40_2678
.LBB40_2670:
	s_trap 2
	s_or_b64 s[4:5], s[4:5], exec
                                        ; implicit-def: $vgpr10
	s_cbranch_execz .LBB40_2608
	s_branch .LBB40_2609
.LBB40_2671:
	s_mov_b64 s[0:1], 0
.LBB40_2672:
	s_and_b64 vcc, exec, s[10:11]
	s_cbranch_vccz .LBB40_2677
; %bb.2673:
	v_mov_b32_e32 v1, 44
	v_cmp_eq_u16_sdwa s[10:11], s18, v1 src0_sel:BYTE_0 src1_sel:DWORD
	s_mov_b64 s[0:1], -1
	s_and_b64 vcc, exec, s[10:11]
	s_cbranch_vccz .LBB40_2677
; %bb.2674:
	v_bfe_u32 v1, v8, 23, 8
	s_movk_i32 s0, 0xff
	v_cmp_ne_u32_e32 vcc, s0, v1
	v_mov_b32_e32 v3, 0xff
	s_and_saveexec_b64 s[6:7], vcc
; %bb.2675:
	s_mov_b32 s0, 0x3fffff
	v_and_b32_e32 v9, 0x400000, v8
	v_and_or_b32 v1, v8, s0, v1
	v_cmp_ne_u32_e32 vcc, 0, v9
	v_cmp_ne_u32_e64 s[0:1], 0, v1
	s_and_b64 s[0:1], vcc, s[0:1]
	v_lshrrev_b32_e32 v3, 23, v8
	v_cndmask_b32_e64 v1, 0, 1, s[0:1]
	v_add_u32_e32 v3, v3, v1
; %bb.2676:
	s_or_b64 exec, exec, s[6:7]
	s_mov_b64 s[0:1], 0
	s_mov_b64 s[6:7], -1
	global_store_byte v[6:7], v3, off
.LBB40_2677:
	s_mov_b64 s[10:11], 0
.LBB40_2678:
	s_and_b64 vcc, exec, s[10:11]
	s_cbranch_vccz .LBB40_2681
; %bb.2679:
	v_mov_b32_e32 v1, 29
	v_cmp_eq_u16_sdwa s[10:11], s18, v1 src0_sel:BYTE_0 src1_sel:DWORD
	s_mov_b64 s[0:1], -1
	s_and_b64 vcc, exec, s[10:11]
	s_cbranch_vccz .LBB40_2681
; %bb.2680:
	v_trunc_f32_e32 v1, v8
	v_mul_f32_e32 v3, 0x2f800000, v1
	v_floor_f32_e32 v3, v3
	v_fmac_f32_e32 v1, 0xcf800000, v3
	v_cvt_u32_f32_e32 v21, v3
	v_cvt_u32_f32_e32 v20, v1
	s_mov_b64 s[0:1], 0
	s_mov_b64 s[6:7], -1
	s_mov_b64 s[10:11], 0
	global_store_dwordx2 v[6:7], v[20:21], off
	s_branch .LBB40_2682
.LBB40_2681:
	s_mov_b64 s[10:11], 0
.LBB40_2682:
	s_and_b64 vcc, exec, s[10:11]
	s_cbranch_vccz .LBB40_2698
; %bb.2683:
	v_mov_b32_e32 v1, 27
	v_cmp_lt_i16_sdwa s[10:11], s18, v1 src0_sel:BYTE_0 src1_sel:DWORD
	s_mov_b64 s[6:7], -1
	s_and_b64 vcc, exec, s[10:11]
	s_cbranch_vccnz .LBB40_2689
; %bb.2684:
	v_cmp_gt_i16_sdwa s[10:11], s18, v1 src0_sel:BYTE_0 src1_sel:DWORD
	v_cvt_u32_f32_e32 v1, v8
	s_and_b64 vcc, exec, s[10:11]
	s_cbranch_vccz .LBB40_2686
; %bb.2685:
	s_mov_b64 s[6:7], 0
	global_store_dword v[6:7], v1, off
.LBB40_2686:
	s_andn2_b64 vcc, exec, s[6:7]
	s_cbranch_vccnz .LBB40_2688
; %bb.2687:
	global_store_short v[6:7], v1, off
.LBB40_2688:
	s_mov_b64 s[6:7], 0
.LBB40_2689:
	s_andn2_b64 vcc, exec, s[6:7]
	s_cbranch_vccnz .LBB40_2697
; %bb.2690:
	v_and_b32_e32 v1, 0x7fffffff, v8
	s_mov_b32 s6, 0x43800000
	v_cmp_gt_u32_e32 vcc, s6, v1
	v_mov_b32_e32 v3, 0x80
	s_and_saveexec_b64 s[6:7], vcc
	s_cbranch_execz .LBB40_2696
; %bb.2691:
	s_mov_b32 s10, 0x3bffffff
	v_cmp_lt_u32_e32 vcc, s10, v1
	s_mov_b64 s[10:11], 0
                                        ; implicit-def: $vgpr1
	s_and_saveexec_b64 s[16:17], vcc
	s_xor_b64 s[16:17], exec, s[16:17]
	s_cbranch_execz .LBB40_2792
; %bb.2692:
	v_bfe_u32 v1, v8, 20, 1
	s_mov_b32 s19, 0x487ffff
	v_add3_u32 v1, v8, v1, s19
	s_mov_b64 s[10:11], exec
	v_lshrrev_b32_e32 v1, 20, v1
	s_or_saveexec_b64 s[16:17], s[16:17]
                                        ; implicit-def: $sgpr19
	s_xor_b64 exec, exec, s[16:17]
	s_cbranch_execnz .LBB40_2793
.LBB40_2693:
	s_or_b64 exec, exec, s[16:17]
	v_mov_b32_e32 v3, s19
	s_and_saveexec_b64 s[16:17], s[10:11]
.LBB40_2694:
	v_lshrrev_b32_e32 v3, 24, v8
	s_movk_i32 s10, 0x80
	v_and_or_b32 v3, v3, s10, v1
.LBB40_2695:
	s_or_b64 exec, exec, s[16:17]
.LBB40_2696:
	s_or_b64 exec, exec, s[6:7]
	global_store_byte v[6:7], v3, off
.LBB40_2697:
	s_mov_b64 s[6:7], -1
.LBB40_2698:
	s_mov_b64 s[10:11], 0
.LBB40_2699:
	s_and_b64 vcc, exec, s[10:11]
	s_cbranch_vccz .LBB40_2739
; %bb.2700:
	v_mov_b32_e32 v1, 22
	v_cmp_gt_i16_sdwa s[10:11], s18, v1 src0_sel:BYTE_0 src1_sel:DWORD
	s_mov_b64 s[2:3], -1
	s_and_b64 vcc, exec, s[10:11]
	s_cbranch_vccz .LBB40_2732
; %bb.2701:
	v_mov_b32_e32 v1, 24
	v_cmp_lt_i16_sdwa s[6:7], s18, v1 src0_sel:BYTE_0 src1_sel:DWORD
	s_and_b64 vcc, exec, s[6:7]
	s_cbranch_vccnz .LBB40_2721
; %bb.2702:
	v_cmp_gt_i16_sdwa s[6:7], s18, v1 src0_sel:BYTE_0 src1_sel:DWORD
	s_and_b64 vcc, exec, s[6:7]
	s_cbranch_vccz .LBB40_2710
; %bb.2703:
	v_and_b32_e32 v1, 0x7fffffff, v8
	s_mov_b32 s2, 0x47800000
	v_cmp_gt_u32_e32 vcc, s2, v1
	v_mov_b32_e32 v3, 0x80
	s_and_saveexec_b64 s[2:3], vcc
	s_cbranch_execz .LBB40_2709
; %bb.2704:
	s_mov_b32 s6, 0x37ffffff
	v_cmp_lt_u32_e32 vcc, s6, v1
	s_mov_b64 s[6:7], 0
                                        ; implicit-def: $vgpr1
	s_and_saveexec_b64 s[10:11], vcc
	s_xor_b64 s[10:11], exec, s[10:11]
	s_cbranch_execz .LBB40_2796
; %bb.2705:
	v_bfe_u32 v1, v8, 21, 1
	s_mov_b32 s16, 0x88fffff
	v_add3_u32 v1, v8, v1, s16
	s_mov_b64 s[6:7], exec
	v_lshrrev_b32_e32 v1, 21, v1
	s_or_saveexec_b64 s[10:11], s[10:11]
                                        ; implicit-def: $sgpr16
	s_xor_b64 exec, exec, s[10:11]
	s_cbranch_execnz .LBB40_2797
.LBB40_2706:
	s_or_b64 exec, exec, s[10:11]
	v_mov_b32_e32 v3, s16
	s_and_saveexec_b64 s[10:11], s[6:7]
.LBB40_2707:
	v_lshrrev_b32_e32 v3, 24, v8
	s_movk_i32 s6, 0x80
	v_and_or_b32 v3, v3, s6, v1
.LBB40_2708:
	s_or_b64 exec, exec, s[10:11]
.LBB40_2709:
	s_or_b64 exec, exec, s[2:3]
	s_mov_b64 s[2:3], 0
	global_store_byte v[6:7], v3, off
.LBB40_2710:
	s_and_b64 vcc, exec, s[2:3]
	s_cbranch_vccz .LBB40_2720
; %bb.2711:
	v_and_b32_e32 v3, 0x7fffffff, v8
	s_mov_b32 s2, 0x43f00000
	v_cmp_gt_u32_e32 vcc, s2, v3
                                        ; implicit-def: $vgpr1
	s_and_saveexec_b64 s[2:3], vcc
	s_xor_b64 s[2:3], exec, s[2:3]
	s_cbranch_execz .LBB40_2717
; %bb.2712:
	s_mov_b32 s6, 0x3c7fffff
	v_cmp_lt_u32_e32 vcc, s6, v3
                                        ; implicit-def: $vgpr1
	s_and_saveexec_b64 s[6:7], vcc
	s_xor_b64 s[6:7], exec, s[6:7]
; %bb.2713:
	v_bfe_u32 v1, v8, 20, 1
	s_mov_b32 s10, 0x407ffff
	v_add3_u32 v1, v8, v1, s10
	v_lshrrev_b32_e32 v3, 20, v1
	v_and_b32_e32 v1, 0xff00000, v1
	s_mov_b32 s10, 0x7f00000
	v_mov_b32_e32 v9, 0x7e
	v_cmp_ne_u32_e32 vcc, s10, v1
	v_cndmask_b32_e32 v1, v9, v3, vcc
; %bb.2714:
	s_andn2_saveexec_b64 s[6:7], s[6:7]
; %bb.2715:
	s_mov_b32 s10, 0x46800000
	v_add_f32_e64 v1, |v8|, s10
; %bb.2716:
	s_or_b64 exec, exec, s[6:7]
                                        ; implicit-def: $vgpr3
.LBB40_2717:
	s_andn2_saveexec_b64 s[2:3], s[2:3]
; %bb.2718:
	s_mov_b32 s6, 0x7f800000
	v_mov_b32_e32 v1, 0x7e
	v_mov_b32_e32 v9, 0x7f
	v_cmp_lt_u32_e32 vcc, s6, v3
	v_cndmask_b32_e32 v1, v1, v9, vcc
; %bb.2719:
	s_or_b64 exec, exec, s[2:3]
	v_lshrrev_b32_e32 v3, 24, v8
	s_movk_i32 s2, 0x80
	v_and_or_b32 v1, v3, s2, v1
	global_store_byte v[6:7], v1, off
.LBB40_2720:
	s_mov_b64 s[2:3], 0
.LBB40_2721:
	s_andn2_b64 vcc, exec, s[2:3]
	s_cbranch_vccnz .LBB40_2731
; %bb.2722:
	v_and_b32_e32 v3, 0x7fffffff, v8
	s_mov_b32 s2, 0x47800000
	v_cmp_gt_u32_e32 vcc, s2, v3
                                        ; implicit-def: $vgpr1
	s_and_saveexec_b64 s[2:3], vcc
	s_xor_b64 s[2:3], exec, s[2:3]
	s_cbranch_execz .LBB40_2728
; %bb.2723:
	s_mov_b32 s6, 0x387fffff
	v_cmp_lt_u32_e32 vcc, s6, v3
                                        ; implicit-def: $vgpr1
	s_and_saveexec_b64 s[6:7], vcc
	s_xor_b64 s[6:7], exec, s[6:7]
; %bb.2724:
	v_bfe_u32 v1, v8, 21, 1
	s_mov_b32 s10, 0x80fffff
	v_add3_u32 v1, v8, v1, s10
	v_lshrrev_b32_e32 v1, 21, v1
; %bb.2725:
	s_andn2_saveexec_b64 s[6:7], s[6:7]
; %bb.2726:
	s_mov_b32 s10, 0x43000000
	v_add_f32_e64 v1, |v8|, s10
; %bb.2727:
	s_or_b64 exec, exec, s[6:7]
                                        ; implicit-def: $vgpr3
.LBB40_2728:
	s_andn2_saveexec_b64 s[2:3], s[2:3]
; %bb.2729:
	s_mov_b32 s6, 0x7f800000
	v_mov_b32_e32 v1, 0x7c
	v_mov_b32_e32 v9, 0x7f
	v_cmp_lt_u32_e32 vcc, s6, v3
	v_cndmask_b32_e32 v1, v1, v9, vcc
; %bb.2730:
	s_or_b64 exec, exec, s[2:3]
	v_lshrrev_b32_e32 v3, 24, v8
	s_movk_i32 s2, 0x80
	v_and_or_b32 v1, v3, s2, v1
	global_store_byte v[6:7], v1, off
.LBB40_2731:
	s_mov_b64 s[2:3], 0
	s_mov_b64 s[6:7], -1
.LBB40_2732:
	s_andn2_b64 vcc, exec, s[2:3]
	s_mov_b64 s[2:3], 0
	s_cbranch_vccnz .LBB40_2739
; %bb.2733:
	v_mov_b32_e32 v1, 14
	v_cmp_gt_i16_sdwa s[2:3], s18, v1 src0_sel:BYTE_0 src1_sel:DWORD
	s_mov_b64 s[10:11], -1
	s_and_b64 vcc, exec, s[2:3]
	s_cbranch_vccz .LBB40_2737
; %bb.2734:
	v_mov_b32_e32 v1, 15
	v_cmp_eq_u16_sdwa s[2:3], s18, v1 src0_sel:BYTE_0 src1_sel:DWORD
	s_mov_b64 s[0:1], -1
	s_and_b64 vcc, exec, s[2:3]
	s_cbranch_vccz .LBB40_2736
; %bb.2735:
	v_bfe_u32 v1, v8, 16, 1
	s_movk_i32 s0, 0x7fff
	v_add3_u32 v1, v8, v1, s0
	v_lshrrev_b32_e32 v1, 16, v1
	v_mov_b32_e32 v3, 0x7fc0
	v_cmp_o_f32_e32 vcc, v8, v8
	v_cndmask_b32_e32 v1, v3, v1, vcc
	global_store_short v[6:7], v1, off
	s_mov_b64 s[0:1], 0
	s_mov_b64 s[6:7], -1
.LBB40_2736:
	s_mov_b64 s[10:11], 0
.LBB40_2737:
	s_mov_b64 s[2:3], 0
	s_and_b64 vcc, exec, s[10:11]
	s_cbranch_vccz .LBB40_2739
; %bb.2738:
	v_mov_b32_e32 v1, 11
	v_cmp_ne_u16_sdwa s[0:1], s18, v1 src0_sel:BYTE_0 src1_sel:DWORD
	s_mov_b64 s[2:3], -1
.LBB40_2739:
	s_and_b64 vcc, exec, s[0:1]
	s_cbranch_vccnz .LBB40_2795
; %bb.2740:
	s_andn2_b64 vcc, exec, s[2:3]
	s_cbranch_vccnz .LBB40_2742
.LBB40_2741:
	v_cmp_neq_f32_e32 vcc, 0, v8
	v_cndmask_b32_e64 v1, 0, 1, vcc
	s_mov_b64 s[6:7], -1
	global_store_byte v[6:7], v1, off
.LBB40_2742:
	s_mov_b64 s[0:1], 0
.LBB40_2743:
	s_and_b64 vcc, exec, s[0:1]
	s_cbranch_vccz .LBB40_2782
; %bb.2744:
	v_mov_b32_e32 v1, 5
	v_cmp_lt_i16_sdwa s[2:3], s18, v1 src0_sel:BYTE_0 src1_sel:DWORD
	s_mov_b64 s[0:1], -1
	s_and_b64 vcc, exec, s[2:3]
	s_cbranch_vccnz .LBB40_2765
; %bb.2745:
	v_mov_b32_e32 v1, 8
	v_cmp_lt_i16_sdwa s[2:3], s18, v1 src0_sel:BYTE_0 src1_sel:DWORD
	s_and_b64 vcc, exec, s[2:3]
	s_cbranch_vccnz .LBB40_2755
; %bb.2746:
	v_mov_b32_e32 v1, 9
	v_cmp_lt_i16_sdwa s[2:3], s18, v1 src0_sel:BYTE_0 src1_sel:DWORD
	s_and_b64 vcc, exec, s[2:3]
	s_cbranch_vccnz .LBB40_2752
; %bb.2747:
	v_cmp_gt_i16_sdwa s[2:3], s18, v1 src0_sel:BYTE_0 src1_sel:DWORD
	s_and_b64 vcc, exec, s[2:3]
	s_cbranch_vccz .LBB40_2749
; %bb.2748:
	v_mov_b32_e32 v22, 0
	v_cvt_f64_f32_e32 v[20:21], v8
	v_mov_b32_e32 v23, v22
	global_store_dwordx4 v[6:7], v[20:23], off
	s_mov_b64 s[0:1], 0
.LBB40_2749:
	s_andn2_b64 vcc, exec, s[0:1]
	s_cbranch_vccnz .LBB40_2751
; %bb.2750:
	v_mov_b32_e32 v9, 0
	global_store_dwordx2 v[6:7], v[8:9], off
.LBB40_2751:
	s_mov_b64 s[0:1], 0
.LBB40_2752:
	s_andn2_b64 vcc, exec, s[0:1]
	s_cbranch_vccnz .LBB40_2754
; %bb.2753:
	v_cvt_f16_f32_e32 v1, v8
	global_store_dword v[6:7], v1, off
.LBB40_2754:
	s_mov_b64 s[0:1], 0
.LBB40_2755:
	s_andn2_b64 vcc, exec, s[0:1]
	s_cbranch_vccnz .LBB40_2764
; %bb.2756:
	v_mov_b32_e32 v1, 6
	v_cmp_lt_i16_sdwa s[2:3], s18, v1 src0_sel:BYTE_0 src1_sel:DWORD
	s_mov_b64 s[0:1], -1
	s_and_b64 vcc, exec, s[2:3]
	s_cbranch_vccnz .LBB40_2762
; %bb.2757:
	v_cmp_gt_i16_sdwa s[2:3], s18, v1 src0_sel:BYTE_0 src1_sel:DWORD
	s_and_b64 vcc, exec, s[2:3]
	s_cbranch_vccz .LBB40_2759
; %bb.2758:
	v_cvt_f64_f32_e32 v[20:21], v8
	global_store_dwordx2 v[6:7], v[20:21], off
	s_mov_b64 s[0:1], 0
.LBB40_2759:
	s_andn2_b64 vcc, exec, s[0:1]
	s_cbranch_vccnz .LBB40_2761
; %bb.2760:
	global_store_dword v[6:7], v8, off
.LBB40_2761:
	s_mov_b64 s[0:1], 0
.LBB40_2762:
	s_andn2_b64 vcc, exec, s[0:1]
	s_cbranch_vccnz .LBB40_2764
; %bb.2763:
	v_cvt_f16_f32_e32 v1, v8
	global_store_short v[6:7], v1, off
.LBB40_2764:
	s_mov_b64 s[0:1], 0
.LBB40_2765:
	s_andn2_b64 vcc, exec, s[0:1]
	s_cbranch_vccnz .LBB40_2781
; %bb.2766:
	v_mov_b32_e32 v1, 2
	v_cmp_lt_i16_sdwa s[2:3], s18, v1 src0_sel:BYTE_0 src1_sel:DWORD
	s_mov_b64 s[0:1], -1
	s_and_b64 vcc, exec, s[2:3]
	s_cbranch_vccnz .LBB40_2776
; %bb.2767:
	v_mov_b32_e32 v1, 3
	v_cmp_lt_i16_sdwa s[2:3], s18, v1 src0_sel:BYTE_0 src1_sel:DWORD
	s_and_b64 vcc, exec, s[2:3]
	s_cbranch_vccnz .LBB40_2773
; %bb.2768:
	v_cmp_gt_i16_sdwa s[2:3], s18, v1 src0_sel:BYTE_0 src1_sel:DWORD
	s_and_b64 vcc, exec, s[2:3]
	s_cbranch_vccz .LBB40_2770
; %bb.2769:
	v_trunc_f32_e32 v1, v8
	s_mov_b32 s0, 0x2f800000
	v_mul_f32_e64 v3, |v1|, s0
	v_floor_f32_e32 v3, v3
	s_mov_b32 s0, 0xcf800000
	v_cvt_u32_f32_e32 v9, v3
	v_fma_f32 v3, v3, s0, |v1|
	v_cvt_u32_f32_e32 v3, v3
	v_ashrrev_i32_e32 v1, 31, v1
	v_xor_b32_e32 v9, v9, v1
	s_mov_b64 s[0:1], 0
	v_xor_b32_e32 v3, v3, v1
	v_sub_co_u32_e32 v20, vcc, v3, v1
	v_subb_co_u32_e32 v21, vcc, v9, v1, vcc
	global_store_dwordx2 v[6:7], v[20:21], off
.LBB40_2770:
	s_andn2_b64 vcc, exec, s[0:1]
	s_cbranch_vccnz .LBB40_2772
; %bb.2771:
	v_cvt_i32_f32_e32 v1, v8
	global_store_dword v[6:7], v1, off
.LBB40_2772:
	s_mov_b64 s[0:1], 0
.LBB40_2773:
	s_andn2_b64 vcc, exec, s[0:1]
	s_cbranch_vccnz .LBB40_2775
; %bb.2774:
	v_cvt_i32_f32_e32 v1, v8
	global_store_short v[6:7], v1, off
.LBB40_2775:
	s_mov_b64 s[0:1], 0
.LBB40_2776:
	s_andn2_b64 vcc, exec, s[0:1]
	s_cbranch_vccnz .LBB40_2781
; %bb.2777:
	v_mov_b32_e32 v1, 0
	v_cmp_gt_i16_sdwa s[2:3], s18, v1 src0_sel:BYTE_0 src1_sel:DWORD
	s_mov_b64 s[0:1], -1
	s_and_b64 vcc, exec, s[2:3]
	s_cbranch_vccz .LBB40_2779
; %bb.2778:
	v_cvt_i32_f32_e32 v1, v8
	s_mov_b64 s[0:1], 0
	global_store_byte v[6:7], v1, off
.LBB40_2779:
	s_andn2_b64 vcc, exec, s[0:1]
	s_cbranch_vccnz .LBB40_2781
; %bb.2780:
	v_trunc_f32_e32 v1, v8
	s_mov_b32 s0, 0x2f800000
	v_mul_f32_e64 v3, |v1|, s0
	v_floor_f32_e32 v3, v3
	s_mov_b32 s0, 0xcf800000
	v_fma_f32 v3, v3, s0, |v1|
	v_cvt_u32_f32_e32 v3, v3
	v_ashrrev_i32_e32 v1, 31, v1
	v_xor_b32_e32 v3, v3, v1
	v_sub_u32_e32 v1, v3, v1
	global_store_byte v[6:7], v1, off
.LBB40_2781:
	s_mov_b64 s[6:7], -1
.LBB40_2782:
	s_andn2_b64 vcc, exec, s[6:7]
	s_cbranch_vccnz .LBB40_3113
; %bb.2783:
	v_mul_f32_e32 v1, v5, v18
	v_cmp_lt_f32_e32 vcc, 0, v5
	v_cndmask_b32_e32 v6, v1, v5, vcc
	v_mov_b32_e32 v1, s9
	v_add_co_u32_e32 v4, vcc, s8, v4
	v_addc_co_u32_e32 v5, vcc, 0, v1, vcc
	v_mov_b32_e32 v1, 11
	v_cmp_lt_i16_sdwa s[0:1], s18, v1 src0_sel:BYTE_0 src1_sel:DWORD
	s_and_b64 vcc, exec, s[0:1]
	s_cbranch_vccnz .LBB40_2790
; %bb.2784:
	v_mov_b32_e32 v1, 25
	v_cmp_gt_i16_sdwa s[0:1], s18, v1 src0_sel:BYTE_0 src1_sel:DWORD
	s_mov_b64 s[10:11], -1
	s_mov_b64 s[2:3], 0
	s_and_b64 vcc, exec, s[0:1]
	s_mov_b64 s[6:7], 0
	s_mov_b64 s[0:1], 0
	s_cbranch_vccz .LBB40_2826
; %bb.2785:
	v_mov_b32_e32 v1, 28
	v_cmp_gt_i16_sdwa s[0:1], s18, v1 src0_sel:BYTE_0 src1_sel:DWORD
	s_and_b64 vcc, exec, s[0:1]
	s_cbranch_vccz .LBB40_2791
; %bb.2786:
	v_mov_b32_e32 v1, 43
	v_cmp_gt_i16_sdwa s[0:1], s18, v1 src0_sel:BYTE_0 src1_sel:DWORD
	s_and_b64 vcc, exec, s[0:1]
	;; [unrolled: 5-line block ×3, first 2 shown]
	s_cbranch_vccz .LBB40_2798
; %bb.2788:
	v_mov_b32_e32 v1, 46
	v_cmp_eq_u16_sdwa s[6:7], s18, v1 src0_sel:BYTE_0 src1_sel:DWORD
	s_mov_b64 s[0:1], -1
	s_mov_b64 s[10:11], 0
	s_and_b64 vcc, exec, s[6:7]
	s_mov_b64 s[6:7], 0
	s_cbranch_vccz .LBB40_2799
; %bb.2789:
	v_bfe_u32 v1, v6, 16, 1
	s_movk_i32 s0, 0x7fff
	v_add3_u32 v1, v6, v1, s0
	v_lshrrev_b32_e32 v1, 16, v1
	v_mov_b32_e32 v3, 0x7fc0
	v_cmp_o_f32_e32 vcc, v6, v6
	v_cndmask_b32_e32 v1, v3, v1, vcc
	global_store_dword v[4:5], v1, off
	s_mov_b64 s[0:1], 0
	s_mov_b64 s[6:7], -1
	s_branch .LBB40_2799
.LBB40_2790:
	s_mov_b64 s[0:1], -1
	s_mov_b64 s[6:7], 0
	s_branch .LBB40_2870
.LBB40_2791:
	s_mov_b64 s[0:1], 0
	s_branch .LBB40_2809
.LBB40_2792:
	s_or_saveexec_b64 s[16:17], s[16:17]
                                        ; implicit-def: $sgpr19
	s_xor_b64 exec, exec, s[16:17]
	s_cbranch_execz .LBB40_2693
.LBB40_2793:
	s_mov_b32 s19, 0x46000000
	v_add_f32_e64 v1, |v8|, s19
	v_and_b32_e32 v1, 0xff, v1
	v_cmp_ne_u32_e32 vcc, 0, v1
	s_andn2_b64 s[10:11], s[10:11], exec
	s_and_b64 s[20:21], vcc, exec
	s_mov_b32 s19, 0
	s_or_b64 s[10:11], s[10:11], s[20:21]
	s_or_b64 exec, exec, s[16:17]
	v_mov_b32_e32 v3, s19
	s_and_saveexec_b64 s[16:17], s[10:11]
	s_cbranch_execnz .LBB40_2694
	s_branch .LBB40_2695
.LBB40_2794:
	s_mov_b64 s[0:1], 0
	s_branch .LBB40_2805
.LBB40_2795:
	s_trap 2
	s_or_b64 s[4:5], s[4:5], exec
	s_cbranch_execz .LBB40_2741
	s_branch .LBB40_2742
.LBB40_2796:
	s_or_saveexec_b64 s[10:11], s[10:11]
                                        ; implicit-def: $sgpr16
	s_xor_b64 exec, exec, s[10:11]
	s_cbranch_execz .LBB40_2706
.LBB40_2797:
	s_mov_b32 s16, 0x42800000
	v_add_f32_e64 v1, |v8|, s16
	v_and_b32_e32 v1, 0xff, v1
	v_cmp_ne_u32_e32 vcc, 0, v1
	s_andn2_b64 s[6:7], s[6:7], exec
	s_and_b64 s[20:21], vcc, exec
	s_mov_b32 s16, 0
	s_or_b64 s[6:7], s[6:7], s[20:21]
	s_or_b64 exec, exec, s[10:11]
	v_mov_b32_e32 v3, s16
	s_and_saveexec_b64 s[10:11], s[6:7]
	s_cbranch_execnz .LBB40_2707
	s_branch .LBB40_2708
.LBB40_2798:
	s_mov_b64 s[0:1], 0
.LBB40_2799:
	s_and_b64 vcc, exec, s[10:11]
	s_cbranch_vccz .LBB40_2804
; %bb.2800:
	v_mov_b32_e32 v1, 44
	v_cmp_eq_u16_sdwa s[10:11], s18, v1 src0_sel:BYTE_0 src1_sel:DWORD
	s_mov_b64 s[0:1], -1
	s_and_b64 vcc, exec, s[10:11]
	s_cbranch_vccz .LBB40_2804
; %bb.2801:
	v_bfe_u32 v1, v6, 23, 8
	s_movk_i32 s0, 0xff
	v_cmp_ne_u32_e32 vcc, s0, v1
	v_mov_b32_e32 v3, 0xff
	s_and_saveexec_b64 s[6:7], vcc
; %bb.2802:
	s_mov_b32 s0, 0x3fffff
	v_and_b32_e32 v7, 0x400000, v6
	v_and_or_b32 v1, v6, s0, v1
	v_cmp_ne_u32_e32 vcc, 0, v7
	v_cmp_ne_u32_e64 s[0:1], 0, v1
	s_and_b64 s[0:1], vcc, s[0:1]
	v_lshrrev_b32_e32 v3, 23, v6
	v_cndmask_b32_e64 v1, 0, 1, s[0:1]
	v_add_u32_e32 v3, v3, v1
; %bb.2803:
	s_or_b64 exec, exec, s[6:7]
	s_mov_b64 s[0:1], 0
	s_mov_b64 s[6:7], -1
	global_store_byte v[4:5], v3, off
.LBB40_2804:
	s_mov_b64 s[10:11], 0
.LBB40_2805:
	s_and_b64 vcc, exec, s[10:11]
	s_cbranch_vccz .LBB40_2808
; %bb.2806:
	v_mov_b32_e32 v1, 29
	v_cmp_eq_u16_sdwa s[10:11], s18, v1 src0_sel:BYTE_0 src1_sel:DWORD
	s_mov_b64 s[0:1], -1
	s_and_b64 vcc, exec, s[10:11]
	s_cbranch_vccz .LBB40_2808
; %bb.2807:
	v_trunc_f32_e32 v1, v6
	v_mul_f32_e32 v3, 0x2f800000, v1
	v_floor_f32_e32 v3, v3
	v_fmac_f32_e32 v1, 0xcf800000, v3
	v_cvt_u32_f32_e32 v9, v3
	v_cvt_u32_f32_e32 v8, v1
	s_mov_b64 s[0:1], 0
	s_mov_b64 s[6:7], -1
	s_mov_b64 s[10:11], 0
	global_store_dwordx2 v[4:5], v[8:9], off
	s_branch .LBB40_2809
.LBB40_2808:
	s_mov_b64 s[10:11], 0
.LBB40_2809:
	s_and_b64 vcc, exec, s[10:11]
	s_cbranch_vccz .LBB40_2825
; %bb.2810:
	v_mov_b32_e32 v1, 27
	v_cmp_lt_i16_sdwa s[10:11], s18, v1 src0_sel:BYTE_0 src1_sel:DWORD
	s_mov_b64 s[6:7], -1
	s_and_b64 vcc, exec, s[10:11]
	s_cbranch_vccnz .LBB40_2816
; %bb.2811:
	v_cmp_gt_i16_sdwa s[10:11], s18, v1 src0_sel:BYTE_0 src1_sel:DWORD
	s_and_b64 vcc, exec, s[10:11]
	s_cbranch_vccz .LBB40_2813
; %bb.2812:
	v_cvt_u32_f32_e32 v1, v6
	s_mov_b64 s[6:7], 0
	global_store_dword v[4:5], v1, off
.LBB40_2813:
	s_andn2_b64 vcc, exec, s[6:7]
	s_cbranch_vccnz .LBB40_2815
; %bb.2814:
	v_cvt_u32_f32_e32 v1, v6
	global_store_short v[4:5], v1, off
.LBB40_2815:
	s_mov_b64 s[6:7], 0
.LBB40_2816:
	s_andn2_b64 vcc, exec, s[6:7]
	s_cbranch_vccnz .LBB40_2824
; %bb.2817:
	v_and_b32_e32 v1, 0x7fffffff, v6
	s_mov_b32 s6, 0x43800000
	v_cmp_gt_u32_e32 vcc, s6, v1
	v_mov_b32_e32 v3, 0x80
	s_and_saveexec_b64 s[6:7], vcc
	s_cbranch_execz .LBB40_2823
; %bb.2818:
	s_mov_b32 s10, 0x3bffffff
	v_cmp_lt_u32_e32 vcc, s10, v1
	s_mov_b64 s[10:11], 0
                                        ; implicit-def: $vgpr1
	s_and_saveexec_b64 s[16:17], vcc
	s_xor_b64 s[16:17], exec, s[16:17]
	s_cbranch_execz .LBB40_2919
; %bb.2819:
	v_bfe_u32 v1, v6, 20, 1
	s_mov_b32 s19, 0x487ffff
	v_add3_u32 v1, v6, v1, s19
	s_mov_b64 s[10:11], exec
	v_lshrrev_b32_e32 v1, 20, v1
	s_or_saveexec_b64 s[16:17], s[16:17]
                                        ; implicit-def: $sgpr19
	s_xor_b64 exec, exec, s[16:17]
	s_cbranch_execnz .LBB40_2920
.LBB40_2820:
	s_or_b64 exec, exec, s[16:17]
	v_mov_b32_e32 v3, s19
	s_and_saveexec_b64 s[16:17], s[10:11]
.LBB40_2821:
	v_lshrrev_b32_e32 v3, 24, v6
	s_movk_i32 s10, 0x80
	v_and_or_b32 v3, v3, s10, v1
.LBB40_2822:
	s_or_b64 exec, exec, s[16:17]
.LBB40_2823:
	s_or_b64 exec, exec, s[6:7]
	global_store_byte v[4:5], v3, off
.LBB40_2824:
	s_mov_b64 s[6:7], -1
.LBB40_2825:
	s_mov_b64 s[10:11], 0
.LBB40_2826:
	s_and_b64 vcc, exec, s[10:11]
	s_cbranch_vccz .LBB40_2866
; %bb.2827:
	v_mov_b32_e32 v1, 22
	v_cmp_gt_i16_sdwa s[10:11], s18, v1 src0_sel:BYTE_0 src1_sel:DWORD
	s_mov_b64 s[2:3], -1
	s_and_b64 vcc, exec, s[10:11]
	s_cbranch_vccz .LBB40_2859
; %bb.2828:
	v_mov_b32_e32 v1, 24
	v_cmp_lt_i16_sdwa s[6:7], s18, v1 src0_sel:BYTE_0 src1_sel:DWORD
	s_and_b64 vcc, exec, s[6:7]
	s_cbranch_vccnz .LBB40_2848
; %bb.2829:
	v_cmp_gt_i16_sdwa s[6:7], s18, v1 src0_sel:BYTE_0 src1_sel:DWORD
	s_and_b64 vcc, exec, s[6:7]
	s_cbranch_vccz .LBB40_2837
; %bb.2830:
	v_and_b32_e32 v1, 0x7fffffff, v6
	s_mov_b32 s2, 0x47800000
	v_cmp_gt_u32_e32 vcc, s2, v1
	v_mov_b32_e32 v3, 0x80
	s_and_saveexec_b64 s[2:3], vcc
	s_cbranch_execz .LBB40_2836
; %bb.2831:
	s_mov_b32 s6, 0x37ffffff
	v_cmp_lt_u32_e32 vcc, s6, v1
	s_mov_b64 s[6:7], 0
                                        ; implicit-def: $vgpr1
	s_and_saveexec_b64 s[10:11], vcc
	s_xor_b64 s[10:11], exec, s[10:11]
	s_cbranch_execz .LBB40_2923
; %bb.2832:
	v_bfe_u32 v1, v6, 21, 1
	s_mov_b32 s16, 0x88fffff
	v_add3_u32 v1, v6, v1, s16
	s_mov_b64 s[6:7], exec
	v_lshrrev_b32_e32 v1, 21, v1
	s_or_saveexec_b64 s[10:11], s[10:11]
                                        ; implicit-def: $sgpr16
	s_xor_b64 exec, exec, s[10:11]
	s_cbranch_execnz .LBB40_2924
.LBB40_2833:
	s_or_b64 exec, exec, s[10:11]
	v_mov_b32_e32 v3, s16
	s_and_saveexec_b64 s[10:11], s[6:7]
.LBB40_2834:
	v_lshrrev_b32_e32 v3, 24, v6
	s_movk_i32 s6, 0x80
	v_and_or_b32 v3, v3, s6, v1
.LBB40_2835:
	s_or_b64 exec, exec, s[10:11]
.LBB40_2836:
	s_or_b64 exec, exec, s[2:3]
	s_mov_b64 s[2:3], 0
	global_store_byte v[4:5], v3, off
.LBB40_2837:
	s_and_b64 vcc, exec, s[2:3]
	s_cbranch_vccz .LBB40_2847
; %bb.2838:
	v_and_b32_e32 v3, 0x7fffffff, v6
	s_mov_b32 s2, 0x43f00000
	v_cmp_gt_u32_e32 vcc, s2, v3
                                        ; implicit-def: $vgpr1
	s_and_saveexec_b64 s[2:3], vcc
	s_xor_b64 s[2:3], exec, s[2:3]
	s_cbranch_execz .LBB40_2844
; %bb.2839:
	s_mov_b32 s6, 0x3c7fffff
	v_cmp_lt_u32_e32 vcc, s6, v3
                                        ; implicit-def: $vgpr1
	s_and_saveexec_b64 s[6:7], vcc
	s_xor_b64 s[6:7], exec, s[6:7]
; %bb.2840:
	v_bfe_u32 v1, v6, 20, 1
	s_mov_b32 s10, 0x407ffff
	v_add3_u32 v1, v6, v1, s10
	v_lshrrev_b32_e32 v3, 20, v1
	v_and_b32_e32 v1, 0xff00000, v1
	s_mov_b32 s10, 0x7f00000
	v_mov_b32_e32 v7, 0x7e
	v_cmp_ne_u32_e32 vcc, s10, v1
	v_cndmask_b32_e32 v1, v7, v3, vcc
; %bb.2841:
	s_andn2_saveexec_b64 s[6:7], s[6:7]
; %bb.2842:
	s_mov_b32 s10, 0x46800000
	v_add_f32_e64 v1, |v6|, s10
; %bb.2843:
	s_or_b64 exec, exec, s[6:7]
                                        ; implicit-def: $vgpr3
.LBB40_2844:
	s_andn2_saveexec_b64 s[2:3], s[2:3]
; %bb.2845:
	s_mov_b32 s6, 0x7f800000
	v_mov_b32_e32 v1, 0x7e
	v_mov_b32_e32 v7, 0x7f
	v_cmp_lt_u32_e32 vcc, s6, v3
	v_cndmask_b32_e32 v1, v1, v7, vcc
; %bb.2846:
	s_or_b64 exec, exec, s[2:3]
	v_lshrrev_b32_e32 v3, 24, v6
	s_movk_i32 s2, 0x80
	v_and_or_b32 v1, v3, s2, v1
	global_store_byte v[4:5], v1, off
.LBB40_2847:
	s_mov_b64 s[2:3], 0
.LBB40_2848:
	s_andn2_b64 vcc, exec, s[2:3]
	s_cbranch_vccnz .LBB40_2858
; %bb.2849:
	v_and_b32_e32 v3, 0x7fffffff, v6
	s_mov_b32 s2, 0x47800000
	v_cmp_gt_u32_e32 vcc, s2, v3
                                        ; implicit-def: $vgpr1
	s_and_saveexec_b64 s[2:3], vcc
	s_xor_b64 s[2:3], exec, s[2:3]
	s_cbranch_execz .LBB40_2855
; %bb.2850:
	s_mov_b32 s6, 0x387fffff
	v_cmp_lt_u32_e32 vcc, s6, v3
                                        ; implicit-def: $vgpr1
	s_and_saveexec_b64 s[6:7], vcc
	s_xor_b64 s[6:7], exec, s[6:7]
; %bb.2851:
	v_bfe_u32 v1, v6, 21, 1
	s_mov_b32 s10, 0x80fffff
	v_add3_u32 v1, v6, v1, s10
	v_lshrrev_b32_e32 v1, 21, v1
; %bb.2852:
	s_andn2_saveexec_b64 s[6:7], s[6:7]
; %bb.2853:
	s_mov_b32 s10, 0x43000000
	v_add_f32_e64 v1, |v6|, s10
; %bb.2854:
	s_or_b64 exec, exec, s[6:7]
                                        ; implicit-def: $vgpr3
.LBB40_2855:
	s_andn2_saveexec_b64 s[2:3], s[2:3]
; %bb.2856:
	s_mov_b32 s6, 0x7f800000
	v_mov_b32_e32 v1, 0x7c
	v_mov_b32_e32 v7, 0x7f
	v_cmp_lt_u32_e32 vcc, s6, v3
	v_cndmask_b32_e32 v1, v1, v7, vcc
; %bb.2857:
	s_or_b64 exec, exec, s[2:3]
	v_lshrrev_b32_e32 v3, 24, v6
	s_movk_i32 s2, 0x80
	v_and_or_b32 v1, v3, s2, v1
	global_store_byte v[4:5], v1, off
.LBB40_2858:
	s_mov_b64 s[2:3], 0
	s_mov_b64 s[6:7], -1
.LBB40_2859:
	s_andn2_b64 vcc, exec, s[2:3]
	s_mov_b64 s[2:3], 0
	s_cbranch_vccnz .LBB40_2866
; %bb.2860:
	v_mov_b32_e32 v1, 14
	v_cmp_gt_i16_sdwa s[2:3], s18, v1 src0_sel:BYTE_0 src1_sel:DWORD
	s_mov_b64 s[10:11], -1
	s_and_b64 vcc, exec, s[2:3]
	s_cbranch_vccz .LBB40_2864
; %bb.2861:
	v_mov_b32_e32 v1, 15
	v_cmp_eq_u16_sdwa s[2:3], s18, v1 src0_sel:BYTE_0 src1_sel:DWORD
	s_mov_b64 s[0:1], -1
	s_and_b64 vcc, exec, s[2:3]
	s_cbranch_vccz .LBB40_2863
; %bb.2862:
	v_bfe_u32 v1, v6, 16, 1
	s_movk_i32 s0, 0x7fff
	v_add3_u32 v1, v6, v1, s0
	v_lshrrev_b32_e32 v1, 16, v1
	v_mov_b32_e32 v3, 0x7fc0
	v_cmp_o_f32_e32 vcc, v6, v6
	v_cndmask_b32_e32 v1, v3, v1, vcc
	global_store_short v[4:5], v1, off
	s_mov_b64 s[0:1], 0
	s_mov_b64 s[6:7], -1
.LBB40_2863:
	s_mov_b64 s[10:11], 0
.LBB40_2864:
	s_mov_b64 s[2:3], 0
	s_and_b64 vcc, exec, s[10:11]
	s_cbranch_vccz .LBB40_2866
; %bb.2865:
	v_mov_b32_e32 v1, 11
	v_cmp_ne_u16_sdwa s[0:1], s18, v1 src0_sel:BYTE_0 src1_sel:DWORD
	s_mov_b64 s[2:3], -1
.LBB40_2866:
	s_and_b64 vcc, exec, s[0:1]
	s_cbranch_vccnz .LBB40_2922
; %bb.2867:
	s_andn2_b64 vcc, exec, s[2:3]
	s_cbranch_vccnz .LBB40_2869
.LBB40_2868:
	v_cmp_neq_f32_e32 vcc, 0, v6
	v_cndmask_b32_e64 v1, 0, 1, vcc
	s_mov_b64 s[6:7], -1
	global_store_byte v[4:5], v1, off
.LBB40_2869:
	s_mov_b64 s[0:1], 0
.LBB40_2870:
	s_and_b64 vcc, exec, s[0:1]
	s_cbranch_vccz .LBB40_2909
; %bb.2871:
	v_mov_b32_e32 v1, 5
	v_cmp_lt_i16_sdwa s[2:3], s18, v1 src0_sel:BYTE_0 src1_sel:DWORD
	s_mov_b64 s[0:1], -1
	s_and_b64 vcc, exec, s[2:3]
	s_cbranch_vccnz .LBB40_2892
; %bb.2872:
	v_mov_b32_e32 v1, 8
	v_cmp_lt_i16_sdwa s[2:3], s18, v1 src0_sel:BYTE_0 src1_sel:DWORD
	s_and_b64 vcc, exec, s[2:3]
	s_cbranch_vccnz .LBB40_2882
; %bb.2873:
	v_mov_b32_e32 v1, 9
	v_cmp_lt_i16_sdwa s[2:3], s18, v1 src0_sel:BYTE_0 src1_sel:DWORD
	s_and_b64 vcc, exec, s[2:3]
	s_cbranch_vccnz .LBB40_2879
; %bb.2874:
	v_cmp_gt_i16_sdwa s[2:3], s18, v1 src0_sel:BYTE_0 src1_sel:DWORD
	s_and_b64 vcc, exec, s[2:3]
	s_cbranch_vccz .LBB40_2876
; %bb.2875:
	v_mov_b32_e32 v20, 0
	v_cvt_f64_f32_e32 v[18:19], v6
	v_mov_b32_e32 v21, v20
	global_store_dwordx4 v[4:5], v[18:21], off
	s_mov_b64 s[0:1], 0
.LBB40_2876:
	s_andn2_b64 vcc, exec, s[0:1]
	s_cbranch_vccnz .LBB40_2878
; %bb.2877:
	v_mov_b32_e32 v7, 0
	global_store_dwordx2 v[4:5], v[6:7], off
.LBB40_2878:
	s_mov_b64 s[0:1], 0
.LBB40_2879:
	s_andn2_b64 vcc, exec, s[0:1]
	s_cbranch_vccnz .LBB40_2881
; %bb.2880:
	v_cvt_f16_f32_e32 v1, v6
	global_store_dword v[4:5], v1, off
.LBB40_2881:
	s_mov_b64 s[0:1], 0
.LBB40_2882:
	s_andn2_b64 vcc, exec, s[0:1]
	s_cbranch_vccnz .LBB40_2891
; %bb.2883:
	v_mov_b32_e32 v1, 6
	v_cmp_lt_i16_sdwa s[2:3], s18, v1 src0_sel:BYTE_0 src1_sel:DWORD
	s_mov_b64 s[0:1], -1
	s_and_b64 vcc, exec, s[2:3]
	s_cbranch_vccnz .LBB40_2889
; %bb.2884:
	v_cmp_gt_i16_sdwa s[2:3], s18, v1 src0_sel:BYTE_0 src1_sel:DWORD
	s_and_b64 vcc, exec, s[2:3]
	s_cbranch_vccz .LBB40_2886
; %bb.2885:
	v_cvt_f64_f32_e32 v[8:9], v6
	global_store_dwordx2 v[4:5], v[8:9], off
	s_mov_b64 s[0:1], 0
.LBB40_2886:
	s_andn2_b64 vcc, exec, s[0:1]
	s_cbranch_vccnz .LBB40_2888
; %bb.2887:
	global_store_dword v[4:5], v6, off
.LBB40_2888:
	s_mov_b64 s[0:1], 0
.LBB40_2889:
	s_andn2_b64 vcc, exec, s[0:1]
	s_cbranch_vccnz .LBB40_2891
; %bb.2890:
	v_cvt_f16_f32_e32 v1, v6
	global_store_short v[4:5], v1, off
.LBB40_2891:
	s_mov_b64 s[0:1], 0
.LBB40_2892:
	s_andn2_b64 vcc, exec, s[0:1]
	s_cbranch_vccnz .LBB40_2908
; %bb.2893:
	v_mov_b32_e32 v1, 2
	v_cmp_lt_i16_sdwa s[2:3], s18, v1 src0_sel:BYTE_0 src1_sel:DWORD
	s_mov_b64 s[0:1], -1
	s_and_b64 vcc, exec, s[2:3]
	s_cbranch_vccnz .LBB40_2903
; %bb.2894:
	v_mov_b32_e32 v1, 3
	v_cmp_lt_i16_sdwa s[2:3], s18, v1 src0_sel:BYTE_0 src1_sel:DWORD
	s_and_b64 vcc, exec, s[2:3]
	s_cbranch_vccnz .LBB40_2900
; %bb.2895:
	v_cmp_gt_i16_sdwa s[2:3], s18, v1 src0_sel:BYTE_0 src1_sel:DWORD
	s_and_b64 vcc, exec, s[2:3]
	s_cbranch_vccz .LBB40_2897
; %bb.2896:
	v_trunc_f32_e32 v1, v6
	s_mov_b32 s0, 0x2f800000
	v_mul_f32_e64 v3, |v1|, s0
	v_floor_f32_e32 v3, v3
	s_mov_b32 s0, 0xcf800000
	v_cvt_u32_f32_e32 v7, v3
	v_fma_f32 v3, v3, s0, |v1|
	v_cvt_u32_f32_e32 v3, v3
	v_ashrrev_i32_e32 v1, 31, v1
	v_xor_b32_e32 v7, v7, v1
	s_mov_b64 s[0:1], 0
	v_xor_b32_e32 v3, v3, v1
	v_sub_co_u32_e32 v8, vcc, v3, v1
	v_subb_co_u32_e32 v9, vcc, v7, v1, vcc
	global_store_dwordx2 v[4:5], v[8:9], off
.LBB40_2897:
	s_andn2_b64 vcc, exec, s[0:1]
	s_cbranch_vccnz .LBB40_2899
; %bb.2898:
	v_cvt_i32_f32_e32 v1, v6
	global_store_dword v[4:5], v1, off
.LBB40_2899:
	s_mov_b64 s[0:1], 0
.LBB40_2900:
	s_andn2_b64 vcc, exec, s[0:1]
	s_cbranch_vccnz .LBB40_2902
; %bb.2901:
	v_cvt_i32_f32_e32 v1, v6
	global_store_short v[4:5], v1, off
.LBB40_2902:
	s_mov_b64 s[0:1], 0
.LBB40_2903:
	s_andn2_b64 vcc, exec, s[0:1]
	s_cbranch_vccnz .LBB40_2908
; %bb.2904:
	v_mov_b32_e32 v1, 0
	v_cmp_gt_i16_sdwa s[2:3], s18, v1 src0_sel:BYTE_0 src1_sel:DWORD
	s_mov_b64 s[0:1], -1
	s_and_b64 vcc, exec, s[2:3]
	s_cbranch_vccz .LBB40_2906
; %bb.2905:
	v_cvt_i32_f32_e32 v1, v6
	s_mov_b64 s[0:1], 0
	global_store_byte v[4:5], v1, off
.LBB40_2906:
	s_andn2_b64 vcc, exec, s[0:1]
	s_cbranch_vccnz .LBB40_2908
; %bb.2907:
	v_trunc_f32_e32 v1, v6
	s_mov_b32 s0, 0x2f800000
	v_mul_f32_e64 v3, |v1|, s0
	v_floor_f32_e32 v3, v3
	s_mov_b32 s0, 0xcf800000
	v_fma_f32 v3, v3, s0, |v1|
	v_cvt_u32_f32_e32 v3, v3
	v_ashrrev_i32_e32 v1, 31, v1
	v_xor_b32_e32 v3, v3, v1
	v_sub_u32_e32 v1, v3, v1
	global_store_byte v[4:5], v1, off
.LBB40_2908:
	s_mov_b64 s[6:7], -1
.LBB40_2909:
	s_andn2_b64 vcc, exec, s[6:7]
	s_cbranch_vccnz .LBB40_3113
; %bb.2910:
	v_mul_f32_e32 v1, v16, v14
	v_cmp_lt_f32_e32 vcc, 0, v16
	v_cndmask_b32_e32 v4, v1, v16, vcc
	v_mov_b32_e32 v1, s9
	v_add_co_u32_e32 v2, vcc, s8, v2
	v_addc_co_u32_e32 v3, vcc, 0, v1, vcc
	v_mov_b32_e32 v1, 11
	v_cmp_lt_i16_sdwa s[0:1], s18, v1 src0_sel:BYTE_0 src1_sel:DWORD
	s_and_b64 vcc, exec, s[0:1]
	s_cbranch_vccnz .LBB40_2917
; %bb.2911:
	v_mov_b32_e32 v1, 25
	v_cmp_gt_i16_sdwa s[0:1], s18, v1 src0_sel:BYTE_0 src1_sel:DWORD
	s_mov_b64 s[10:11], -1
	s_mov_b64 s[2:3], 0
	s_and_b64 vcc, exec, s[0:1]
	s_mov_b64 s[6:7], 0
	s_mov_b64 s[0:1], 0
	s_cbranch_vccz .LBB40_2953
; %bb.2912:
	v_mov_b32_e32 v1, 28
	v_cmp_gt_i16_sdwa s[0:1], s18, v1 src0_sel:BYTE_0 src1_sel:DWORD
	s_and_b64 vcc, exec, s[0:1]
	s_cbranch_vccz .LBB40_2918
; %bb.2913:
	v_mov_b32_e32 v1, 43
	v_cmp_gt_i16_sdwa s[0:1], s18, v1 src0_sel:BYTE_0 src1_sel:DWORD
	s_and_b64 vcc, exec, s[0:1]
	;; [unrolled: 5-line block ×3, first 2 shown]
	s_cbranch_vccz .LBB40_2925
; %bb.2915:
	v_mov_b32_e32 v1, 46
	v_cmp_eq_u16_sdwa s[6:7], s18, v1 src0_sel:BYTE_0 src1_sel:DWORD
	s_mov_b64 s[0:1], -1
	s_mov_b64 s[10:11], 0
	s_and_b64 vcc, exec, s[6:7]
	s_mov_b64 s[6:7], 0
	s_cbranch_vccz .LBB40_2926
; %bb.2916:
	v_bfe_u32 v1, v4, 16, 1
	s_movk_i32 s0, 0x7fff
	v_add3_u32 v1, v4, v1, s0
	v_lshrrev_b32_e32 v1, 16, v1
	v_mov_b32_e32 v5, 0x7fc0
	v_cmp_o_f32_e32 vcc, v4, v4
	v_cndmask_b32_e32 v1, v5, v1, vcc
	global_store_dword v[2:3], v1, off
	s_mov_b64 s[0:1], 0
	s_mov_b64 s[6:7], -1
	s_branch .LBB40_2926
.LBB40_2917:
	s_mov_b64 s[0:1], -1
	s_mov_b64 s[6:7], 0
	s_branch .LBB40_2997
.LBB40_2918:
	s_mov_b64 s[0:1], 0
	s_branch .LBB40_2936
.LBB40_2919:
	s_or_saveexec_b64 s[16:17], s[16:17]
                                        ; implicit-def: $sgpr19
	s_xor_b64 exec, exec, s[16:17]
	s_cbranch_execz .LBB40_2820
.LBB40_2920:
	s_mov_b32 s19, 0x46000000
	v_add_f32_e64 v1, |v6|, s19
	v_and_b32_e32 v1, 0xff, v1
	v_cmp_ne_u32_e32 vcc, 0, v1
	s_andn2_b64 s[10:11], s[10:11], exec
	s_and_b64 s[20:21], vcc, exec
	s_mov_b32 s19, 0
	s_or_b64 s[10:11], s[10:11], s[20:21]
	s_or_b64 exec, exec, s[16:17]
	v_mov_b32_e32 v3, s19
	s_and_saveexec_b64 s[16:17], s[10:11]
	s_cbranch_execnz .LBB40_2821
	s_branch .LBB40_2822
.LBB40_2921:
	s_mov_b64 s[0:1], 0
	s_branch .LBB40_2932
.LBB40_2922:
	s_trap 2
	s_or_b64 s[4:5], s[4:5], exec
	s_cbranch_execz .LBB40_2868
	s_branch .LBB40_2869
.LBB40_2923:
	s_or_saveexec_b64 s[10:11], s[10:11]
                                        ; implicit-def: $sgpr16
	s_xor_b64 exec, exec, s[10:11]
	s_cbranch_execz .LBB40_2833
.LBB40_2924:
	s_mov_b32 s16, 0x42800000
	v_add_f32_e64 v1, |v6|, s16
	v_and_b32_e32 v1, 0xff, v1
	v_cmp_ne_u32_e32 vcc, 0, v1
	s_andn2_b64 s[6:7], s[6:7], exec
	s_and_b64 s[20:21], vcc, exec
	s_mov_b32 s16, 0
	s_or_b64 s[6:7], s[6:7], s[20:21]
	s_or_b64 exec, exec, s[10:11]
	v_mov_b32_e32 v3, s16
	s_and_saveexec_b64 s[10:11], s[6:7]
	s_cbranch_execnz .LBB40_2834
	s_branch .LBB40_2835
.LBB40_2925:
	s_mov_b64 s[0:1], 0
.LBB40_2926:
	s_and_b64 vcc, exec, s[10:11]
	s_cbranch_vccz .LBB40_2931
; %bb.2927:
	v_mov_b32_e32 v1, 44
	v_cmp_eq_u16_sdwa s[10:11], s18, v1 src0_sel:BYTE_0 src1_sel:DWORD
	s_mov_b64 s[0:1], -1
	s_and_b64 vcc, exec, s[10:11]
	s_cbranch_vccz .LBB40_2931
; %bb.2928:
	v_bfe_u32 v1, v4, 23, 8
	s_movk_i32 s0, 0xff
	v_cmp_ne_u32_e32 vcc, s0, v1
	v_mov_b32_e32 v5, 0xff
	s_and_saveexec_b64 s[6:7], vcc
; %bb.2929:
	s_mov_b32 s0, 0x3fffff
	v_and_b32_e32 v6, 0x400000, v4
	v_and_or_b32 v1, v4, s0, v1
	v_cmp_ne_u32_e32 vcc, 0, v6
	v_cmp_ne_u32_e64 s[0:1], 0, v1
	s_and_b64 s[0:1], vcc, s[0:1]
	v_lshrrev_b32_e32 v5, 23, v4
	v_cndmask_b32_e64 v1, 0, 1, s[0:1]
	v_add_u32_e32 v5, v5, v1
; %bb.2930:
	s_or_b64 exec, exec, s[6:7]
	s_mov_b64 s[0:1], 0
	s_mov_b64 s[6:7], -1
	global_store_byte v[2:3], v5, off
.LBB40_2931:
	s_mov_b64 s[10:11], 0
.LBB40_2932:
	s_and_b64 vcc, exec, s[10:11]
	s_cbranch_vccz .LBB40_2935
; %bb.2933:
	v_mov_b32_e32 v1, 29
	v_cmp_eq_u16_sdwa s[10:11], s18, v1 src0_sel:BYTE_0 src1_sel:DWORD
	s_mov_b64 s[0:1], -1
	s_and_b64 vcc, exec, s[10:11]
	s_cbranch_vccz .LBB40_2935
; %bb.2934:
	v_trunc_f32_e32 v1, v4
	v_mul_f32_e32 v5, 0x2f800000, v1
	v_floor_f32_e32 v5, v5
	v_fmac_f32_e32 v1, 0xcf800000, v5
	v_cvt_u32_f32_e32 v7, v5
	v_cvt_u32_f32_e32 v6, v1
	s_mov_b64 s[0:1], 0
	s_mov_b64 s[6:7], -1
	s_mov_b64 s[10:11], 0
	global_store_dwordx2 v[2:3], v[6:7], off
	s_branch .LBB40_2936
.LBB40_2935:
	s_mov_b64 s[10:11], 0
.LBB40_2936:
	s_and_b64 vcc, exec, s[10:11]
	s_cbranch_vccz .LBB40_2952
; %bb.2937:
	v_mov_b32_e32 v1, 27
	v_cmp_lt_i16_sdwa s[10:11], s18, v1 src0_sel:BYTE_0 src1_sel:DWORD
	s_mov_b64 s[6:7], -1
	s_and_b64 vcc, exec, s[10:11]
	s_cbranch_vccnz .LBB40_2943
; %bb.2938:
	v_cmp_gt_i16_sdwa s[10:11], s18, v1 src0_sel:BYTE_0 src1_sel:DWORD
	s_and_b64 vcc, exec, s[10:11]
	s_cbranch_vccz .LBB40_2940
; %bb.2939:
	v_cvt_u32_f32_e32 v1, v4
	s_mov_b64 s[6:7], 0
	global_store_dword v[2:3], v1, off
.LBB40_2940:
	s_andn2_b64 vcc, exec, s[6:7]
	s_cbranch_vccnz .LBB40_2942
; %bb.2941:
	v_cvt_u32_f32_e32 v1, v4
	global_store_short v[2:3], v1, off
.LBB40_2942:
	s_mov_b64 s[6:7], 0
.LBB40_2943:
	s_andn2_b64 vcc, exec, s[6:7]
	s_cbranch_vccnz .LBB40_2951
; %bb.2944:
	v_and_b32_e32 v1, 0x7fffffff, v4
	s_mov_b32 s6, 0x43800000
	v_cmp_gt_u32_e32 vcc, s6, v1
	v_mov_b32_e32 v5, 0x80
	s_and_saveexec_b64 s[6:7], vcc
	s_cbranch_execz .LBB40_2950
; %bb.2945:
	s_mov_b32 s10, 0x3bffffff
	v_cmp_lt_u32_e32 vcc, s10, v1
	s_mov_b64 s[10:11], 0
                                        ; implicit-def: $vgpr1
	s_and_saveexec_b64 s[16:17], vcc
	s_xor_b64 s[16:17], exec, s[16:17]
	s_cbranch_execz .LBB40_3159
; %bb.2946:
	v_bfe_u32 v1, v4, 20, 1
	s_mov_b32 s19, 0x487ffff
	v_add3_u32 v1, v4, v1, s19
	s_mov_b64 s[10:11], exec
	v_lshrrev_b32_e32 v1, 20, v1
	s_or_saveexec_b64 s[16:17], s[16:17]
                                        ; implicit-def: $sgpr19
	s_xor_b64 exec, exec, s[16:17]
	s_cbranch_execnz .LBB40_3160
.LBB40_2947:
	s_or_b64 exec, exec, s[16:17]
	v_mov_b32_e32 v5, s19
	s_and_saveexec_b64 s[16:17], s[10:11]
.LBB40_2948:
	v_lshrrev_b32_e32 v5, 24, v4
	s_movk_i32 s10, 0x80
	v_and_or_b32 v5, v5, s10, v1
.LBB40_2949:
	s_or_b64 exec, exec, s[16:17]
.LBB40_2950:
	s_or_b64 exec, exec, s[6:7]
	global_store_byte v[2:3], v5, off
.LBB40_2951:
	s_mov_b64 s[6:7], -1
.LBB40_2952:
	s_mov_b64 s[10:11], 0
.LBB40_2953:
	s_and_b64 vcc, exec, s[10:11]
	s_cbranch_vccz .LBB40_2993
; %bb.2954:
	v_mov_b32_e32 v1, 22
	v_cmp_gt_i16_sdwa s[10:11], s18, v1 src0_sel:BYTE_0 src1_sel:DWORD
	s_mov_b64 s[2:3], -1
	s_and_b64 vcc, exec, s[10:11]
	s_cbranch_vccz .LBB40_2986
; %bb.2955:
	v_mov_b32_e32 v1, 24
	v_cmp_lt_i16_sdwa s[6:7], s18, v1 src0_sel:BYTE_0 src1_sel:DWORD
	s_and_b64 vcc, exec, s[6:7]
	s_cbranch_vccnz .LBB40_2975
; %bb.2956:
	v_cmp_gt_i16_sdwa s[6:7], s18, v1 src0_sel:BYTE_0 src1_sel:DWORD
	s_and_b64 vcc, exec, s[6:7]
	s_cbranch_vccz .LBB40_2964
; %bb.2957:
	v_and_b32_e32 v1, 0x7fffffff, v4
	s_mov_b32 s2, 0x47800000
	v_cmp_gt_u32_e32 vcc, s2, v1
	v_mov_b32_e32 v5, 0x80
	s_and_saveexec_b64 s[2:3], vcc
	s_cbranch_execz .LBB40_2963
; %bb.2958:
	s_mov_b32 s6, 0x37ffffff
	v_cmp_lt_u32_e32 vcc, s6, v1
	s_mov_b64 s[6:7], 0
                                        ; implicit-def: $vgpr1
	s_and_saveexec_b64 s[10:11], vcc
	s_xor_b64 s[10:11], exec, s[10:11]
	s_cbranch_execz .LBB40_3162
; %bb.2959:
	v_bfe_u32 v1, v4, 21, 1
	s_mov_b32 s16, 0x88fffff
	v_add3_u32 v1, v4, v1, s16
	s_mov_b64 s[6:7], exec
	v_lshrrev_b32_e32 v1, 21, v1
	s_or_saveexec_b64 s[10:11], s[10:11]
                                        ; implicit-def: $sgpr16
	s_xor_b64 exec, exec, s[10:11]
	s_cbranch_execnz .LBB40_3163
.LBB40_2960:
	s_or_b64 exec, exec, s[10:11]
	v_mov_b32_e32 v5, s16
	s_and_saveexec_b64 s[10:11], s[6:7]
.LBB40_2961:
	v_lshrrev_b32_e32 v5, 24, v4
	s_movk_i32 s6, 0x80
	v_and_or_b32 v5, v5, s6, v1
.LBB40_2962:
	s_or_b64 exec, exec, s[10:11]
.LBB40_2963:
	s_or_b64 exec, exec, s[2:3]
	s_mov_b64 s[2:3], 0
	global_store_byte v[2:3], v5, off
.LBB40_2964:
	s_and_b64 vcc, exec, s[2:3]
	s_cbranch_vccz .LBB40_2974
; %bb.2965:
	v_and_b32_e32 v5, 0x7fffffff, v4
	s_mov_b32 s2, 0x43f00000
	v_cmp_gt_u32_e32 vcc, s2, v5
                                        ; implicit-def: $vgpr1
	s_and_saveexec_b64 s[2:3], vcc
	s_xor_b64 s[2:3], exec, s[2:3]
	s_cbranch_execz .LBB40_2971
; %bb.2966:
	s_mov_b32 s6, 0x3c7fffff
	v_cmp_lt_u32_e32 vcc, s6, v5
                                        ; implicit-def: $vgpr1
	s_and_saveexec_b64 s[6:7], vcc
	s_xor_b64 s[6:7], exec, s[6:7]
; %bb.2967:
	v_bfe_u32 v1, v4, 20, 1
	s_mov_b32 s10, 0x407ffff
	v_add3_u32 v1, v4, v1, s10
	v_lshrrev_b32_e32 v5, 20, v1
	v_and_b32_e32 v1, 0xff00000, v1
	s_mov_b32 s10, 0x7f00000
	v_mov_b32_e32 v6, 0x7e
	v_cmp_ne_u32_e32 vcc, s10, v1
	v_cndmask_b32_e32 v1, v6, v5, vcc
; %bb.2968:
	s_andn2_saveexec_b64 s[6:7], s[6:7]
; %bb.2969:
	s_mov_b32 s10, 0x46800000
	v_add_f32_e64 v1, |v4|, s10
; %bb.2970:
	s_or_b64 exec, exec, s[6:7]
                                        ; implicit-def: $vgpr5
.LBB40_2971:
	s_andn2_saveexec_b64 s[2:3], s[2:3]
; %bb.2972:
	s_mov_b32 s6, 0x7f800000
	v_mov_b32_e32 v1, 0x7e
	v_mov_b32_e32 v6, 0x7f
	v_cmp_lt_u32_e32 vcc, s6, v5
	v_cndmask_b32_e32 v1, v1, v6, vcc
; %bb.2973:
	s_or_b64 exec, exec, s[2:3]
	v_lshrrev_b32_e32 v5, 24, v4
	s_movk_i32 s2, 0x80
	v_and_or_b32 v1, v5, s2, v1
	global_store_byte v[2:3], v1, off
.LBB40_2974:
	s_mov_b64 s[2:3], 0
.LBB40_2975:
	s_andn2_b64 vcc, exec, s[2:3]
	s_cbranch_vccnz .LBB40_2985
; %bb.2976:
	v_and_b32_e32 v5, 0x7fffffff, v4
	s_mov_b32 s2, 0x47800000
	v_cmp_gt_u32_e32 vcc, s2, v5
                                        ; implicit-def: $vgpr1
	s_and_saveexec_b64 s[2:3], vcc
	s_xor_b64 s[2:3], exec, s[2:3]
	s_cbranch_execz .LBB40_2982
; %bb.2977:
	s_mov_b32 s6, 0x387fffff
	v_cmp_lt_u32_e32 vcc, s6, v5
                                        ; implicit-def: $vgpr1
	s_and_saveexec_b64 s[6:7], vcc
	s_xor_b64 s[6:7], exec, s[6:7]
; %bb.2978:
	v_bfe_u32 v1, v4, 21, 1
	s_mov_b32 s10, 0x80fffff
	v_add3_u32 v1, v4, v1, s10
	v_lshrrev_b32_e32 v1, 21, v1
; %bb.2979:
	s_andn2_saveexec_b64 s[6:7], s[6:7]
; %bb.2980:
	s_mov_b32 s10, 0x43000000
	v_add_f32_e64 v1, |v4|, s10
; %bb.2981:
	s_or_b64 exec, exec, s[6:7]
                                        ; implicit-def: $vgpr5
.LBB40_2982:
	s_andn2_saveexec_b64 s[2:3], s[2:3]
; %bb.2983:
	s_mov_b32 s6, 0x7f800000
	v_mov_b32_e32 v1, 0x7c
	v_mov_b32_e32 v6, 0x7f
	v_cmp_lt_u32_e32 vcc, s6, v5
	v_cndmask_b32_e32 v1, v1, v6, vcc
; %bb.2984:
	s_or_b64 exec, exec, s[2:3]
	v_lshrrev_b32_e32 v5, 24, v4
	s_movk_i32 s2, 0x80
	v_and_or_b32 v1, v5, s2, v1
	global_store_byte v[2:3], v1, off
.LBB40_2985:
	s_mov_b64 s[2:3], 0
	s_mov_b64 s[6:7], -1
.LBB40_2986:
	s_andn2_b64 vcc, exec, s[2:3]
	s_mov_b64 s[2:3], 0
	s_cbranch_vccnz .LBB40_2993
; %bb.2987:
	v_mov_b32_e32 v1, 14
	v_cmp_gt_i16_sdwa s[2:3], s18, v1 src0_sel:BYTE_0 src1_sel:DWORD
	s_mov_b64 s[10:11], -1
	s_and_b64 vcc, exec, s[2:3]
	s_cbranch_vccz .LBB40_2991
; %bb.2988:
	v_mov_b32_e32 v1, 15
	v_cmp_eq_u16_sdwa s[2:3], s18, v1 src0_sel:BYTE_0 src1_sel:DWORD
	s_mov_b64 s[0:1], -1
	s_and_b64 vcc, exec, s[2:3]
	s_cbranch_vccz .LBB40_2990
; %bb.2989:
	v_bfe_u32 v1, v4, 16, 1
	s_movk_i32 s0, 0x7fff
	v_add3_u32 v1, v4, v1, s0
	v_lshrrev_b32_e32 v1, 16, v1
	v_mov_b32_e32 v5, 0x7fc0
	v_cmp_o_f32_e32 vcc, v4, v4
	v_cndmask_b32_e32 v1, v5, v1, vcc
	global_store_short v[2:3], v1, off
	s_mov_b64 s[0:1], 0
	s_mov_b64 s[6:7], -1
.LBB40_2990:
	s_mov_b64 s[10:11], 0
.LBB40_2991:
	s_mov_b64 s[2:3], 0
	s_and_b64 vcc, exec, s[10:11]
	s_cbranch_vccz .LBB40_2993
; %bb.2992:
	v_mov_b32_e32 v1, 11
	v_cmp_ne_u16_sdwa s[0:1], s18, v1 src0_sel:BYTE_0 src1_sel:DWORD
	s_mov_b64 s[2:3], -1
.LBB40_2993:
	s_and_b64 vcc, exec, s[0:1]
	s_cbranch_vccnz .LBB40_3161
; %bb.2994:
	s_andn2_b64 vcc, exec, s[2:3]
	s_cbranch_vccnz .LBB40_2996
.LBB40_2995:
	v_cmp_neq_f32_e32 vcc, 0, v4
	v_cndmask_b32_e64 v1, 0, 1, vcc
	s_mov_b64 s[6:7], -1
	global_store_byte v[2:3], v1, off
.LBB40_2996:
	s_mov_b64 s[0:1], 0
.LBB40_2997:
	s_and_b64 vcc, exec, s[0:1]
	s_cbranch_vccz .LBB40_3036
; %bb.2998:
	v_mov_b32_e32 v1, 5
	v_cmp_lt_i16_sdwa s[2:3], s18, v1 src0_sel:BYTE_0 src1_sel:DWORD
	s_mov_b64 s[0:1], -1
	s_and_b64 vcc, exec, s[2:3]
	s_cbranch_vccnz .LBB40_3019
; %bb.2999:
	v_mov_b32_e32 v1, 8
	v_cmp_lt_i16_sdwa s[2:3], s18, v1 src0_sel:BYTE_0 src1_sel:DWORD
	s_and_b64 vcc, exec, s[2:3]
	s_cbranch_vccnz .LBB40_3009
; %bb.3000:
	v_mov_b32_e32 v1, 9
	v_cmp_lt_i16_sdwa s[2:3], s18, v1 src0_sel:BYTE_0 src1_sel:DWORD
	s_and_b64 vcc, exec, s[2:3]
	s_cbranch_vccnz .LBB40_3006
; %bb.3001:
	v_cmp_gt_i16_sdwa s[2:3], s18, v1 src0_sel:BYTE_0 src1_sel:DWORD
	s_and_b64 vcc, exec, s[2:3]
	s_cbranch_vccz .LBB40_3003
; %bb.3002:
	v_mov_b32_e32 v8, 0
	v_cvt_f64_f32_e32 v[6:7], v4
	v_mov_b32_e32 v9, v8
	global_store_dwordx4 v[2:3], v[6:9], off
	s_mov_b64 s[0:1], 0
.LBB40_3003:
	s_andn2_b64 vcc, exec, s[0:1]
	s_cbranch_vccnz .LBB40_3005
; %bb.3004:
	v_mov_b32_e32 v5, 0
	global_store_dwordx2 v[2:3], v[4:5], off
.LBB40_3005:
	s_mov_b64 s[0:1], 0
.LBB40_3006:
	s_andn2_b64 vcc, exec, s[0:1]
	s_cbranch_vccnz .LBB40_3008
; %bb.3007:
	v_cvt_f16_f32_e32 v1, v4
	global_store_dword v[2:3], v1, off
.LBB40_3008:
	s_mov_b64 s[0:1], 0
.LBB40_3009:
	s_andn2_b64 vcc, exec, s[0:1]
	s_cbranch_vccnz .LBB40_3018
; %bb.3010:
	v_mov_b32_e32 v1, 6
	v_cmp_lt_i16_sdwa s[2:3], s18, v1 src0_sel:BYTE_0 src1_sel:DWORD
	s_mov_b64 s[0:1], -1
	s_and_b64 vcc, exec, s[2:3]
	s_cbranch_vccnz .LBB40_3016
; %bb.3011:
	v_cmp_gt_i16_sdwa s[2:3], s18, v1 src0_sel:BYTE_0 src1_sel:DWORD
	s_and_b64 vcc, exec, s[2:3]
	s_cbranch_vccz .LBB40_3013
; %bb.3012:
	v_cvt_f64_f32_e32 v[6:7], v4
	global_store_dwordx2 v[2:3], v[6:7], off
	s_mov_b64 s[0:1], 0
.LBB40_3013:
	s_andn2_b64 vcc, exec, s[0:1]
	s_cbranch_vccnz .LBB40_3015
; %bb.3014:
	global_store_dword v[2:3], v4, off
.LBB40_3015:
	s_mov_b64 s[0:1], 0
.LBB40_3016:
	s_andn2_b64 vcc, exec, s[0:1]
	s_cbranch_vccnz .LBB40_3018
; %bb.3017:
	v_cvt_f16_f32_e32 v1, v4
	global_store_short v[2:3], v1, off
.LBB40_3018:
	s_mov_b64 s[0:1], 0
.LBB40_3019:
	s_andn2_b64 vcc, exec, s[0:1]
	s_cbranch_vccnz .LBB40_3035
; %bb.3020:
	v_mov_b32_e32 v1, 2
	v_cmp_lt_i16_sdwa s[2:3], s18, v1 src0_sel:BYTE_0 src1_sel:DWORD
	s_mov_b64 s[0:1], -1
	s_and_b64 vcc, exec, s[2:3]
	s_cbranch_vccnz .LBB40_3030
; %bb.3021:
	v_mov_b32_e32 v1, 3
	v_cmp_lt_i16_sdwa s[2:3], s18, v1 src0_sel:BYTE_0 src1_sel:DWORD
	s_and_b64 vcc, exec, s[2:3]
	s_cbranch_vccnz .LBB40_3027
; %bb.3022:
	v_cmp_gt_i16_sdwa s[2:3], s18, v1 src0_sel:BYTE_0 src1_sel:DWORD
	s_and_b64 vcc, exec, s[2:3]
	s_cbranch_vccz .LBB40_3024
; %bb.3023:
	v_trunc_f32_e32 v1, v4
	s_mov_b32 s0, 0x2f800000
	v_mul_f32_e64 v5, |v1|, s0
	v_floor_f32_e32 v5, v5
	s_mov_b32 s0, 0xcf800000
	v_cvt_u32_f32_e32 v6, v5
	v_fma_f32 v5, v5, s0, |v1|
	v_cvt_u32_f32_e32 v5, v5
	v_ashrrev_i32_e32 v1, 31, v1
	v_xor_b32_e32 v7, v6, v1
	s_mov_b64 s[0:1], 0
	v_xor_b32_e32 v5, v5, v1
	v_sub_co_u32_e32 v6, vcc, v5, v1
	v_subb_co_u32_e32 v7, vcc, v7, v1, vcc
	global_store_dwordx2 v[2:3], v[6:7], off
.LBB40_3024:
	s_andn2_b64 vcc, exec, s[0:1]
	s_cbranch_vccnz .LBB40_3026
; %bb.3025:
	v_cvt_i32_f32_e32 v1, v4
	global_store_dword v[2:3], v1, off
.LBB40_3026:
	s_mov_b64 s[0:1], 0
.LBB40_3027:
	s_andn2_b64 vcc, exec, s[0:1]
	s_cbranch_vccnz .LBB40_3029
; %bb.3028:
	v_cvt_i32_f32_e32 v1, v4
	global_store_short v[2:3], v1, off
.LBB40_3029:
	s_mov_b64 s[0:1], 0
.LBB40_3030:
	s_andn2_b64 vcc, exec, s[0:1]
	s_cbranch_vccnz .LBB40_3035
; %bb.3031:
	v_mov_b32_e32 v1, 0
	v_cmp_gt_i16_sdwa s[2:3], s18, v1 src0_sel:BYTE_0 src1_sel:DWORD
	s_mov_b64 s[0:1], -1
	s_and_b64 vcc, exec, s[2:3]
	s_cbranch_vccz .LBB40_3033
; %bb.3032:
	v_cvt_i32_f32_e32 v1, v4
	s_mov_b64 s[0:1], 0
	global_store_byte v[2:3], v1, off
.LBB40_3033:
	s_andn2_b64 vcc, exec, s[0:1]
	s_cbranch_vccnz .LBB40_3035
; %bb.3034:
	v_trunc_f32_e32 v1, v4
	s_mov_b32 s0, 0x2f800000
	v_mul_f32_e64 v4, |v1|, s0
	v_floor_f32_e32 v4, v4
	s_mov_b32 s0, 0xcf800000
	v_fma_f32 v4, v4, s0, |v1|
	v_cvt_u32_f32_e32 v4, v4
	v_ashrrev_i32_e32 v1, 31, v1
	v_xor_b32_e32 v4, v4, v1
	v_sub_u32_e32 v1, v4, v1
	global_store_byte v[2:3], v1, off
.LBB40_3035:
	s_mov_b64 s[6:7], -1
.LBB40_3036:
	s_andn2_b64 vcc, exec, s[6:7]
	s_cbranch_vccnz .LBB40_3113
; %bb.3037:
	v_mul_f32_e32 v1, v12, v10
	v_cmp_lt_f32_e32 vcc, 0, v12
	v_cndmask_b32_e32 v2, v1, v12, vcc
	v_mov_b32_e32 v1, 0xff
	v_and_b32_e32 v4, s18, v1
	v_mov_b32_e32 v1, s9
	v_add_co_u32_e32 v0, vcc, s8, v0
	v_addc_co_u32_e32 v1, vcc, 0, v1, vcc
	v_cmp_gt_i16_e32 vcc, 11, v4
	s_cbranch_vccnz .LBB40_3158
; %bb.3038:
	v_cmp_lt_i16_e32 vcc, 25, v4
	s_mov_b64 s[6:7], -1
	s_mov_b64 s[2:3], 0
	s_mov_b64 s[0:1], 0
	s_cbranch_vccz .LBB40_3071
; %bb.3039:
	v_cmp_lt_i16_e32 vcc, 28, v4
	s_cbranch_vccz .LBB40_3055
; %bb.3040:
	v_cmp_lt_i16_e32 vcc, 43, v4
	;; [unrolled: 3-line block ×3, first 2 shown]
	s_cbranch_vccz .LBB40_3045
; %bb.3042:
	v_cmp_eq_u16_e32 vcc, 46, v4
	s_mov_b64 s[0:1], -1
	s_cbranch_vccz .LBB40_3044
; %bb.3043:
	v_bfe_u32 v3, v2, 16, 1
	s_movk_i32 s0, 0x7fff
	v_add3_u32 v3, v2, v3, s0
	v_lshrrev_b32_e32 v3, 16, v3
	v_mov_b32_e32 v5, 0x7fc0
	v_cmp_o_f32_e32 vcc, v2, v2
	v_cndmask_b32_e32 v3, v5, v3, vcc
	global_store_dword v[0:1], v3, off
	s_mov_b64 s[0:1], 0
.LBB40_3044:
	s_mov_b64 s[6:7], 0
.LBB40_3045:
	s_and_b64 vcc, exec, s[6:7]
	s_cbranch_vccz .LBB40_3050
; %bb.3046:
	v_cmp_eq_u16_e32 vcc, 44, v4
	s_mov_b64 s[0:1], -1
	s_cbranch_vccz .LBB40_3050
; %bb.3047:
	v_bfe_u32 v3, v2, 23, 8
	s_movk_i32 s0, 0xff
	v_cmp_ne_u32_e32 vcc, s0, v3
	v_mov_b32_e32 v5, 0xff
	s_and_saveexec_b64 s[6:7], vcc
; %bb.3048:
	s_mov_b32 s0, 0x3fffff
	v_and_b32_e32 v6, 0x400000, v2
	v_and_or_b32 v3, v2, s0, v3
	v_cmp_ne_u32_e32 vcc, 0, v6
	v_cmp_ne_u32_e64 s[0:1], 0, v3
	s_and_b64 s[0:1], vcc, s[0:1]
	v_lshrrev_b32_e32 v5, 23, v2
	v_cndmask_b32_e64 v3, 0, 1, s[0:1]
	v_add_u32_e32 v5, v5, v3
; %bb.3049:
	s_or_b64 exec, exec, s[6:7]
	s_mov_b64 s[0:1], 0
	global_store_byte v[0:1], v5, off
.LBB40_3050:
	s_mov_b64 s[6:7], 0
.LBB40_3051:
	s_and_b64 vcc, exec, s[6:7]
	s_cbranch_vccz .LBB40_3054
; %bb.3052:
	v_cmp_eq_u16_e32 vcc, 29, v4
	s_mov_b64 s[0:1], -1
	s_cbranch_vccz .LBB40_3054
; %bb.3053:
	v_trunc_f32_e32 v3, v2
	v_mul_f32_e32 v5, 0x2f800000, v3
	v_floor_f32_e32 v5, v5
	v_fmac_f32_e32 v3, 0xcf800000, v5
	v_cvt_u32_f32_e32 v7, v5
	v_cvt_u32_f32_e32 v6, v3
	s_mov_b64 s[0:1], 0
	global_store_dwordx2 v[0:1], v[6:7], off
.LBB40_3054:
	s_mov_b64 s[6:7], 0
.LBB40_3055:
	s_and_b64 vcc, exec, s[6:7]
	s_cbranch_vccz .LBB40_3070
; %bb.3056:
	v_cmp_gt_i16_e32 vcc, 27, v4
	s_mov_b64 s[6:7], -1
	s_cbranch_vccnz .LBB40_3062
; %bb.3057:
	v_cvt_u32_f32_e32 v3, v2
	v_cmp_lt_i16_e32 vcc, 27, v4
	s_cbranch_vccz .LBB40_3059
; %bb.3058:
	global_store_dword v[0:1], v3, off
	s_mov_b64 s[6:7], 0
.LBB40_3059:
	s_andn2_b64 vcc, exec, s[6:7]
	s_cbranch_vccnz .LBB40_3061
; %bb.3060:
	global_store_short v[0:1], v3, off
.LBB40_3061:
	s_mov_b64 s[6:7], 0
.LBB40_3062:
	s_andn2_b64 vcc, exec, s[6:7]
	s_cbranch_vccnz .LBB40_3070
; %bb.3063:
	v_and_b32_e32 v3, 0x7fffffff, v2
	s_mov_b32 s6, 0x43800000
	v_cmp_gt_u32_e32 vcc, s6, v3
	v_mov_b32_e32 v5, 0x80
	s_and_saveexec_b64 s[6:7], vcc
	s_cbranch_execz .LBB40_3069
; %bb.3064:
	s_mov_b32 s8, 0x3bffffff
	v_cmp_lt_u32_e32 vcc, s8, v3
	s_mov_b64 s[8:9], 0
                                        ; implicit-def: $vgpr3
	s_and_saveexec_b64 s[10:11], vcc
	s_xor_b64 s[10:11], exec, s[10:11]
	s_cbranch_execz .LBB40_3164
; %bb.3065:
	v_bfe_u32 v3, v2, 20, 1
	s_mov_b32 s16, 0x487ffff
	v_add3_u32 v3, v2, v3, s16
	s_mov_b64 s[8:9], exec
	v_lshrrev_b32_e32 v3, 20, v3
	s_or_saveexec_b64 s[10:11], s[10:11]
                                        ; implicit-def: $sgpr16
	s_xor_b64 exec, exec, s[10:11]
	s_cbranch_execnz .LBB40_3165
.LBB40_3066:
	s_or_b64 exec, exec, s[10:11]
	v_mov_b32_e32 v5, s16
	s_and_saveexec_b64 s[10:11], s[8:9]
.LBB40_3067:
	v_lshrrev_b32_e32 v5, 24, v2
	s_movk_i32 s8, 0x80
	v_and_or_b32 v5, v5, s8, v3
.LBB40_3068:
	s_or_b64 exec, exec, s[10:11]
.LBB40_3069:
	s_or_b64 exec, exec, s[6:7]
	global_store_byte v[0:1], v5, off
.LBB40_3070:
	s_mov_b64 s[6:7], 0
.LBB40_3071:
	s_and_b64 vcc, exec, s[6:7]
	s_cbranch_vccz .LBB40_3111
; %bb.3072:
	v_cmp_lt_i16_e32 vcc, 22, v4
	s_mov_b64 s[2:3], -1
	s_cbranch_vccz .LBB40_3104
; %bb.3073:
	v_cmp_gt_i16_e32 vcc, 24, v4
	s_cbranch_vccnz .LBB40_3093
; %bb.3074:
	v_cmp_lt_i16_e32 vcc, 24, v4
	s_cbranch_vccz .LBB40_3082
; %bb.3075:
	v_and_b32_e32 v3, 0x7fffffff, v2
	s_mov_b32 s2, 0x47800000
	v_cmp_gt_u32_e32 vcc, s2, v3
	v_mov_b32_e32 v5, 0x80
	s_and_saveexec_b64 s[2:3], vcc
	s_cbranch_execz .LBB40_3081
; %bb.3076:
	s_mov_b32 s6, 0x37ffffff
	v_cmp_lt_u32_e32 vcc, s6, v3
	s_mov_b64 s[6:7], 0
                                        ; implicit-def: $vgpr3
	s_and_saveexec_b64 s[8:9], vcc
	s_xor_b64 s[8:9], exec, s[8:9]
	s_cbranch_execz .LBB40_3167
; %bb.3077:
	v_bfe_u32 v3, v2, 21, 1
	s_mov_b32 s10, 0x88fffff
	v_add3_u32 v3, v2, v3, s10
	s_mov_b64 s[6:7], exec
	v_lshrrev_b32_e32 v3, 21, v3
	s_or_saveexec_b64 s[8:9], s[8:9]
                                        ; implicit-def: $sgpr10
	s_xor_b64 exec, exec, s[8:9]
	s_cbranch_execnz .LBB40_3168
.LBB40_3078:
	s_or_b64 exec, exec, s[8:9]
	v_mov_b32_e32 v5, s10
	s_and_saveexec_b64 s[8:9], s[6:7]
.LBB40_3079:
	v_lshrrev_b32_e32 v5, 24, v2
	s_movk_i32 s6, 0x80
	v_and_or_b32 v5, v5, s6, v3
.LBB40_3080:
	s_or_b64 exec, exec, s[8:9]
.LBB40_3081:
	s_or_b64 exec, exec, s[2:3]
	s_mov_b64 s[2:3], 0
	global_store_byte v[0:1], v5, off
.LBB40_3082:
	s_and_b64 vcc, exec, s[2:3]
	s_cbranch_vccz .LBB40_3092
; %bb.3083:
	v_and_b32_e32 v5, 0x7fffffff, v2
	s_mov_b32 s2, 0x43f00000
	v_cmp_gt_u32_e32 vcc, s2, v5
                                        ; implicit-def: $vgpr3
	s_and_saveexec_b64 s[2:3], vcc
	s_xor_b64 s[2:3], exec, s[2:3]
	s_cbranch_execz .LBB40_3089
; %bb.3084:
	s_mov_b32 s6, 0x3c7fffff
	v_cmp_lt_u32_e32 vcc, s6, v5
                                        ; implicit-def: $vgpr3
	s_and_saveexec_b64 s[6:7], vcc
	s_xor_b64 s[6:7], exec, s[6:7]
; %bb.3085:
	v_bfe_u32 v3, v2, 20, 1
	s_mov_b32 s8, 0x407ffff
	v_add3_u32 v3, v2, v3, s8
	v_lshrrev_b32_e32 v5, 20, v3
	v_and_b32_e32 v3, 0xff00000, v3
	s_mov_b32 s8, 0x7f00000
	v_mov_b32_e32 v6, 0x7e
	v_cmp_ne_u32_e32 vcc, s8, v3
	v_cndmask_b32_e32 v3, v6, v5, vcc
; %bb.3086:
	s_andn2_saveexec_b64 s[6:7], s[6:7]
; %bb.3087:
	s_mov_b32 s8, 0x46800000
	v_add_f32_e64 v3, |v2|, s8
; %bb.3088:
	s_or_b64 exec, exec, s[6:7]
                                        ; implicit-def: $vgpr5
.LBB40_3089:
	s_andn2_saveexec_b64 s[2:3], s[2:3]
; %bb.3090:
	s_mov_b32 s6, 0x7f800000
	v_mov_b32_e32 v3, 0x7e
	v_mov_b32_e32 v6, 0x7f
	v_cmp_lt_u32_e32 vcc, s6, v5
	v_cndmask_b32_e32 v3, v3, v6, vcc
; %bb.3091:
	s_or_b64 exec, exec, s[2:3]
	v_lshrrev_b32_e32 v5, 24, v2
	s_movk_i32 s2, 0x80
	v_and_or_b32 v3, v5, s2, v3
	global_store_byte v[0:1], v3, off
.LBB40_3092:
	s_mov_b64 s[2:3], 0
.LBB40_3093:
	s_andn2_b64 vcc, exec, s[2:3]
	s_cbranch_vccnz .LBB40_3103
; %bb.3094:
	v_and_b32_e32 v5, 0x7fffffff, v2
	s_mov_b32 s2, 0x47800000
	v_cmp_gt_u32_e32 vcc, s2, v5
                                        ; implicit-def: $vgpr3
	s_and_saveexec_b64 s[2:3], vcc
	s_xor_b64 s[2:3], exec, s[2:3]
	s_cbranch_execz .LBB40_3100
; %bb.3095:
	s_mov_b32 s6, 0x387fffff
	v_cmp_lt_u32_e32 vcc, s6, v5
                                        ; implicit-def: $vgpr3
	s_and_saveexec_b64 s[6:7], vcc
	s_xor_b64 s[6:7], exec, s[6:7]
; %bb.3096:
	v_bfe_u32 v3, v2, 21, 1
	s_mov_b32 s8, 0x80fffff
	v_add3_u32 v3, v2, v3, s8
	v_lshrrev_b32_e32 v3, 21, v3
; %bb.3097:
	s_andn2_saveexec_b64 s[6:7], s[6:7]
; %bb.3098:
	s_mov_b32 s8, 0x43000000
	v_add_f32_e64 v3, |v2|, s8
; %bb.3099:
	s_or_b64 exec, exec, s[6:7]
                                        ; implicit-def: $vgpr5
.LBB40_3100:
	s_andn2_saveexec_b64 s[2:3], s[2:3]
; %bb.3101:
	s_mov_b32 s6, 0x7f800000
	v_mov_b32_e32 v3, 0x7c
	v_mov_b32_e32 v6, 0x7f
	v_cmp_lt_u32_e32 vcc, s6, v5
	v_cndmask_b32_e32 v3, v3, v6, vcc
; %bb.3102:
	s_or_b64 exec, exec, s[2:3]
	v_lshrrev_b32_e32 v5, 24, v2
	s_movk_i32 s2, 0x80
	v_and_or_b32 v3, v5, s2, v3
	global_store_byte v[0:1], v3, off
.LBB40_3103:
	s_mov_b64 s[2:3], 0
.LBB40_3104:
	s_andn2_b64 vcc, exec, s[2:3]
	s_mov_b64 s[2:3], 0
	s_cbranch_vccnz .LBB40_3111
; %bb.3105:
	v_cmp_lt_i16_e32 vcc, 14, v4
	s_mov_b64 s[6:7], -1
	s_cbranch_vccz .LBB40_3109
; %bb.3106:
	v_cmp_eq_u16_e32 vcc, 15, v4
	s_mov_b64 s[0:1], -1
	s_cbranch_vccz .LBB40_3108
; %bb.3107:
	v_bfe_u32 v3, v2, 16, 1
	s_movk_i32 s0, 0x7fff
	v_add3_u32 v3, v2, v3, s0
	v_lshrrev_b32_e32 v3, 16, v3
	v_mov_b32_e32 v5, 0x7fc0
	v_cmp_o_f32_e32 vcc, v2, v2
	v_cndmask_b32_e32 v3, v5, v3, vcc
	global_store_short v[0:1], v3, off
	s_mov_b64 s[0:1], 0
.LBB40_3108:
	s_mov_b64 s[6:7], 0
.LBB40_3109:
	s_and_b64 vcc, exec, s[6:7]
	s_cbranch_vccz .LBB40_3111
; %bb.3110:
	v_cmp_ne_u16_e64 s[0:1], 11, v4
	s_mov_b64 s[2:3], -1
.LBB40_3111:
	s_and_b64 vcc, exec, s[0:1]
	s_cbranch_vccnz .LBB40_3166
.LBB40_3112:
	s_mov_b64 s[0:1], 0
	s_branch .LBB40_3114
.LBB40_3113:
	s_mov_b64 s[0:1], 0
	s_mov_b64 s[2:3], 0
                                        ; implicit-def: $vgpr0_vgpr1
                                        ; implicit-def: $vgpr4
                                        ; implicit-def: $vgpr2
.LBB40_3114:
	s_and_b64 s[6:7], s[2:3], exec
	s_andn2_b64 s[2:3], s[12:13], exec
	s_and_b64 s[4:5], s[4:5], exec
	s_and_b64 s[0:1], s[0:1], exec
	s_or_b64 s[12:13], s[2:3], s[4:5]
.LBB40_3115:
	s_or_b64 exec, exec, s[14:15]
	s_and_saveexec_b64 s[2:3], s[12:13]
	s_cbranch_execz .LBB40_3118
; %bb.3116:
	; divergent unreachable
	s_or_b64 exec, exec, s[2:3]
	s_and_saveexec_b64 s[2:3], s[6:7]
	s_xor_b64 s[2:3], exec, s[2:3]
	s_cbranch_execnz .LBB40_3119
.LBB40_3117:
	s_or_b64 exec, exec, s[2:3]
	s_and_saveexec_b64 s[2:3], s[0:1]
	s_cbranch_execnz .LBB40_3120
	s_branch .LBB40_3157
.LBB40_3118:
	s_or_b64 exec, exec, s[2:3]
	s_and_saveexec_b64 s[2:3], s[6:7]
	s_xor_b64 s[2:3], exec, s[2:3]
	s_cbranch_execz .LBB40_3117
.LBB40_3119:
	v_cmp_neq_f32_e32 vcc, 0, v2
	s_waitcnt vmcnt(0)
	v_cndmask_b32_e64 v3, 0, 1, vcc
	global_store_byte v[0:1], v3, off
	s_or_b64 exec, exec, s[2:3]
	s_and_saveexec_b64 s[2:3], s[0:1]
	s_cbranch_execz .LBB40_3157
.LBB40_3120:
	s_waitcnt vmcnt(0)
	v_cmp_gt_i16_e32 vcc, 5, v4
	s_mov_b64 s[0:1], -1
	s_cbranch_vccnz .LBB40_3141
; %bb.3121:
	v_cmp_gt_i16_e32 vcc, 8, v4
	s_cbranch_vccnz .LBB40_3131
; %bb.3122:
	v_cmp_gt_i16_e32 vcc, 9, v4
	s_cbranch_vccnz .LBB40_3128
; %bb.3123:
	v_cmp_lt_i16_e32 vcc, 9, v4
	s_cbranch_vccz .LBB40_3125
; %bb.3124:
	v_mov_b32_e32 v8, 0
	v_cvt_f64_f32_e32 v[6:7], v2
	v_mov_b32_e32 v9, v8
	global_store_dwordx4 v[0:1], v[6:9], off
	s_mov_b64 s[0:1], 0
.LBB40_3125:
	s_andn2_b64 vcc, exec, s[0:1]
	s_cbranch_vccnz .LBB40_3127
; %bb.3126:
	v_mov_b32_e32 v3, 0
	global_store_dwordx2 v[0:1], v[2:3], off
.LBB40_3127:
	s_mov_b64 s[0:1], 0
.LBB40_3128:
	s_andn2_b64 vcc, exec, s[0:1]
	s_cbranch_vccnz .LBB40_3130
; %bb.3129:
	v_cvt_f16_f32_e32 v3, v2
	global_store_dword v[0:1], v3, off
.LBB40_3130:
	s_mov_b64 s[0:1], 0
.LBB40_3131:
	s_andn2_b64 vcc, exec, s[0:1]
	s_cbranch_vccnz .LBB40_3140
; %bb.3132:
	v_cmp_gt_i16_e32 vcc, 6, v4
	s_mov_b64 s[0:1], -1
	s_cbranch_vccnz .LBB40_3138
; %bb.3133:
	v_cmp_lt_i16_e32 vcc, 6, v4
	s_cbranch_vccz .LBB40_3135
; %bb.3134:
	v_cvt_f64_f32_e32 v[6:7], v2
	global_store_dwordx2 v[0:1], v[6:7], off
	s_mov_b64 s[0:1], 0
.LBB40_3135:
	s_andn2_b64 vcc, exec, s[0:1]
	s_cbranch_vccnz .LBB40_3137
; %bb.3136:
	global_store_dword v[0:1], v2, off
.LBB40_3137:
	s_mov_b64 s[0:1], 0
.LBB40_3138:
	s_andn2_b64 vcc, exec, s[0:1]
	s_cbranch_vccnz .LBB40_3140
; %bb.3139:
	v_cvt_f16_f32_e32 v3, v2
	global_store_short v[0:1], v3, off
.LBB40_3140:
	s_mov_b64 s[0:1], 0
.LBB40_3141:
	s_andn2_b64 vcc, exec, s[0:1]
	s_cbranch_vccnz .LBB40_3157
; %bb.3142:
	v_cmp_gt_i16_e32 vcc, 2, v4
	s_mov_b64 s[0:1], -1
	s_cbranch_vccnz .LBB40_3152
; %bb.3143:
	v_cmp_gt_i16_e32 vcc, 3, v4
	s_cbranch_vccnz .LBB40_3149
; %bb.3144:
	v_cmp_lt_i16_e32 vcc, 3, v4
	s_cbranch_vccz .LBB40_3146
; %bb.3145:
	v_trunc_f32_e32 v3, v2
	s_mov_b32 s0, 0x2f800000
	v_mul_f32_e64 v5, |v3|, s0
	v_floor_f32_e32 v5, v5
	s_mov_b32 s0, 0xcf800000
	v_cvt_u32_f32_e32 v6, v5
	v_fma_f32 v5, v5, s0, |v3|
	v_cvt_u32_f32_e32 v5, v5
	v_ashrrev_i32_e32 v3, 31, v3
	v_xor_b32_e32 v7, v6, v3
	s_mov_b64 s[0:1], 0
	v_xor_b32_e32 v5, v5, v3
	v_sub_co_u32_e32 v6, vcc, v5, v3
	v_subb_co_u32_e32 v7, vcc, v7, v3, vcc
	global_store_dwordx2 v[0:1], v[6:7], off
.LBB40_3146:
	s_andn2_b64 vcc, exec, s[0:1]
	s_cbranch_vccnz .LBB40_3148
; %bb.3147:
	v_cvt_i32_f32_e32 v3, v2
	global_store_dword v[0:1], v3, off
.LBB40_3148:
	s_mov_b64 s[0:1], 0
.LBB40_3149:
	s_andn2_b64 vcc, exec, s[0:1]
	s_cbranch_vccnz .LBB40_3151
; %bb.3150:
	v_cvt_i32_f32_e32 v3, v2
	global_store_short v[0:1], v3, off
.LBB40_3151:
	s_mov_b64 s[0:1], 0
.LBB40_3152:
	s_andn2_b64 vcc, exec, s[0:1]
	s_cbranch_vccnz .LBB40_3157
; %bb.3153:
	v_cmp_lt_i16_e32 vcc, 0, v4
	s_mov_b64 s[0:1], -1
	s_cbranch_vccz .LBB40_3155
; %bb.3154:
	v_cvt_i32_f32_e32 v3, v2
	s_mov_b64 s[0:1], 0
	global_store_byte v[0:1], v3, off
.LBB40_3155:
	s_andn2_b64 vcc, exec, s[0:1]
	s_cbranch_vccnz .LBB40_3157
; %bb.3156:
	v_trunc_f32_e32 v2, v2
	s_mov_b32 s0, 0x2f800000
	v_mul_f32_e64 v3, |v2|, s0
	v_floor_f32_e32 v3, v3
	s_mov_b32 s0, 0xcf800000
	v_fma_f32 v3, v3, s0, |v2|
	v_cvt_u32_f32_e32 v3, v3
	v_ashrrev_i32_e32 v2, 31, v2
	v_xor_b32_e32 v3, v3, v2
	v_sub_u32_e32 v2, v3, v2
	global_store_byte v[0:1], v2, off
	s_endpgm
.LBB40_3157:
	s_endpgm
.LBB40_3158:
	s_mov_b64 s[2:3], 0
	s_mov_b64 s[0:1], -1
	s_branch .LBB40_3114
.LBB40_3159:
	s_or_saveexec_b64 s[16:17], s[16:17]
                                        ; implicit-def: $sgpr19
	s_xor_b64 exec, exec, s[16:17]
	s_cbranch_execz .LBB40_2947
.LBB40_3160:
	s_mov_b32 s19, 0x46000000
	v_add_f32_e64 v1, |v4|, s19
	v_and_b32_e32 v1, 0xff, v1
	v_cmp_ne_u32_e32 vcc, 0, v1
	s_andn2_b64 s[10:11], s[10:11], exec
	s_and_b64 s[20:21], vcc, exec
	s_mov_b32 s19, 0
	s_or_b64 s[10:11], s[10:11], s[20:21]
	s_or_b64 exec, exec, s[16:17]
	v_mov_b32_e32 v5, s19
	s_and_saveexec_b64 s[16:17], s[10:11]
	s_cbranch_execnz .LBB40_2948
	s_branch .LBB40_2949
.LBB40_3161:
	s_trap 2
	s_or_b64 s[4:5], s[4:5], exec
	s_cbranch_execz .LBB40_2995
	s_branch .LBB40_2996
.LBB40_3162:
	s_or_saveexec_b64 s[10:11], s[10:11]
                                        ; implicit-def: $sgpr16
	s_xor_b64 exec, exec, s[10:11]
	s_cbranch_execz .LBB40_2960
.LBB40_3163:
	s_mov_b32 s16, 0x42800000
	v_add_f32_e64 v1, |v4|, s16
	v_and_b32_e32 v1, 0xff, v1
	v_cmp_ne_u32_e32 vcc, 0, v1
	s_andn2_b64 s[6:7], s[6:7], exec
	s_and_b64 s[20:21], vcc, exec
	s_mov_b32 s16, 0
	s_or_b64 s[6:7], s[6:7], s[20:21]
	s_or_b64 exec, exec, s[10:11]
	v_mov_b32_e32 v5, s16
	s_and_saveexec_b64 s[10:11], s[6:7]
	s_cbranch_execnz .LBB40_2961
	s_branch .LBB40_2962
.LBB40_3164:
	s_or_saveexec_b64 s[10:11], s[10:11]
                                        ; implicit-def: $sgpr16
	s_xor_b64 exec, exec, s[10:11]
	s_cbranch_execz .LBB40_3066
.LBB40_3165:
	s_mov_b32 s16, 0x46000000
	v_add_f32_e64 v3, |v2|, s16
	v_and_b32_e32 v3, 0xff, v3
	v_cmp_ne_u32_e32 vcc, 0, v3
	s_andn2_b64 s[8:9], s[8:9], exec
	s_and_b64 s[18:19], vcc, exec
	s_mov_b32 s16, 0
	s_or_b64 s[8:9], s[8:9], s[18:19]
	s_or_b64 exec, exec, s[10:11]
	v_mov_b32_e32 v5, s16
	s_and_saveexec_b64 s[10:11], s[8:9]
	s_cbranch_execnz .LBB40_3067
	s_branch .LBB40_3068
.LBB40_3166:
	s_mov_b64 s[2:3], 0
	s_or_b64 s[4:5], s[4:5], exec
	s_trap 2
	s_branch .LBB40_3112
.LBB40_3167:
	s_or_saveexec_b64 s[8:9], s[8:9]
                                        ; implicit-def: $sgpr10
	s_xor_b64 exec, exec, s[8:9]
	s_cbranch_execz .LBB40_3078
.LBB40_3168:
	s_mov_b32 s10, 0x42800000
	v_add_f32_e64 v3, |v2|, s10
	v_and_b32_e32 v3, 0xff, v3
	v_cmp_ne_u32_e32 vcc, 0, v3
	s_andn2_b64 s[6:7], s[6:7], exec
	s_and_b64 s[16:17], vcc, exec
	s_mov_b32 s10, 0
	s_or_b64 s[6:7], s[6:7], s[16:17]
	s_or_b64 exec, exec, s[8:9]
	v_mov_b32_e32 v5, s10
	s_and_saveexec_b64 s[8:9], s[6:7]
	s_cbranch_execnz .LBB40_3079
	s_branch .LBB40_3080
	.section	.rodata,"a",@progbits
	.p2align	6, 0x0
	.amdhsa_kernel _ZN2at6native32elementwise_kernel_manual_unrollILi128ELi4EZNS0_15gpu_kernel_implIZZZNS0_12prelu_kernelERNS_14TensorIteratorEENKUlvE_clEvENKUlvE0_clEvEUlffE_EEvRNS_18TensorIteratorBaseERKT_EUlibE0_EEviT1_
		.amdhsa_group_segment_fixed_size 0
		.amdhsa_private_segment_fixed_size 0
		.amdhsa_kernarg_size 432
		.amdhsa_user_sgpr_count 6
		.amdhsa_user_sgpr_private_segment_buffer 1
		.amdhsa_user_sgpr_dispatch_ptr 0
		.amdhsa_user_sgpr_queue_ptr 0
		.amdhsa_user_sgpr_kernarg_segment_ptr 1
		.amdhsa_user_sgpr_dispatch_id 0
		.amdhsa_user_sgpr_flat_scratch_init 0
		.amdhsa_user_sgpr_kernarg_preload_length 0
		.amdhsa_user_sgpr_kernarg_preload_offset 0
		.amdhsa_user_sgpr_private_segment_size 0
		.amdhsa_uses_dynamic_stack 0
		.amdhsa_system_sgpr_private_segment_wavefront_offset 0
		.amdhsa_system_sgpr_workgroup_id_x 1
		.amdhsa_system_sgpr_workgroup_id_y 0
		.amdhsa_system_sgpr_workgroup_id_z 0
		.amdhsa_system_sgpr_workgroup_info 0
		.amdhsa_system_vgpr_workitem_id 0
		.amdhsa_next_free_vgpr 26
		.amdhsa_next_free_sgpr 78
		.amdhsa_accum_offset 28
		.amdhsa_reserve_vcc 1
		.amdhsa_reserve_flat_scratch 0
		.amdhsa_float_round_mode_32 0
		.amdhsa_float_round_mode_16_64 0
		.amdhsa_float_denorm_mode_32 3
		.amdhsa_float_denorm_mode_16_64 3
		.amdhsa_dx10_clamp 1
		.amdhsa_ieee_mode 1
		.amdhsa_fp16_overflow 0
		.amdhsa_tg_split 0
		.amdhsa_exception_fp_ieee_invalid_op 0
		.amdhsa_exception_fp_denorm_src 0
		.amdhsa_exception_fp_ieee_div_zero 0
		.amdhsa_exception_fp_ieee_overflow 0
		.amdhsa_exception_fp_ieee_underflow 0
		.amdhsa_exception_fp_ieee_inexact 0
		.amdhsa_exception_int_div_zero 0
	.end_amdhsa_kernel
	.section	.text._ZN2at6native32elementwise_kernel_manual_unrollILi128ELi4EZNS0_15gpu_kernel_implIZZZNS0_12prelu_kernelERNS_14TensorIteratorEENKUlvE_clEvENKUlvE0_clEvEUlffE_EEvRNS_18TensorIteratorBaseERKT_EUlibE0_EEviT1_,"axG",@progbits,_ZN2at6native32elementwise_kernel_manual_unrollILi128ELi4EZNS0_15gpu_kernel_implIZZZNS0_12prelu_kernelERNS_14TensorIteratorEENKUlvE_clEvENKUlvE0_clEvEUlffE_EEvRNS_18TensorIteratorBaseERKT_EUlibE0_EEviT1_,comdat
.Lfunc_end40:
	.size	_ZN2at6native32elementwise_kernel_manual_unrollILi128ELi4EZNS0_15gpu_kernel_implIZZZNS0_12prelu_kernelERNS_14TensorIteratorEENKUlvE_clEvENKUlvE0_clEvEUlffE_EEvRNS_18TensorIteratorBaseERKT_EUlibE0_EEviT1_, .Lfunc_end40-_ZN2at6native32elementwise_kernel_manual_unrollILi128ELi4EZNS0_15gpu_kernel_implIZZZNS0_12prelu_kernelERNS_14TensorIteratorEENKUlvE_clEvENKUlvE0_clEvEUlffE_EEvRNS_18TensorIteratorBaseERKT_EUlibE0_EEviT1_
                                        ; -- End function
	.section	.AMDGPU.csdata,"",@progbits
; Kernel info:
; codeLenInByte = 57564
; NumSgprs: 82
; NumVgprs: 26
; NumAgprs: 0
; TotalNumVgprs: 26
; ScratchSize: 0
; MemoryBound: 1
; FloatMode: 240
; IeeeMode: 1
; LDSByteSize: 0 bytes/workgroup (compile time only)
; SGPRBlocks: 10
; VGPRBlocks: 3
; NumSGPRsForWavesPerEU: 82
; NumVGPRsForWavesPerEU: 26
; AccumOffset: 28
; Occupancy: 8
; WaveLimiterHint : 1
; COMPUTE_PGM_RSRC2:SCRATCH_EN: 0
; COMPUTE_PGM_RSRC2:USER_SGPR: 6
; COMPUTE_PGM_RSRC2:TRAP_HANDLER: 0
; COMPUTE_PGM_RSRC2:TGID_X_EN: 1
; COMPUTE_PGM_RSRC2:TGID_Y_EN: 0
; COMPUTE_PGM_RSRC2:TGID_Z_EN: 0
; COMPUTE_PGM_RSRC2:TIDIG_COMP_CNT: 0
; COMPUTE_PGM_RSRC3_GFX90A:ACCUM_OFFSET: 6
; COMPUTE_PGM_RSRC3_GFX90A:TG_SPLIT: 0
	.section	.text._ZN2at6native29vectorized_elementwise_kernelILi16EZZZNS0_12prelu_kernelERNS_14TensorIteratorEENKUlvE_clEvENKUlvE1_clEvEUlN3c108BFloat16ES7_E_St5arrayIPcLm3EEEEviT0_T1_,"axG",@progbits,_ZN2at6native29vectorized_elementwise_kernelILi16EZZZNS0_12prelu_kernelERNS_14TensorIteratorEENKUlvE_clEvENKUlvE1_clEvEUlN3c108BFloat16ES7_E_St5arrayIPcLm3EEEEviT0_T1_,comdat
	.globl	_ZN2at6native29vectorized_elementwise_kernelILi16EZZZNS0_12prelu_kernelERNS_14TensorIteratorEENKUlvE_clEvENKUlvE1_clEvEUlN3c108BFloat16ES7_E_St5arrayIPcLm3EEEEviT0_T1_ ; -- Begin function _ZN2at6native29vectorized_elementwise_kernelILi16EZZZNS0_12prelu_kernelERNS_14TensorIteratorEENKUlvE_clEvENKUlvE1_clEvEUlN3c108BFloat16ES7_E_St5arrayIPcLm3EEEEviT0_T1_
	.p2align	8
	.type	_ZN2at6native29vectorized_elementwise_kernelILi16EZZZNS0_12prelu_kernelERNS_14TensorIteratorEENKUlvE_clEvENKUlvE1_clEvEUlN3c108BFloat16ES7_E_St5arrayIPcLm3EEEEviT0_T1_,@function
_ZN2at6native29vectorized_elementwise_kernelILi16EZZZNS0_12prelu_kernelERNS_14TensorIteratorEENKUlvE_clEvENKUlvE1_clEvEUlN3c108BFloat16ES7_E_St5arrayIPcLm3EEEEviT0_T1_: ; @_ZN2at6native29vectorized_elementwise_kernelILi16EZZZNS0_12prelu_kernelERNS_14TensorIteratorEENKUlvE_clEvENKUlvE1_clEvEUlN3c108BFloat16ES7_E_St5arrayIPcLm3EEEEviT0_T1_
; %bb.0:
	s_load_dword s0, s[4:5], 0x0
	s_load_dwordx4 s[8:11], s[4:5], 0x8
	s_load_dwordx2 s[12:13], s[4:5], 0x18
	s_lshl_b32 s2, s6, 11
	s_waitcnt lgkmcnt(0)
	s_sub_i32 s14, s0, s2
	s_cmpk_gt_i32 s14, 0x7ff
	s_mov_b64 s[0:1], -1
	s_cbranch_scc0 .LBB41_18
; %bb.1:
	s_ashr_i32 s3, s2, 31
	s_lshl_b64 s[0:1], s[2:3], 1
	s_add_u32 s4, s10, s0
	s_addc_u32 s5, s11, s1
	v_lshlrev_b32_e32 v1, 4, v0
	s_add_u32 s6, s12, s0
	global_load_dwordx4 v[2:5], v1, s[4:5]
	s_addc_u32 s7, s13, s1
	global_load_dword v10, v1, s[6:7] offset:10
	global_load_ushort v8, v1, s[6:7] offset:14
	global_load_dwordx2 v[6:7], v1, s[6:7] offset:2
	s_waitcnt vmcnt(3)
	v_lshlrev_b32_e32 v11, 16, v2
	v_cmp_nlt_f32_e32 vcc, 0, v11
	v_mov_b32_e32 v9, v2
	s_and_saveexec_b64 s[4:5], vcc
	s_cbranch_execz .LBB41_3
; %bb.2:
	v_mov_b32_e32 v9, s7
	v_add_co_u32_e32 v12, vcc, s6, v1
	v_addc_co_u32_e32 v13, vcc, 0, v9, vcc
	global_load_ushort v9, v[12:13], off
	s_movk_i32 s3, 0x7fff
	v_mov_b32_e32 v12, 0x7fc0
	s_waitcnt vmcnt(0)
	v_lshlrev_b32_e32 v9, 16, v9
	v_mul_f32_e32 v9, v11, v9
	v_bfe_u32 v11, v9, 16, 1
	v_add3_u32 v11, v9, v11, s3
	v_lshrrev_b32_e32 v11, 16, v11
	v_cmp_o_f32_e32 vcc, v9, v9
	v_cndmask_b32_e32 v9, v12, v11, vcc
.LBB41_3:
	s_or_b64 exec, exec, s[4:5]
	v_lshrrev_b32_e32 v11, 16, v2
	v_and_b32_e32 v2, 0xffff0000, v2
	v_cmp_nlt_f32_e32 vcc, 0, v2
	s_and_saveexec_b64 s[4:5], vcc
	s_cbranch_execz .LBB41_5
; %bb.4:
	s_waitcnt vmcnt(0)
	v_lshlrev_b32_e32 v11, 16, v6
	v_mul_f32_e32 v2, v2, v11
	v_bfe_u32 v11, v2, 16, 1
	s_movk_i32 s3, 0x7fff
	v_add3_u32 v11, v2, v11, s3
	v_lshrrev_b32_e32 v11, 16, v11
	v_mov_b32_e32 v12, 0x7fc0
	v_cmp_o_f32_e32 vcc, v2, v2
	v_cndmask_b32_e32 v11, v12, v11, vcc
.LBB41_5:
	s_or_b64 exec, exec, s[4:5]
	v_lshlrev_b32_e32 v12, 16, v3
	v_cmp_nlt_f32_e32 vcc, 0, v12
	v_mov_b32_e32 v2, v3
	s_and_saveexec_b64 s[4:5], vcc
	s_cbranch_execz .LBB41_7
; %bb.6:
	s_waitcnt vmcnt(0)
	v_and_b32_e32 v2, 0xffff0000, v6
	v_mul_f32_e32 v2, v12, v2
	v_bfe_u32 v6, v2, 16, 1
	s_movk_i32 s3, 0x7fff
	v_add3_u32 v6, v2, v6, s3
	v_lshrrev_b32_e32 v6, 16, v6
	v_mov_b32_e32 v12, 0x7fc0
	v_cmp_o_f32_e32 vcc, v2, v2
	v_cndmask_b32_e32 v2, v12, v6, vcc
.LBB41_7:
	s_or_b64 exec, exec, s[4:5]
	s_waitcnt vmcnt(0)
	v_lshrrev_b32_e32 v6, 16, v3
	v_and_b32_e32 v3, 0xffff0000, v3
	v_cmp_nlt_f32_e32 vcc, 0, v3
	s_and_saveexec_b64 s[4:5], vcc
; %bb.8:
	v_lshlrev_b32_e32 v6, 16, v7
	v_mul_f32_e32 v3, v3, v6
	v_bfe_u32 v6, v3, 16, 1
	s_movk_i32 s3, 0x7fff
	v_add3_u32 v6, v3, v6, s3
	v_lshrrev_b32_e32 v6, 16, v6
	v_mov_b32_e32 v12, 0x7fc0
	v_cmp_o_f32_e32 vcc, v3, v3
	v_cndmask_b32_e32 v6, v12, v6, vcc
; %bb.9:
	s_or_b64 exec, exec, s[4:5]
	v_lshlrev_b32_e32 v12, 16, v4
	v_cmp_nlt_f32_e32 vcc, 0, v12
	v_mov_b32_e32 v3, v4
	s_and_saveexec_b64 s[4:5], vcc
; %bb.10:
	v_and_b32_e32 v3, 0xffff0000, v7
	v_mul_f32_e32 v3, v12, v3
	v_bfe_u32 v7, v3, 16, 1
	s_movk_i32 s3, 0x7fff
	v_add3_u32 v7, v3, v7, s3
	v_lshrrev_b32_e32 v7, 16, v7
	v_mov_b32_e32 v12, 0x7fc0
	v_cmp_o_f32_e32 vcc, v3, v3
	v_cndmask_b32_e32 v3, v12, v7, vcc
; %bb.11:
	s_or_b64 exec, exec, s[4:5]
	v_lshrrev_b32_e32 v7, 16, v4
	v_and_b32_e32 v4, 0xffff0000, v4
	v_cmp_nlt_f32_e32 vcc, 0, v4
	s_and_saveexec_b64 s[4:5], vcc
; %bb.12:
	v_lshlrev_b32_e32 v7, 16, v10
	v_mul_f32_e32 v4, v4, v7
	v_bfe_u32 v7, v4, 16, 1
	s_movk_i32 s3, 0x7fff
	v_add3_u32 v7, v4, v7, s3
	v_lshrrev_b32_e32 v7, 16, v7
	v_mov_b32_e32 v12, 0x7fc0
	v_cmp_o_f32_e32 vcc, v4, v4
	v_cndmask_b32_e32 v7, v12, v7, vcc
; %bb.13:
	s_or_b64 exec, exec, s[4:5]
	v_lshlrev_b32_e32 v12, 16, v5
	v_cmp_nlt_f32_e32 vcc, 0, v12
	v_mov_b32_e32 v4, v5
	s_and_saveexec_b64 s[4:5], vcc
; %bb.14:
	v_and_b32_e32 v4, 0xffff0000, v10
	v_mul_f32_e32 v4, v12, v4
	v_bfe_u32 v10, v4, 16, 1
	s_movk_i32 s3, 0x7fff
	v_add3_u32 v10, v4, v10, s3
	v_lshrrev_b32_e32 v10, 16, v10
	v_mov_b32_e32 v12, 0x7fc0
	v_cmp_o_f32_e32 vcc, v4, v4
	v_cndmask_b32_e32 v4, v12, v10, vcc
; %bb.15:
	s_or_b64 exec, exec, s[4:5]
	v_lshrrev_b32_e32 v10, 16, v5
	v_and_b32_e32 v5, 0xffff0000, v5
	v_cmp_nlt_f32_e32 vcc, 0, v5
	s_and_saveexec_b64 s[4:5], vcc
; %bb.16:
	v_lshlrev_b32_e32 v8, 16, v8
	v_mul_f32_e32 v5, v5, v8
	v_bfe_u32 v8, v5, 16, 1
	s_movk_i32 s3, 0x7fff
	v_add3_u32 v8, v5, v8, s3
	v_lshrrev_b32_e32 v8, 16, v8
	v_mov_b32_e32 v10, 0x7fc0
	v_cmp_o_f32_e32 vcc, v5, v5
	v_cndmask_b32_e32 v10, v10, v8, vcc
; %bb.17:
	s_or_b64 exec, exec, s[4:5]
	s_add_u32 s0, s8, s0
	s_mov_b32 s3, 0x5040100
	s_addc_u32 s1, s9, s1
	v_perm_b32 v5, v10, v4, s3
	v_perm_b32 v4, v7, v3, s3
	;; [unrolled: 1-line block ×4, first 2 shown]
	global_store_dwordx4 v1, v[2:5], s[0:1]
	s_mov_b64 s[0:1], 0
.LBB41_18:
	s_and_b64 vcc, exec, s[0:1]
	s_cbranch_vccz .LBB41_73
; %bb.19:
	v_cmp_gt_i32_e32 vcc, s14, v0
	v_mov_b32_e32 v1, 0
	v_or_b32_e32 v2, s2, v0
	v_mov_b32_e32 v4, 0
	v_mov_b32_e32 v3, 0
	v_mov_b32_e32 v18, v0
	s_and_saveexec_b64 s[4:5], vcc
	s_cbranch_execz .LBB41_21
; %bb.20:
	v_mov_b32_e32 v3, 0
	v_lshlrev_b64 v[4:5], 1, v[2:3]
	v_mov_b32_e32 v3, s13
	v_add_co_u32_e64 v6, s[0:1], s12, v4
	v_addc_co_u32_e64 v7, s[0:1], v3, v5, s[0:1]
	v_mov_b32_e32 v3, s11
	v_add_co_u32_e64 v8, s[0:1], s10, v4
	v_addc_co_u32_e64 v9, s[0:1], v3, v5, s[0:1]
	global_load_ushort v4, v[8:9], off
	global_load_ushort v3, v[6:7], off
	v_or_b32_e32 v18, 0x100, v0
.LBB41_21:
	s_or_b64 exec, exec, s[4:5]
	v_cmp_gt_i32_e64 s[0:1], s14, v18
	v_mov_b32_e32 v11, 0
	s_and_saveexec_b64 s[4:5], s[0:1]
	s_cbranch_execz .LBB41_23
; %bb.22:
	v_add_u32_e32 v6, s2, v18
	v_mov_b32_e32 v7, 0
	v_lshlrev_b64 v[6:7], 1, v[6:7]
	v_mov_b32_e32 v1, s13
	v_add_co_u32_e64 v8, s[0:1], s12, v6
	v_addc_co_u32_e64 v9, s[0:1], v1, v7, s[0:1]
	v_mov_b32_e32 v1, s11
	v_add_co_u32_e64 v6, s[0:1], s10, v6
	v_addc_co_u32_e64 v7, s[0:1], v1, v7, s[0:1]
	global_load_ushort v1, v[6:7], off
	global_load_ushort v11, v[8:9], off
	v_add_u32_e32 v18, 0x100, v18
.LBB41_23:
	s_or_b64 exec, exec, s[4:5]
	v_cmp_gt_i32_e64 s[0:1], s14, v18
	v_mov_b32_e32 v5, 0
	v_mov_b32_e32 v6, 0
	v_mov_b32_e32 v12, 0
	s_and_saveexec_b64 s[4:5], s[0:1]
	s_cbranch_execz .LBB41_25
; %bb.24:
	v_add_u32_e32 v6, s2, v18
	v_mov_b32_e32 v7, 0
	v_lshlrev_b64 v[6:7], 1, v[6:7]
	v_mov_b32_e32 v9, s13
	v_add_co_u32_e64 v8, s[0:1], s12, v6
	v_addc_co_u32_e64 v9, s[0:1], v9, v7, s[0:1]
	v_mov_b32_e32 v10, s11
	v_add_co_u32_e64 v14, s[0:1], s10, v6
	v_addc_co_u32_e64 v15, s[0:1], v10, v7, s[0:1]
	global_load_ushort v6, v[14:15], off
	global_load_ushort v12, v[8:9], off
	v_add_u32_e32 v18, 0x100, v18
.LBB41_25:
	s_or_b64 exec, exec, s[4:5]
	v_cmp_gt_i32_e64 s[0:1], s14, v18
	v_mov_b32_e32 v13, 0
	s_and_saveexec_b64 s[4:5], s[0:1]
	s_cbranch_execz .LBB41_27
; %bb.26:
	v_add_u32_e32 v8, s2, v18
	v_mov_b32_e32 v9, 0
	v_lshlrev_b64 v[8:9], 1, v[8:9]
	v_mov_b32_e32 v5, s13
	v_add_co_u32_e64 v14, s[0:1], s12, v8
	v_addc_co_u32_e64 v15, s[0:1], v5, v9, s[0:1]
	v_mov_b32_e32 v5, s11
	v_add_co_u32_e64 v8, s[0:1], s10, v8
	v_addc_co_u32_e64 v9, s[0:1], v5, v9, s[0:1]
	global_load_ushort v5, v[8:9], off
	global_load_ushort v13, v[14:15], off
	v_add_u32_e32 v18, 0x100, v18
.LBB41_27:
	s_or_b64 exec, exec, s[4:5]
	v_cmp_gt_i32_e64 s[0:1], s14, v18
	v_mov_b32_e32 v7, 0
	v_mov_b32_e32 v8, 0
	v_mov_b32_e32 v14, 0
	s_and_saveexec_b64 s[4:5], s[0:1]
	s_cbranch_execz .LBB41_29
; %bb.28:
	v_add_u32_e32 v8, s2, v18
	v_mov_b32_e32 v9, 0
	v_lshlrev_b64 v[8:9], 1, v[8:9]
	v_mov_b32_e32 v10, s13
	v_add_co_u32_e64 v16, s[0:1], s12, v8
	v_addc_co_u32_e64 v17, s[0:1], v10, v9, s[0:1]
	v_mov_b32_e32 v10, s11
	v_add_co_u32_e64 v20, s[0:1], s10, v8
	v_addc_co_u32_e64 v21, s[0:1], v10, v9, s[0:1]
	global_load_ushort v8, v[20:21], off
	global_load_ushort v14, v[16:17], off
	v_add_u32_e32 v18, 0x100, v18
.LBB41_29:
	;; [unrolled: 40-line block ×3, first 2 shown]
	s_or_b64 exec, exec, s[4:5]
	v_cmp_gt_i32_e64 s[0:1], s14, v18
	v_mov_b32_e32 v17, 0
	s_and_saveexec_b64 s[4:5], s[0:1]
	s_cbranch_execz .LBB41_35
; %bb.34:
	v_add_u32_e32 v18, s2, v18
	v_mov_b32_e32 v19, 0
	v_lshlrev_b64 v[18:19], 1, v[18:19]
	v_mov_b32_e32 v9, s13
	v_add_co_u32_e64 v20, s[0:1], s12, v18
	v_addc_co_u32_e64 v21, s[0:1], v9, v19, s[0:1]
	v_mov_b32_e32 v9, s11
	v_add_co_u32_e64 v18, s[0:1], s10, v18
	v_addc_co_u32_e64 v19, s[0:1], v9, v19, s[0:1]
	global_load_ushort v9, v[18:19], off
	global_load_ushort v17, v[20:21], off
.LBB41_35:
	s_or_b64 exec, exec, s[4:5]
	s_and_saveexec_b64 s[4:5], vcc
	s_cbranch_execz .LBB41_39
; %bb.36:
	s_waitcnt vmcnt(1)
	v_lshlrev_b32_e32 v18, 16, v4
	v_cmp_nlt_f32_e64 s[0:1], 0, v18
	s_and_saveexec_b64 s[6:7], s[0:1]
	s_cbranch_execz .LBB41_38
; %bb.37:
	s_waitcnt vmcnt(0)
	v_lshlrev_b32_e32 v3, 16, v3
	v_mul_f32_e32 v3, v18, v3
	v_bfe_u32 v4, v3, 16, 1
	s_movk_i32 s0, 0x7fff
	v_add3_u32 v4, v3, v4, s0
	v_lshrrev_b32_e32 v4, 16, v4
	v_mov_b32_e32 v18, 0x7fc0
	v_cmp_o_f32_e64 s[0:1], v3, v3
	v_cndmask_b32_e64 v4, v18, v4, s[0:1]
.LBB41_38:
	s_or_b64 exec, exec, s[6:7]
.LBB41_39:
	s_or_b64 exec, exec, s[4:5]
	v_or_b32_e32 v18, 0x100, v0
	v_cmp_gt_i32_e64 s[0:1], s14, v18
	s_and_saveexec_b64 s[4:5], s[0:1]
	s_cbranch_execz .LBB41_43
; %bb.40:
	s_waitcnt vmcnt(0)
	v_lshlrev_b32_e32 v3, 16, v1
	v_cmp_nlt_f32_e64 s[0:1], 0, v3
	s_and_saveexec_b64 s[6:7], s[0:1]
; %bb.41:
	v_lshlrev_b32_e32 v1, 16, v11
	v_mul_f32_e32 v1, v3, v1
	v_bfe_u32 v3, v1, 16, 1
	s_movk_i32 s0, 0x7fff
	v_add3_u32 v3, v1, v3, s0
	v_lshrrev_b32_e32 v3, 16, v3
	v_mov_b32_e32 v11, 0x7fc0
	v_cmp_o_f32_e64 s[0:1], v1, v1
	v_cndmask_b32_e64 v1, v11, v3, s[0:1]
; %bb.42:
	s_or_b64 exec, exec, s[6:7]
.LBB41_43:
	s_or_b64 exec, exec, s[4:5]
	s_waitcnt vmcnt(0)
	v_or_b32_e32 v3, 0x200, v0
	v_cmp_gt_i32_e64 s[0:1], s14, v3
	s_and_saveexec_b64 s[4:5], s[0:1]
	s_cbranch_execz .LBB41_47
; %bb.44:
	v_lshlrev_b32_e32 v3, 16, v6
	v_cmp_nlt_f32_e64 s[0:1], 0, v3
	s_and_saveexec_b64 s[6:7], s[0:1]
; %bb.45:
	v_lshlrev_b32_e32 v6, 16, v12
	v_mul_f32_e32 v3, v3, v6
	v_bfe_u32 v6, v3, 16, 1
	s_movk_i32 s0, 0x7fff
	v_add3_u32 v6, v3, v6, s0
	v_lshrrev_b32_e32 v6, 16, v6
	v_mov_b32_e32 v11, 0x7fc0
	v_cmp_o_f32_e64 s[0:1], v3, v3
	v_cndmask_b32_e64 v6, v11, v6, s[0:1]
; %bb.46:
	s_or_b64 exec, exec, s[6:7]
.LBB41_47:
	s_or_b64 exec, exec, s[4:5]
	v_or_b32_e32 v3, 0x300, v0
	v_cmp_gt_i32_e64 s[0:1], s14, v3
	s_and_saveexec_b64 s[4:5], s[0:1]
	s_cbranch_execz .LBB41_51
; %bb.48:
	v_lshlrev_b32_e32 v3, 16, v5
	v_cmp_nlt_f32_e64 s[0:1], 0, v3
	s_and_saveexec_b64 s[6:7], s[0:1]
; %bb.49:
	v_lshlrev_b32_e32 v5, 16, v13
	v_mul_f32_e32 v3, v3, v5
	v_bfe_u32 v5, v3, 16, 1
	s_movk_i32 s0, 0x7fff
	v_add3_u32 v5, v3, v5, s0
	v_lshrrev_b32_e32 v5, 16, v5
	v_mov_b32_e32 v11, 0x7fc0
	v_cmp_o_f32_e64 s[0:1], v3, v3
	v_cndmask_b32_e64 v5, v11, v5, s[0:1]
; %bb.50:
	s_or_b64 exec, exec, s[6:7]
.LBB41_51:
	s_or_b64 exec, exec, s[4:5]
	;; [unrolled: 22-line block ×5, first 2 shown]
	v_or_b32_e32 v3, 0x700, v0
	v_cmp_gt_i32_e64 s[0:1], s14, v3
	s_and_saveexec_b64 s[4:5], s[0:1]
	s_cbranch_execnz .LBB41_74
; %bb.64:
	s_or_b64 exec, exec, s[4:5]
	s_and_saveexec_b64 s[0:1], vcc
	s_xor_b64 s[0:1], exec, s[0:1]
	s_cbranch_execnz .LBB41_77
.LBB41_65:
	s_or_b64 exec, exec, s[0:1]
	v_cmp_gt_i32_e32 vcc, s14, v0
	s_and_saveexec_b64 s[0:1], vcc
	s_cbranch_execnz .LBB41_78
.LBB41_66:
	s_or_b64 exec, exec, s[0:1]
	v_cmp_gt_i32_e32 vcc, s14, v0
	s_and_saveexec_b64 s[0:1], vcc
	s_cbranch_execnz .LBB41_79
.LBB41_67:
	s_or_b64 exec, exec, s[0:1]
	v_cmp_gt_i32_e32 vcc, s14, v0
	s_and_saveexec_b64 s[0:1], vcc
	s_cbranch_execnz .LBB41_80
.LBB41_68:
	s_or_b64 exec, exec, s[0:1]
	v_cmp_gt_i32_e32 vcc, s14, v0
	s_and_saveexec_b64 s[0:1], vcc
	s_cbranch_execnz .LBB41_81
.LBB41_69:
	s_or_b64 exec, exec, s[0:1]
	v_cmp_gt_i32_e32 vcc, s14, v0
	s_and_saveexec_b64 s[0:1], vcc
	s_cbranch_execnz .LBB41_82
.LBB41_70:
	s_or_b64 exec, exec, s[0:1]
	v_cmp_gt_i32_e32 vcc, s14, v0
	s_and_saveexec_b64 s[0:1], vcc
	s_cbranch_execnz .LBB41_83
.LBB41_71:
	s_or_b64 exec, exec, s[0:1]
	v_cmp_gt_i32_e32 vcc, s14, v0
	s_and_saveexec_b64 s[0:1], vcc
	s_cbranch_execz .LBB41_73
.LBB41_72:
	v_add_u32_e32 v0, s2, v0
	v_mov_b32_e32 v1, 0
	v_lshlrev_b64 v[0:1], 1, v[0:1]
	v_mov_b32_e32 v2, s9
	v_add_co_u32_e32 v0, vcc, s8, v0
	v_addc_co_u32_e32 v1, vcc, v2, v1, vcc
	global_store_short v[0:1], v9, off
.LBB41_73:
	s_endpgm
.LBB41_74:
	v_lshlrev_b32_e32 v3, 16, v9
	v_cmp_nlt_f32_e64 s[0:1], 0, v3
	s_and_saveexec_b64 s[6:7], s[0:1]
; %bb.75:
	v_lshlrev_b32_e32 v9, 16, v17
	v_mul_f32_e32 v3, v3, v9
	v_bfe_u32 v9, v3, 16, 1
	s_movk_i32 s0, 0x7fff
	v_add3_u32 v9, v3, v9, s0
	v_lshrrev_b32_e32 v9, 16, v9
	v_mov_b32_e32 v11, 0x7fc0
	v_cmp_o_f32_e64 s[0:1], v3, v3
	v_cndmask_b32_e64 v9, v11, v9, s[0:1]
; %bb.76:
	s_or_b64 exec, exec, s[6:7]
	s_or_b64 exec, exec, s[4:5]
	s_and_saveexec_b64 s[0:1], vcc
	s_xor_b64 s[0:1], exec, s[0:1]
	s_cbranch_execz .LBB41_65
.LBB41_77:
	v_mov_b32_e32 v3, 0
	v_lshlrev_b64 v[2:3], 1, v[2:3]
	v_mov_b32_e32 v0, s9
	v_add_co_u32_e32 v2, vcc, s8, v2
	v_addc_co_u32_e32 v3, vcc, v0, v3, vcc
	v_mov_b32_e32 v0, v18
	global_store_short v[2:3], v4, off
	s_or_b64 exec, exec, s[0:1]
	v_cmp_gt_i32_e32 vcc, s14, v0
	s_and_saveexec_b64 s[0:1], vcc
	s_cbranch_execz .LBB41_66
.LBB41_78:
	v_add_u32_e32 v2, s2, v0
	v_mov_b32_e32 v3, 0
	v_lshlrev_b64 v[2:3], 1, v[2:3]
	v_mov_b32_e32 v4, s9
	v_add_co_u32_e32 v2, vcc, s8, v2
	v_addc_co_u32_e32 v3, vcc, v4, v3, vcc
	v_add_u32_e32 v0, 0x100, v0
	global_store_short v[2:3], v1, off
	s_or_b64 exec, exec, s[0:1]
	v_cmp_gt_i32_e32 vcc, s14, v0
	s_and_saveexec_b64 s[0:1], vcc
	s_cbranch_execz .LBB41_67
.LBB41_79:
	v_add_u32_e32 v2, s2, v0
	v_mov_b32_e32 v3, 0
	v_lshlrev_b64 v[2:3], 1, v[2:3]
	v_mov_b32_e32 v1, s9
	v_add_co_u32_e32 v2, vcc, s8, v2
	v_addc_co_u32_e32 v3, vcc, v1, v3, vcc
	v_add_u32_e32 v0, 0x100, v0
	global_store_short v[2:3], v6, off
	s_or_b64 exec, exec, s[0:1]
	v_cmp_gt_i32_e32 vcc, s14, v0
	s_and_saveexec_b64 s[0:1], vcc
	s_cbranch_execz .LBB41_68
.LBB41_80:
	v_add_u32_e32 v2, s2, v0
	v_mov_b32_e32 v3, 0
	v_lshlrev_b64 v[2:3], 1, v[2:3]
	v_mov_b32_e32 v1, s9
	v_add_co_u32_e32 v2, vcc, s8, v2
	v_addc_co_u32_e32 v3, vcc, v1, v3, vcc
	v_add_u32_e32 v0, 0x100, v0
	global_store_short v[2:3], v5, off
	s_or_b64 exec, exec, s[0:1]
	v_cmp_gt_i32_e32 vcc, s14, v0
	s_and_saveexec_b64 s[0:1], vcc
	s_cbranch_execz .LBB41_69
.LBB41_81:
	v_add_u32_e32 v2, s2, v0
	v_mov_b32_e32 v3, 0
	v_lshlrev_b64 v[2:3], 1, v[2:3]
	v_mov_b32_e32 v1, s9
	v_add_co_u32_e32 v2, vcc, s8, v2
	v_addc_co_u32_e32 v3, vcc, v1, v3, vcc
	v_add_u32_e32 v0, 0x100, v0
	global_store_short v[2:3], v8, off
	s_or_b64 exec, exec, s[0:1]
	v_cmp_gt_i32_e32 vcc, s14, v0
	s_and_saveexec_b64 s[0:1], vcc
	s_cbranch_execz .LBB41_70
.LBB41_82:
	v_add_u32_e32 v2, s2, v0
	v_mov_b32_e32 v3, 0
	v_lshlrev_b64 v[2:3], 1, v[2:3]
	v_mov_b32_e32 v1, s9
	v_add_co_u32_e32 v2, vcc, s8, v2
	v_addc_co_u32_e32 v3, vcc, v1, v3, vcc
	v_add_u32_e32 v0, 0x100, v0
	global_store_short v[2:3], v7, off
	s_or_b64 exec, exec, s[0:1]
	v_cmp_gt_i32_e32 vcc, s14, v0
	s_and_saveexec_b64 s[0:1], vcc
	s_cbranch_execz .LBB41_71
.LBB41_83:
	v_add_u32_e32 v2, s2, v0
	v_mov_b32_e32 v3, 0
	v_lshlrev_b64 v[2:3], 1, v[2:3]
	v_mov_b32_e32 v1, s9
	v_add_co_u32_e32 v2, vcc, s8, v2
	v_addc_co_u32_e32 v3, vcc, v1, v3, vcc
	v_add_u32_e32 v0, 0x100, v0
	global_store_short v[2:3], v10, off
	s_or_b64 exec, exec, s[0:1]
	v_cmp_gt_i32_e32 vcc, s14, v0
	s_and_saveexec_b64 s[0:1], vcc
	s_cbranch_execnz .LBB41_72
	s_branch .LBB41_73
	.section	.rodata,"a",@progbits
	.p2align	6, 0x0
	.amdhsa_kernel _ZN2at6native29vectorized_elementwise_kernelILi16EZZZNS0_12prelu_kernelERNS_14TensorIteratorEENKUlvE_clEvENKUlvE1_clEvEUlN3c108BFloat16ES7_E_St5arrayIPcLm3EEEEviT0_T1_
		.amdhsa_group_segment_fixed_size 0
		.amdhsa_private_segment_fixed_size 0
		.amdhsa_kernarg_size 32
		.amdhsa_user_sgpr_count 6
		.amdhsa_user_sgpr_private_segment_buffer 1
		.amdhsa_user_sgpr_dispatch_ptr 0
		.amdhsa_user_sgpr_queue_ptr 0
		.amdhsa_user_sgpr_kernarg_segment_ptr 1
		.amdhsa_user_sgpr_dispatch_id 0
		.amdhsa_user_sgpr_flat_scratch_init 0
		.amdhsa_user_sgpr_kernarg_preload_length 0
		.amdhsa_user_sgpr_kernarg_preload_offset 0
		.amdhsa_user_sgpr_private_segment_size 0
		.amdhsa_uses_dynamic_stack 0
		.amdhsa_system_sgpr_private_segment_wavefront_offset 0
		.amdhsa_system_sgpr_workgroup_id_x 1
		.amdhsa_system_sgpr_workgroup_id_y 0
		.amdhsa_system_sgpr_workgroup_id_z 0
		.amdhsa_system_sgpr_workgroup_info 0
		.amdhsa_system_vgpr_workitem_id 0
		.amdhsa_next_free_vgpr 24
		.amdhsa_next_free_sgpr 15
		.amdhsa_accum_offset 24
		.amdhsa_reserve_vcc 1
		.amdhsa_reserve_flat_scratch 0
		.amdhsa_float_round_mode_32 0
		.amdhsa_float_round_mode_16_64 0
		.amdhsa_float_denorm_mode_32 3
		.amdhsa_float_denorm_mode_16_64 3
		.amdhsa_dx10_clamp 1
		.amdhsa_ieee_mode 1
		.amdhsa_fp16_overflow 0
		.amdhsa_tg_split 0
		.amdhsa_exception_fp_ieee_invalid_op 0
		.amdhsa_exception_fp_denorm_src 0
		.amdhsa_exception_fp_ieee_div_zero 0
		.amdhsa_exception_fp_ieee_overflow 0
		.amdhsa_exception_fp_ieee_underflow 0
		.amdhsa_exception_fp_ieee_inexact 0
		.amdhsa_exception_int_div_zero 0
	.end_amdhsa_kernel
	.section	.text._ZN2at6native29vectorized_elementwise_kernelILi16EZZZNS0_12prelu_kernelERNS_14TensorIteratorEENKUlvE_clEvENKUlvE1_clEvEUlN3c108BFloat16ES7_E_St5arrayIPcLm3EEEEviT0_T1_,"axG",@progbits,_ZN2at6native29vectorized_elementwise_kernelILi16EZZZNS0_12prelu_kernelERNS_14TensorIteratorEENKUlvE_clEvENKUlvE1_clEvEUlN3c108BFloat16ES7_E_St5arrayIPcLm3EEEEviT0_T1_,comdat
.Lfunc_end41:
	.size	_ZN2at6native29vectorized_elementwise_kernelILi16EZZZNS0_12prelu_kernelERNS_14TensorIteratorEENKUlvE_clEvENKUlvE1_clEvEUlN3c108BFloat16ES7_E_St5arrayIPcLm3EEEEviT0_T1_, .Lfunc_end41-_ZN2at6native29vectorized_elementwise_kernelILi16EZZZNS0_12prelu_kernelERNS_14TensorIteratorEENKUlvE_clEvENKUlvE1_clEvEUlN3c108BFloat16ES7_E_St5arrayIPcLm3EEEEviT0_T1_
                                        ; -- End function
	.section	.AMDGPU.csdata,"",@progbits
; Kernel info:
; codeLenInByte = 3088
; NumSgprs: 19
; NumVgprs: 24
; NumAgprs: 0
; TotalNumVgprs: 24
; ScratchSize: 0
; MemoryBound: 0
; FloatMode: 240
; IeeeMode: 1
; LDSByteSize: 0 bytes/workgroup (compile time only)
; SGPRBlocks: 2
; VGPRBlocks: 2
; NumSGPRsForWavesPerEU: 19
; NumVGPRsForWavesPerEU: 24
; AccumOffset: 24
; Occupancy: 8
; WaveLimiterHint : 0
; COMPUTE_PGM_RSRC2:SCRATCH_EN: 0
; COMPUTE_PGM_RSRC2:USER_SGPR: 6
; COMPUTE_PGM_RSRC2:TRAP_HANDLER: 0
; COMPUTE_PGM_RSRC2:TGID_X_EN: 1
; COMPUTE_PGM_RSRC2:TGID_Y_EN: 0
; COMPUTE_PGM_RSRC2:TGID_Z_EN: 0
; COMPUTE_PGM_RSRC2:TIDIG_COMP_CNT: 0
; COMPUTE_PGM_RSRC3_GFX90A:ACCUM_OFFSET: 5
; COMPUTE_PGM_RSRC3_GFX90A:TG_SPLIT: 0
	.section	.text._ZN2at6native29vectorized_elementwise_kernelILi8EZZZNS0_12prelu_kernelERNS_14TensorIteratorEENKUlvE_clEvENKUlvE1_clEvEUlN3c108BFloat16ES7_E_St5arrayIPcLm3EEEEviT0_T1_,"axG",@progbits,_ZN2at6native29vectorized_elementwise_kernelILi8EZZZNS0_12prelu_kernelERNS_14TensorIteratorEENKUlvE_clEvENKUlvE1_clEvEUlN3c108BFloat16ES7_E_St5arrayIPcLm3EEEEviT0_T1_,comdat
	.globl	_ZN2at6native29vectorized_elementwise_kernelILi8EZZZNS0_12prelu_kernelERNS_14TensorIteratorEENKUlvE_clEvENKUlvE1_clEvEUlN3c108BFloat16ES7_E_St5arrayIPcLm3EEEEviT0_T1_ ; -- Begin function _ZN2at6native29vectorized_elementwise_kernelILi8EZZZNS0_12prelu_kernelERNS_14TensorIteratorEENKUlvE_clEvENKUlvE1_clEvEUlN3c108BFloat16ES7_E_St5arrayIPcLm3EEEEviT0_T1_
	.p2align	8
	.type	_ZN2at6native29vectorized_elementwise_kernelILi8EZZZNS0_12prelu_kernelERNS_14TensorIteratorEENKUlvE_clEvENKUlvE1_clEvEUlN3c108BFloat16ES7_E_St5arrayIPcLm3EEEEviT0_T1_,@function
_ZN2at6native29vectorized_elementwise_kernelILi8EZZZNS0_12prelu_kernelERNS_14TensorIteratorEENKUlvE_clEvENKUlvE1_clEvEUlN3c108BFloat16ES7_E_St5arrayIPcLm3EEEEviT0_T1_: ; @_ZN2at6native29vectorized_elementwise_kernelILi8EZZZNS0_12prelu_kernelERNS_14TensorIteratorEENKUlvE_clEvENKUlvE1_clEvEUlN3c108BFloat16ES7_E_St5arrayIPcLm3EEEEviT0_T1_
; %bb.0:
	s_load_dword s0, s[4:5], 0x0
	s_load_dwordx4 s[8:11], s[4:5], 0x8
	s_load_dwordx2 s[12:13], s[4:5], 0x18
	s_lshl_b32 s2, s6, 11
	s_waitcnt lgkmcnt(0)
	s_sub_i32 s14, s0, s2
	s_cmpk_gt_i32 s14, 0x7ff
	s_mov_b64 s[0:1], -1
	s_cbranch_scc0 .LBB42_18
; %bb.1:
	s_ashr_i32 s3, s2, 31
	s_lshl_b64 s[0:1], s[2:3], 1
	s_add_u32 s4, s10, s0
	s_addc_u32 s5, s11, s1
	v_lshlrev_b32_e32 v1, 4, v0
	s_add_u32 s6, s12, s0
	global_load_dwordx4 v[2:5], v1, s[4:5]
	s_addc_u32 s7, s13, s1
	global_load_dword v10, v1, s[6:7] offset:10
	global_load_ushort v8, v1, s[6:7] offset:14
	global_load_dwordx2 v[6:7], v1, s[6:7] offset:2
	s_waitcnt vmcnt(3)
	v_lshlrev_b32_e32 v11, 16, v2
	v_cmp_nlt_f32_e32 vcc, 0, v11
	v_mov_b32_e32 v9, v2
	s_and_saveexec_b64 s[4:5], vcc
	s_cbranch_execz .LBB42_3
; %bb.2:
	v_mov_b32_e32 v9, s7
	v_add_co_u32_e32 v12, vcc, s6, v1
	v_addc_co_u32_e32 v13, vcc, 0, v9, vcc
	global_load_ushort v9, v[12:13], off
	s_movk_i32 s3, 0x7fff
	v_mov_b32_e32 v12, 0x7fc0
	s_waitcnt vmcnt(0)
	v_lshlrev_b32_e32 v9, 16, v9
	v_mul_f32_e32 v9, v11, v9
	v_bfe_u32 v11, v9, 16, 1
	v_add3_u32 v11, v9, v11, s3
	v_lshrrev_b32_e32 v11, 16, v11
	v_cmp_o_f32_e32 vcc, v9, v9
	v_cndmask_b32_e32 v9, v12, v11, vcc
.LBB42_3:
	s_or_b64 exec, exec, s[4:5]
	v_lshrrev_b32_e32 v11, 16, v2
	v_and_b32_e32 v2, 0xffff0000, v2
	v_cmp_nlt_f32_e32 vcc, 0, v2
	s_and_saveexec_b64 s[4:5], vcc
	s_cbranch_execz .LBB42_5
; %bb.4:
	s_waitcnt vmcnt(0)
	v_lshlrev_b32_e32 v11, 16, v6
	v_mul_f32_e32 v2, v2, v11
	v_bfe_u32 v11, v2, 16, 1
	s_movk_i32 s3, 0x7fff
	v_add3_u32 v11, v2, v11, s3
	v_lshrrev_b32_e32 v11, 16, v11
	v_mov_b32_e32 v12, 0x7fc0
	v_cmp_o_f32_e32 vcc, v2, v2
	v_cndmask_b32_e32 v11, v12, v11, vcc
.LBB42_5:
	s_or_b64 exec, exec, s[4:5]
	v_lshlrev_b32_e32 v12, 16, v3
	v_cmp_nlt_f32_e32 vcc, 0, v12
	v_mov_b32_e32 v2, v3
	s_and_saveexec_b64 s[4:5], vcc
	s_cbranch_execz .LBB42_7
; %bb.6:
	s_waitcnt vmcnt(0)
	v_and_b32_e32 v2, 0xffff0000, v6
	v_mul_f32_e32 v2, v12, v2
	v_bfe_u32 v6, v2, 16, 1
	s_movk_i32 s3, 0x7fff
	v_add3_u32 v6, v2, v6, s3
	v_lshrrev_b32_e32 v6, 16, v6
	v_mov_b32_e32 v12, 0x7fc0
	v_cmp_o_f32_e32 vcc, v2, v2
	v_cndmask_b32_e32 v2, v12, v6, vcc
.LBB42_7:
	s_or_b64 exec, exec, s[4:5]
	s_waitcnt vmcnt(0)
	v_lshrrev_b32_e32 v6, 16, v3
	v_and_b32_e32 v3, 0xffff0000, v3
	v_cmp_nlt_f32_e32 vcc, 0, v3
	s_and_saveexec_b64 s[4:5], vcc
; %bb.8:
	v_lshlrev_b32_e32 v6, 16, v7
	v_mul_f32_e32 v3, v3, v6
	v_bfe_u32 v6, v3, 16, 1
	s_movk_i32 s3, 0x7fff
	v_add3_u32 v6, v3, v6, s3
	v_lshrrev_b32_e32 v6, 16, v6
	v_mov_b32_e32 v12, 0x7fc0
	v_cmp_o_f32_e32 vcc, v3, v3
	v_cndmask_b32_e32 v6, v12, v6, vcc
; %bb.9:
	s_or_b64 exec, exec, s[4:5]
	v_lshlrev_b32_e32 v12, 16, v4
	v_cmp_nlt_f32_e32 vcc, 0, v12
	v_mov_b32_e32 v3, v4
	s_and_saveexec_b64 s[4:5], vcc
; %bb.10:
	v_and_b32_e32 v3, 0xffff0000, v7
	v_mul_f32_e32 v3, v12, v3
	v_bfe_u32 v7, v3, 16, 1
	s_movk_i32 s3, 0x7fff
	v_add3_u32 v7, v3, v7, s3
	v_lshrrev_b32_e32 v7, 16, v7
	v_mov_b32_e32 v12, 0x7fc0
	v_cmp_o_f32_e32 vcc, v3, v3
	v_cndmask_b32_e32 v3, v12, v7, vcc
; %bb.11:
	s_or_b64 exec, exec, s[4:5]
	v_lshrrev_b32_e32 v7, 16, v4
	v_and_b32_e32 v4, 0xffff0000, v4
	v_cmp_nlt_f32_e32 vcc, 0, v4
	s_and_saveexec_b64 s[4:5], vcc
; %bb.12:
	v_lshlrev_b32_e32 v7, 16, v10
	v_mul_f32_e32 v4, v4, v7
	v_bfe_u32 v7, v4, 16, 1
	s_movk_i32 s3, 0x7fff
	v_add3_u32 v7, v4, v7, s3
	v_lshrrev_b32_e32 v7, 16, v7
	v_mov_b32_e32 v12, 0x7fc0
	v_cmp_o_f32_e32 vcc, v4, v4
	v_cndmask_b32_e32 v7, v12, v7, vcc
; %bb.13:
	s_or_b64 exec, exec, s[4:5]
	v_lshlrev_b32_e32 v12, 16, v5
	v_cmp_nlt_f32_e32 vcc, 0, v12
	v_mov_b32_e32 v4, v5
	s_and_saveexec_b64 s[4:5], vcc
; %bb.14:
	v_and_b32_e32 v4, 0xffff0000, v10
	v_mul_f32_e32 v4, v12, v4
	v_bfe_u32 v10, v4, 16, 1
	s_movk_i32 s3, 0x7fff
	v_add3_u32 v10, v4, v10, s3
	v_lshrrev_b32_e32 v10, 16, v10
	v_mov_b32_e32 v12, 0x7fc0
	v_cmp_o_f32_e32 vcc, v4, v4
	v_cndmask_b32_e32 v4, v12, v10, vcc
; %bb.15:
	s_or_b64 exec, exec, s[4:5]
	v_lshrrev_b32_e32 v10, 16, v5
	v_and_b32_e32 v5, 0xffff0000, v5
	v_cmp_nlt_f32_e32 vcc, 0, v5
	s_and_saveexec_b64 s[4:5], vcc
; %bb.16:
	v_lshlrev_b32_e32 v8, 16, v8
	v_mul_f32_e32 v5, v5, v8
	v_bfe_u32 v8, v5, 16, 1
	s_movk_i32 s3, 0x7fff
	v_add3_u32 v8, v5, v8, s3
	v_lshrrev_b32_e32 v8, 16, v8
	v_mov_b32_e32 v10, 0x7fc0
	v_cmp_o_f32_e32 vcc, v5, v5
	v_cndmask_b32_e32 v10, v10, v8, vcc
; %bb.17:
	s_or_b64 exec, exec, s[4:5]
	s_add_u32 s0, s8, s0
	s_mov_b32 s3, 0x5040100
	s_addc_u32 s1, s9, s1
	v_perm_b32 v5, v10, v4, s3
	v_perm_b32 v4, v7, v3, s3
	;; [unrolled: 1-line block ×4, first 2 shown]
	global_store_dwordx4 v1, v[2:5], s[0:1]
	s_mov_b64 s[0:1], 0
.LBB42_18:
	s_and_b64 vcc, exec, s[0:1]
	s_cbranch_vccz .LBB42_73
; %bb.19:
	v_cmp_gt_i32_e32 vcc, s14, v0
	v_mov_b32_e32 v1, 0
	v_or_b32_e32 v2, s2, v0
	v_mov_b32_e32 v4, 0
	v_mov_b32_e32 v3, 0
	;; [unrolled: 1-line block ×3, first 2 shown]
	s_and_saveexec_b64 s[4:5], vcc
	s_cbranch_execz .LBB42_21
; %bb.20:
	v_mov_b32_e32 v3, 0
	v_lshlrev_b64 v[4:5], 1, v[2:3]
	v_mov_b32_e32 v3, s13
	v_add_co_u32_e64 v6, s[0:1], s12, v4
	v_addc_co_u32_e64 v7, s[0:1], v3, v5, s[0:1]
	v_mov_b32_e32 v3, s11
	v_add_co_u32_e64 v8, s[0:1], s10, v4
	v_addc_co_u32_e64 v9, s[0:1], v3, v5, s[0:1]
	global_load_ushort v4, v[8:9], off
	global_load_ushort v3, v[6:7], off
	v_or_b32_e32 v18, 0x100, v0
.LBB42_21:
	s_or_b64 exec, exec, s[4:5]
	v_cmp_gt_i32_e64 s[0:1], s14, v18
	v_mov_b32_e32 v11, 0
	s_and_saveexec_b64 s[4:5], s[0:1]
	s_cbranch_execz .LBB42_23
; %bb.22:
	v_add_u32_e32 v6, s2, v18
	v_mov_b32_e32 v7, 0
	v_lshlrev_b64 v[6:7], 1, v[6:7]
	v_mov_b32_e32 v1, s13
	v_add_co_u32_e64 v8, s[0:1], s12, v6
	v_addc_co_u32_e64 v9, s[0:1], v1, v7, s[0:1]
	v_mov_b32_e32 v1, s11
	v_add_co_u32_e64 v6, s[0:1], s10, v6
	v_addc_co_u32_e64 v7, s[0:1], v1, v7, s[0:1]
	global_load_ushort v1, v[6:7], off
	global_load_ushort v11, v[8:9], off
	v_add_u32_e32 v18, 0x100, v18
.LBB42_23:
	s_or_b64 exec, exec, s[4:5]
	v_cmp_gt_i32_e64 s[0:1], s14, v18
	v_mov_b32_e32 v5, 0
	v_mov_b32_e32 v6, 0
	v_mov_b32_e32 v12, 0
	s_and_saveexec_b64 s[4:5], s[0:1]
	s_cbranch_execz .LBB42_25
; %bb.24:
	v_add_u32_e32 v6, s2, v18
	v_mov_b32_e32 v7, 0
	v_lshlrev_b64 v[6:7], 1, v[6:7]
	v_mov_b32_e32 v9, s13
	v_add_co_u32_e64 v8, s[0:1], s12, v6
	v_addc_co_u32_e64 v9, s[0:1], v9, v7, s[0:1]
	v_mov_b32_e32 v10, s11
	v_add_co_u32_e64 v14, s[0:1], s10, v6
	v_addc_co_u32_e64 v15, s[0:1], v10, v7, s[0:1]
	global_load_ushort v6, v[14:15], off
	global_load_ushort v12, v[8:9], off
	v_add_u32_e32 v18, 0x100, v18
.LBB42_25:
	s_or_b64 exec, exec, s[4:5]
	v_cmp_gt_i32_e64 s[0:1], s14, v18
	v_mov_b32_e32 v13, 0
	s_and_saveexec_b64 s[4:5], s[0:1]
	s_cbranch_execz .LBB42_27
; %bb.26:
	v_add_u32_e32 v8, s2, v18
	v_mov_b32_e32 v9, 0
	v_lshlrev_b64 v[8:9], 1, v[8:9]
	v_mov_b32_e32 v5, s13
	v_add_co_u32_e64 v14, s[0:1], s12, v8
	v_addc_co_u32_e64 v15, s[0:1], v5, v9, s[0:1]
	v_mov_b32_e32 v5, s11
	v_add_co_u32_e64 v8, s[0:1], s10, v8
	v_addc_co_u32_e64 v9, s[0:1], v5, v9, s[0:1]
	global_load_ushort v5, v[8:9], off
	global_load_ushort v13, v[14:15], off
	v_add_u32_e32 v18, 0x100, v18
.LBB42_27:
	s_or_b64 exec, exec, s[4:5]
	v_cmp_gt_i32_e64 s[0:1], s14, v18
	v_mov_b32_e32 v7, 0
	v_mov_b32_e32 v8, 0
	v_mov_b32_e32 v14, 0
	s_and_saveexec_b64 s[4:5], s[0:1]
	s_cbranch_execz .LBB42_29
; %bb.28:
	v_add_u32_e32 v8, s2, v18
	v_mov_b32_e32 v9, 0
	v_lshlrev_b64 v[8:9], 1, v[8:9]
	v_mov_b32_e32 v10, s13
	v_add_co_u32_e64 v16, s[0:1], s12, v8
	v_addc_co_u32_e64 v17, s[0:1], v10, v9, s[0:1]
	v_mov_b32_e32 v10, s11
	v_add_co_u32_e64 v20, s[0:1], s10, v8
	v_addc_co_u32_e64 v21, s[0:1], v10, v9, s[0:1]
	global_load_ushort v8, v[20:21], off
	global_load_ushort v14, v[16:17], off
	v_add_u32_e32 v18, 0x100, v18
.LBB42_29:
	s_or_b64 exec, exec, s[4:5]
	v_cmp_gt_i32_e64 s[0:1], s14, v18
	v_mov_b32_e32 v15, 0
	s_and_saveexec_b64 s[4:5], s[0:1]
	s_cbranch_execz .LBB42_31
; %bb.30:
	v_add_u32_e32 v16, s2, v18
	v_mov_b32_e32 v17, 0
	v_lshlrev_b64 v[16:17], 1, v[16:17]
	v_mov_b32_e32 v7, s13
	v_add_co_u32_e64 v20, s[0:1], s12, v16
	v_addc_co_u32_e64 v21, s[0:1], v7, v17, s[0:1]
	v_mov_b32_e32 v7, s11
	v_add_co_u32_e64 v16, s[0:1], s10, v16
	v_addc_co_u32_e64 v17, s[0:1], v7, v17, s[0:1]
	global_load_ushort v7, v[16:17], off
	global_load_ushort v15, v[20:21], off
	v_add_u32_e32 v18, 0x100, v18
.LBB42_31:
	s_or_b64 exec, exec, s[4:5]
	v_cmp_gt_i32_e64 s[0:1], s14, v18
	v_mov_b32_e32 v9, 0
	v_mov_b32_e32 v10, 0
	v_mov_b32_e32 v16, 0
	s_and_saveexec_b64 s[4:5], s[0:1]
	s_cbranch_execz .LBB42_33
; %bb.32:
	v_add_u32_e32 v16, s2, v18
	v_mov_b32_e32 v17, 0
	v_lshlrev_b64 v[16:17], 1, v[16:17]
	v_mov_b32_e32 v10, s13
	v_add_co_u32_e64 v20, s[0:1], s12, v16
	v_addc_co_u32_e64 v21, s[0:1], v10, v17, s[0:1]
	v_mov_b32_e32 v10, s11
	v_add_co_u32_e64 v22, s[0:1], s10, v16
	v_addc_co_u32_e64 v23, s[0:1], v10, v17, s[0:1]
	global_load_ushort v10, v[22:23], off
	global_load_ushort v16, v[20:21], off
	v_add_u32_e32 v18, 0x100, v18
.LBB42_33:
	s_or_b64 exec, exec, s[4:5]
	v_cmp_gt_i32_e64 s[0:1], s14, v18
	v_mov_b32_e32 v17, 0
	s_and_saveexec_b64 s[4:5], s[0:1]
	s_cbranch_execz .LBB42_35
; %bb.34:
	v_add_u32_e32 v18, s2, v18
	v_mov_b32_e32 v19, 0
	v_lshlrev_b64 v[18:19], 1, v[18:19]
	v_mov_b32_e32 v9, s13
	v_add_co_u32_e64 v20, s[0:1], s12, v18
	v_addc_co_u32_e64 v21, s[0:1], v9, v19, s[0:1]
	v_mov_b32_e32 v9, s11
	v_add_co_u32_e64 v18, s[0:1], s10, v18
	v_addc_co_u32_e64 v19, s[0:1], v9, v19, s[0:1]
	global_load_ushort v9, v[18:19], off
	global_load_ushort v17, v[20:21], off
.LBB42_35:
	s_or_b64 exec, exec, s[4:5]
	s_and_saveexec_b64 s[4:5], vcc
	s_cbranch_execz .LBB42_39
; %bb.36:
	s_waitcnt vmcnt(1)
	v_lshlrev_b32_e32 v18, 16, v4
	v_cmp_nlt_f32_e64 s[0:1], 0, v18
	s_and_saveexec_b64 s[6:7], s[0:1]
	s_cbranch_execz .LBB42_38
; %bb.37:
	s_waitcnt vmcnt(0)
	v_lshlrev_b32_e32 v3, 16, v3
	v_mul_f32_e32 v3, v18, v3
	v_bfe_u32 v4, v3, 16, 1
	s_movk_i32 s0, 0x7fff
	v_add3_u32 v4, v3, v4, s0
	v_lshrrev_b32_e32 v4, 16, v4
	v_mov_b32_e32 v18, 0x7fc0
	v_cmp_o_f32_e64 s[0:1], v3, v3
	v_cndmask_b32_e64 v4, v18, v4, s[0:1]
.LBB42_38:
	s_or_b64 exec, exec, s[6:7]
.LBB42_39:
	s_or_b64 exec, exec, s[4:5]
	v_or_b32_e32 v18, 0x100, v0
	v_cmp_gt_i32_e64 s[0:1], s14, v18
	s_and_saveexec_b64 s[4:5], s[0:1]
	s_cbranch_execz .LBB42_43
; %bb.40:
	s_waitcnt vmcnt(0)
	v_lshlrev_b32_e32 v3, 16, v1
	v_cmp_nlt_f32_e64 s[0:1], 0, v3
	s_and_saveexec_b64 s[6:7], s[0:1]
; %bb.41:
	v_lshlrev_b32_e32 v1, 16, v11
	v_mul_f32_e32 v1, v3, v1
	v_bfe_u32 v3, v1, 16, 1
	s_movk_i32 s0, 0x7fff
	v_add3_u32 v3, v1, v3, s0
	v_lshrrev_b32_e32 v3, 16, v3
	v_mov_b32_e32 v11, 0x7fc0
	v_cmp_o_f32_e64 s[0:1], v1, v1
	v_cndmask_b32_e64 v1, v11, v3, s[0:1]
; %bb.42:
	s_or_b64 exec, exec, s[6:7]
.LBB42_43:
	s_or_b64 exec, exec, s[4:5]
	s_waitcnt vmcnt(0)
	v_or_b32_e32 v3, 0x200, v0
	v_cmp_gt_i32_e64 s[0:1], s14, v3
	s_and_saveexec_b64 s[4:5], s[0:1]
	s_cbranch_execz .LBB42_47
; %bb.44:
	v_lshlrev_b32_e32 v3, 16, v6
	v_cmp_nlt_f32_e64 s[0:1], 0, v3
	s_and_saveexec_b64 s[6:7], s[0:1]
; %bb.45:
	v_lshlrev_b32_e32 v6, 16, v12
	v_mul_f32_e32 v3, v3, v6
	v_bfe_u32 v6, v3, 16, 1
	s_movk_i32 s0, 0x7fff
	v_add3_u32 v6, v3, v6, s0
	v_lshrrev_b32_e32 v6, 16, v6
	v_mov_b32_e32 v11, 0x7fc0
	v_cmp_o_f32_e64 s[0:1], v3, v3
	v_cndmask_b32_e64 v6, v11, v6, s[0:1]
; %bb.46:
	s_or_b64 exec, exec, s[6:7]
.LBB42_47:
	s_or_b64 exec, exec, s[4:5]
	v_or_b32_e32 v3, 0x300, v0
	v_cmp_gt_i32_e64 s[0:1], s14, v3
	s_and_saveexec_b64 s[4:5], s[0:1]
	s_cbranch_execz .LBB42_51
; %bb.48:
	v_lshlrev_b32_e32 v3, 16, v5
	v_cmp_nlt_f32_e64 s[0:1], 0, v3
	s_and_saveexec_b64 s[6:7], s[0:1]
; %bb.49:
	v_lshlrev_b32_e32 v5, 16, v13
	v_mul_f32_e32 v3, v3, v5
	v_bfe_u32 v5, v3, 16, 1
	s_movk_i32 s0, 0x7fff
	v_add3_u32 v5, v3, v5, s0
	v_lshrrev_b32_e32 v5, 16, v5
	v_mov_b32_e32 v11, 0x7fc0
	v_cmp_o_f32_e64 s[0:1], v3, v3
	v_cndmask_b32_e64 v5, v11, v5, s[0:1]
; %bb.50:
	s_or_b64 exec, exec, s[6:7]
.LBB42_51:
	s_or_b64 exec, exec, s[4:5]
	;; [unrolled: 22-line block ×5, first 2 shown]
	v_or_b32_e32 v3, 0x700, v0
	v_cmp_gt_i32_e64 s[0:1], s14, v3
	s_and_saveexec_b64 s[4:5], s[0:1]
	s_cbranch_execnz .LBB42_74
; %bb.64:
	s_or_b64 exec, exec, s[4:5]
	s_and_saveexec_b64 s[0:1], vcc
	s_xor_b64 s[0:1], exec, s[0:1]
	s_cbranch_execnz .LBB42_77
.LBB42_65:
	s_or_b64 exec, exec, s[0:1]
	v_cmp_gt_i32_e32 vcc, s14, v0
	s_and_saveexec_b64 s[0:1], vcc
	s_cbranch_execnz .LBB42_78
.LBB42_66:
	s_or_b64 exec, exec, s[0:1]
	v_cmp_gt_i32_e32 vcc, s14, v0
	s_and_saveexec_b64 s[0:1], vcc
	s_cbranch_execnz .LBB42_79
.LBB42_67:
	s_or_b64 exec, exec, s[0:1]
	v_cmp_gt_i32_e32 vcc, s14, v0
	s_and_saveexec_b64 s[0:1], vcc
	s_cbranch_execnz .LBB42_80
.LBB42_68:
	s_or_b64 exec, exec, s[0:1]
	v_cmp_gt_i32_e32 vcc, s14, v0
	s_and_saveexec_b64 s[0:1], vcc
	s_cbranch_execnz .LBB42_81
.LBB42_69:
	s_or_b64 exec, exec, s[0:1]
	v_cmp_gt_i32_e32 vcc, s14, v0
	s_and_saveexec_b64 s[0:1], vcc
	s_cbranch_execnz .LBB42_82
.LBB42_70:
	s_or_b64 exec, exec, s[0:1]
	v_cmp_gt_i32_e32 vcc, s14, v0
	s_and_saveexec_b64 s[0:1], vcc
	s_cbranch_execnz .LBB42_83
.LBB42_71:
	s_or_b64 exec, exec, s[0:1]
	v_cmp_gt_i32_e32 vcc, s14, v0
	s_and_saveexec_b64 s[0:1], vcc
	s_cbranch_execz .LBB42_73
.LBB42_72:
	v_add_u32_e32 v0, s2, v0
	v_mov_b32_e32 v1, 0
	v_lshlrev_b64 v[0:1], 1, v[0:1]
	v_mov_b32_e32 v2, s9
	v_add_co_u32_e32 v0, vcc, s8, v0
	v_addc_co_u32_e32 v1, vcc, v2, v1, vcc
	global_store_short v[0:1], v9, off
.LBB42_73:
	s_endpgm
.LBB42_74:
	v_lshlrev_b32_e32 v3, 16, v9
	v_cmp_nlt_f32_e64 s[0:1], 0, v3
	s_and_saveexec_b64 s[6:7], s[0:1]
; %bb.75:
	v_lshlrev_b32_e32 v9, 16, v17
	v_mul_f32_e32 v3, v3, v9
	v_bfe_u32 v9, v3, 16, 1
	s_movk_i32 s0, 0x7fff
	v_add3_u32 v9, v3, v9, s0
	v_lshrrev_b32_e32 v9, 16, v9
	v_mov_b32_e32 v11, 0x7fc0
	v_cmp_o_f32_e64 s[0:1], v3, v3
	v_cndmask_b32_e64 v9, v11, v9, s[0:1]
; %bb.76:
	s_or_b64 exec, exec, s[6:7]
	s_or_b64 exec, exec, s[4:5]
	s_and_saveexec_b64 s[0:1], vcc
	s_xor_b64 s[0:1], exec, s[0:1]
	s_cbranch_execz .LBB42_65
.LBB42_77:
	v_mov_b32_e32 v3, 0
	v_lshlrev_b64 v[2:3], 1, v[2:3]
	v_mov_b32_e32 v0, s9
	v_add_co_u32_e32 v2, vcc, s8, v2
	v_addc_co_u32_e32 v3, vcc, v0, v3, vcc
	v_mov_b32_e32 v0, v18
	global_store_short v[2:3], v4, off
	s_or_b64 exec, exec, s[0:1]
	v_cmp_gt_i32_e32 vcc, s14, v0
	s_and_saveexec_b64 s[0:1], vcc
	s_cbranch_execz .LBB42_66
.LBB42_78:
	v_add_u32_e32 v2, s2, v0
	v_mov_b32_e32 v3, 0
	v_lshlrev_b64 v[2:3], 1, v[2:3]
	v_mov_b32_e32 v4, s9
	v_add_co_u32_e32 v2, vcc, s8, v2
	v_addc_co_u32_e32 v3, vcc, v4, v3, vcc
	v_add_u32_e32 v0, 0x100, v0
	global_store_short v[2:3], v1, off
	s_or_b64 exec, exec, s[0:1]
	v_cmp_gt_i32_e32 vcc, s14, v0
	s_and_saveexec_b64 s[0:1], vcc
	s_cbranch_execz .LBB42_67
.LBB42_79:
	v_add_u32_e32 v2, s2, v0
	v_mov_b32_e32 v3, 0
	v_lshlrev_b64 v[2:3], 1, v[2:3]
	v_mov_b32_e32 v1, s9
	v_add_co_u32_e32 v2, vcc, s8, v2
	v_addc_co_u32_e32 v3, vcc, v1, v3, vcc
	v_add_u32_e32 v0, 0x100, v0
	global_store_short v[2:3], v6, off
	s_or_b64 exec, exec, s[0:1]
	v_cmp_gt_i32_e32 vcc, s14, v0
	s_and_saveexec_b64 s[0:1], vcc
	s_cbranch_execz .LBB42_68
.LBB42_80:
	v_add_u32_e32 v2, s2, v0
	v_mov_b32_e32 v3, 0
	v_lshlrev_b64 v[2:3], 1, v[2:3]
	v_mov_b32_e32 v1, s9
	v_add_co_u32_e32 v2, vcc, s8, v2
	v_addc_co_u32_e32 v3, vcc, v1, v3, vcc
	v_add_u32_e32 v0, 0x100, v0
	global_store_short v[2:3], v5, off
	s_or_b64 exec, exec, s[0:1]
	v_cmp_gt_i32_e32 vcc, s14, v0
	s_and_saveexec_b64 s[0:1], vcc
	s_cbranch_execz .LBB42_69
.LBB42_81:
	v_add_u32_e32 v2, s2, v0
	v_mov_b32_e32 v3, 0
	v_lshlrev_b64 v[2:3], 1, v[2:3]
	v_mov_b32_e32 v1, s9
	v_add_co_u32_e32 v2, vcc, s8, v2
	v_addc_co_u32_e32 v3, vcc, v1, v3, vcc
	v_add_u32_e32 v0, 0x100, v0
	global_store_short v[2:3], v8, off
	s_or_b64 exec, exec, s[0:1]
	v_cmp_gt_i32_e32 vcc, s14, v0
	s_and_saveexec_b64 s[0:1], vcc
	s_cbranch_execz .LBB42_70
.LBB42_82:
	v_add_u32_e32 v2, s2, v0
	v_mov_b32_e32 v3, 0
	v_lshlrev_b64 v[2:3], 1, v[2:3]
	v_mov_b32_e32 v1, s9
	v_add_co_u32_e32 v2, vcc, s8, v2
	v_addc_co_u32_e32 v3, vcc, v1, v3, vcc
	v_add_u32_e32 v0, 0x100, v0
	global_store_short v[2:3], v7, off
	s_or_b64 exec, exec, s[0:1]
	v_cmp_gt_i32_e32 vcc, s14, v0
	s_and_saveexec_b64 s[0:1], vcc
	s_cbranch_execz .LBB42_71
.LBB42_83:
	v_add_u32_e32 v2, s2, v0
	v_mov_b32_e32 v3, 0
	v_lshlrev_b64 v[2:3], 1, v[2:3]
	v_mov_b32_e32 v1, s9
	v_add_co_u32_e32 v2, vcc, s8, v2
	v_addc_co_u32_e32 v3, vcc, v1, v3, vcc
	v_add_u32_e32 v0, 0x100, v0
	global_store_short v[2:3], v10, off
	s_or_b64 exec, exec, s[0:1]
	v_cmp_gt_i32_e32 vcc, s14, v0
	s_and_saveexec_b64 s[0:1], vcc
	s_cbranch_execnz .LBB42_72
	s_branch .LBB42_73
	.section	.rodata,"a",@progbits
	.p2align	6, 0x0
	.amdhsa_kernel _ZN2at6native29vectorized_elementwise_kernelILi8EZZZNS0_12prelu_kernelERNS_14TensorIteratorEENKUlvE_clEvENKUlvE1_clEvEUlN3c108BFloat16ES7_E_St5arrayIPcLm3EEEEviT0_T1_
		.amdhsa_group_segment_fixed_size 0
		.amdhsa_private_segment_fixed_size 0
		.amdhsa_kernarg_size 32
		.amdhsa_user_sgpr_count 6
		.amdhsa_user_sgpr_private_segment_buffer 1
		.amdhsa_user_sgpr_dispatch_ptr 0
		.amdhsa_user_sgpr_queue_ptr 0
		.amdhsa_user_sgpr_kernarg_segment_ptr 1
		.amdhsa_user_sgpr_dispatch_id 0
		.amdhsa_user_sgpr_flat_scratch_init 0
		.amdhsa_user_sgpr_kernarg_preload_length 0
		.amdhsa_user_sgpr_kernarg_preload_offset 0
		.amdhsa_user_sgpr_private_segment_size 0
		.amdhsa_uses_dynamic_stack 0
		.amdhsa_system_sgpr_private_segment_wavefront_offset 0
		.amdhsa_system_sgpr_workgroup_id_x 1
		.amdhsa_system_sgpr_workgroup_id_y 0
		.amdhsa_system_sgpr_workgroup_id_z 0
		.amdhsa_system_sgpr_workgroup_info 0
		.amdhsa_system_vgpr_workitem_id 0
		.amdhsa_next_free_vgpr 24
		.amdhsa_next_free_sgpr 15
		.amdhsa_accum_offset 24
		.amdhsa_reserve_vcc 1
		.amdhsa_reserve_flat_scratch 0
		.amdhsa_float_round_mode_32 0
		.amdhsa_float_round_mode_16_64 0
		.amdhsa_float_denorm_mode_32 3
		.amdhsa_float_denorm_mode_16_64 3
		.amdhsa_dx10_clamp 1
		.amdhsa_ieee_mode 1
		.amdhsa_fp16_overflow 0
		.amdhsa_tg_split 0
		.amdhsa_exception_fp_ieee_invalid_op 0
		.amdhsa_exception_fp_denorm_src 0
		.amdhsa_exception_fp_ieee_div_zero 0
		.amdhsa_exception_fp_ieee_overflow 0
		.amdhsa_exception_fp_ieee_underflow 0
		.amdhsa_exception_fp_ieee_inexact 0
		.amdhsa_exception_int_div_zero 0
	.end_amdhsa_kernel
	.section	.text._ZN2at6native29vectorized_elementwise_kernelILi8EZZZNS0_12prelu_kernelERNS_14TensorIteratorEENKUlvE_clEvENKUlvE1_clEvEUlN3c108BFloat16ES7_E_St5arrayIPcLm3EEEEviT0_T1_,"axG",@progbits,_ZN2at6native29vectorized_elementwise_kernelILi8EZZZNS0_12prelu_kernelERNS_14TensorIteratorEENKUlvE_clEvENKUlvE1_clEvEUlN3c108BFloat16ES7_E_St5arrayIPcLm3EEEEviT0_T1_,comdat
.Lfunc_end42:
	.size	_ZN2at6native29vectorized_elementwise_kernelILi8EZZZNS0_12prelu_kernelERNS_14TensorIteratorEENKUlvE_clEvENKUlvE1_clEvEUlN3c108BFloat16ES7_E_St5arrayIPcLm3EEEEviT0_T1_, .Lfunc_end42-_ZN2at6native29vectorized_elementwise_kernelILi8EZZZNS0_12prelu_kernelERNS_14TensorIteratorEENKUlvE_clEvENKUlvE1_clEvEUlN3c108BFloat16ES7_E_St5arrayIPcLm3EEEEviT0_T1_
                                        ; -- End function
	.section	.AMDGPU.csdata,"",@progbits
; Kernel info:
; codeLenInByte = 3088
; NumSgprs: 19
; NumVgprs: 24
; NumAgprs: 0
; TotalNumVgprs: 24
; ScratchSize: 0
; MemoryBound: 0
; FloatMode: 240
; IeeeMode: 1
; LDSByteSize: 0 bytes/workgroup (compile time only)
; SGPRBlocks: 2
; VGPRBlocks: 2
; NumSGPRsForWavesPerEU: 19
; NumVGPRsForWavesPerEU: 24
; AccumOffset: 24
; Occupancy: 8
; WaveLimiterHint : 0
; COMPUTE_PGM_RSRC2:SCRATCH_EN: 0
; COMPUTE_PGM_RSRC2:USER_SGPR: 6
; COMPUTE_PGM_RSRC2:TRAP_HANDLER: 0
; COMPUTE_PGM_RSRC2:TGID_X_EN: 1
; COMPUTE_PGM_RSRC2:TGID_Y_EN: 0
; COMPUTE_PGM_RSRC2:TGID_Z_EN: 0
; COMPUTE_PGM_RSRC2:TIDIG_COMP_CNT: 0
; COMPUTE_PGM_RSRC3_GFX90A:ACCUM_OFFSET: 5
; COMPUTE_PGM_RSRC3_GFX90A:TG_SPLIT: 0
	.section	.text._ZN2at6native29vectorized_elementwise_kernelILi4EZZZNS0_12prelu_kernelERNS_14TensorIteratorEENKUlvE_clEvENKUlvE1_clEvEUlN3c108BFloat16ES7_E_St5arrayIPcLm3EEEEviT0_T1_,"axG",@progbits,_ZN2at6native29vectorized_elementwise_kernelILi4EZZZNS0_12prelu_kernelERNS_14TensorIteratorEENKUlvE_clEvENKUlvE1_clEvEUlN3c108BFloat16ES7_E_St5arrayIPcLm3EEEEviT0_T1_,comdat
	.globl	_ZN2at6native29vectorized_elementwise_kernelILi4EZZZNS0_12prelu_kernelERNS_14TensorIteratorEENKUlvE_clEvENKUlvE1_clEvEUlN3c108BFloat16ES7_E_St5arrayIPcLm3EEEEviT0_T1_ ; -- Begin function _ZN2at6native29vectorized_elementwise_kernelILi4EZZZNS0_12prelu_kernelERNS_14TensorIteratorEENKUlvE_clEvENKUlvE1_clEvEUlN3c108BFloat16ES7_E_St5arrayIPcLm3EEEEviT0_T1_
	.p2align	8
	.type	_ZN2at6native29vectorized_elementwise_kernelILi4EZZZNS0_12prelu_kernelERNS_14TensorIteratorEENKUlvE_clEvENKUlvE1_clEvEUlN3c108BFloat16ES7_E_St5arrayIPcLm3EEEEviT0_T1_,@function
_ZN2at6native29vectorized_elementwise_kernelILi4EZZZNS0_12prelu_kernelERNS_14TensorIteratorEENKUlvE_clEvENKUlvE1_clEvEUlN3c108BFloat16ES7_E_St5arrayIPcLm3EEEEviT0_T1_: ; @_ZN2at6native29vectorized_elementwise_kernelILi4EZZZNS0_12prelu_kernelERNS_14TensorIteratorEENKUlvE_clEvENKUlvE1_clEvEUlN3c108BFloat16ES7_E_St5arrayIPcLm3EEEEviT0_T1_
; %bb.0:
	s_load_dword s0, s[4:5], 0x0
	s_load_dwordx4 s[8:11], s[4:5], 0x8
	s_load_dwordx2 s[12:13], s[4:5], 0x18
	s_lshl_b32 s2, s6, 11
	s_waitcnt lgkmcnt(0)
	s_sub_i32 s14, s0, s2
	s_cmpk_gt_i32 s14, 0x7ff
	s_mov_b64 s[0:1], -1
	s_cbranch_scc0 .LBB43_18
; %bb.1:
	s_ashr_i32 s3, s2, 31
	s_lshl_b64 s[0:1], s[2:3], 1
	s_add_u32 s4, s10, s0
	s_addc_u32 s5, s11, s1
	v_lshlrev_b32_e32 v1, 3, v0
	s_add_u32 s6, s12, s0
	s_addc_u32 s7, s13, s1
	global_load_dwordx2 v[14:15], v1, s[4:5]
	global_load_dwordx2 v[6:7], v1, s[4:5] offset:2048
	global_load_dwordx2 v[12:13], v1, s[6:7]
	global_load_dwordx2 v[4:5], v1, s[6:7] offset:2048
	s_waitcnt vmcnt(3)
	v_lshlrev_b32_e32 v8, 16, v14
	v_cmp_nlt_f32_e32 vcc, 0, v8
	v_pk_mov_b32 v[2:3], v[14:15], v[14:15] op_sel:[0,1]
	s_and_saveexec_b64 s[4:5], vcc
	s_cbranch_execz .LBB43_3
; %bb.2:
	s_waitcnt vmcnt(1)
	v_lshlrev_b32_e32 v2, 16, v12
	v_mul_f32_e32 v2, v8, v2
	v_bfe_u32 v3, v2, 16, 1
	s_movk_i32 s3, 0x7fff
	v_add3_u32 v3, v2, v3, s3
	v_lshrrev_b32_e32 v3, 16, v3
	v_mov_b32_e32 v8, 0x7fc0
	v_cmp_o_f32_e32 vcc, v2, v2
	v_cndmask_b32_e32 v2, v8, v3, vcc
.LBB43_3:
	s_or_b64 exec, exec, s[4:5]
	v_and_b32_e32 v3, 0xffff0000, v14
	v_lshrrev_b32_e32 v8, 16, v14
	v_cmp_nlt_f32_e32 vcc, 0, v3
	s_and_saveexec_b64 s[4:5], vcc
	s_cbranch_execz .LBB43_5
; %bb.4:
	s_waitcnt vmcnt(1)
	v_and_b32_e32 v8, 0xffff0000, v12
	v_mul_f32_e32 v3, v3, v8
	v_bfe_u32 v8, v3, 16, 1
	s_movk_i32 s3, 0x7fff
	v_add3_u32 v8, v3, v8, s3
	v_lshrrev_b32_e32 v8, 16, v8
	v_mov_b32_e32 v9, 0x7fc0
	v_cmp_o_f32_e32 vcc, v3, v3
	v_cndmask_b32_e32 v8, v9, v8, vcc
.LBB43_5:
	s_or_b64 exec, exec, s[4:5]
	v_mov_b32_e32 v14, v15
	v_lshlrev_b32_e32 v3, 16, v15
	v_cmp_nlt_f32_e32 vcc, 0, v3
	v_pk_mov_b32 v[10:11], v[14:15], v[14:15] op_sel:[0,1]
	s_and_saveexec_b64 s[4:5], vcc
	s_cbranch_execz .LBB43_7
; %bb.6:
	s_waitcnt vmcnt(1)
	v_lshlrev_b32_e32 v9, 16, v13
	v_mul_f32_e32 v3, v3, v9
	v_bfe_u32 v9, v3, 16, 1
	s_movk_i32 s3, 0x7fff
	v_add3_u32 v9, v3, v9, s3
	v_lshrrev_b32_e32 v9, 16, v9
	v_mov_b32_e32 v10, 0x7fc0
	v_cmp_o_f32_e32 vcc, v3, v3
	v_cndmask_b32_e32 v10, v10, v9, vcc
.LBB43_7:
	s_or_b64 exec, exec, s[4:5]
	v_and_b32_e32 v3, 0xffff0000, v14
	s_waitcnt vmcnt(1)
	v_lshrrev_b32_e32 v12, 16, v15
	v_cmp_nlt_f32_e32 vcc, 0, v3
	s_and_saveexec_b64 s[4:5], vcc
; %bb.8:
	v_and_b32_e32 v9, 0xffff0000, v13
	v_mul_f32_e32 v3, v3, v9
	v_bfe_u32 v9, v3, 16, 1
	s_movk_i32 s3, 0x7fff
	v_add3_u32 v9, v3, v9, s3
	v_lshrrev_b32_e32 v9, 16, v9
	v_mov_b32_e32 v11, 0x7fc0
	v_cmp_o_f32_e32 vcc, v3, v3
	v_cndmask_b32_e32 v12, v11, v9, vcc
; %bb.9:
	s_or_b64 exec, exec, s[4:5]
	v_lshlrev_b32_e32 v3, 16, v6
	v_cmp_nlt_f32_e32 vcc, 0, v3
	v_pk_mov_b32 v[14:15], v[6:7], v[6:7] op_sel:[0,1]
	s_and_saveexec_b64 s[4:5], vcc
	s_cbranch_execz .LBB43_11
; %bb.10:
	s_waitcnt vmcnt(0)
	v_lshlrev_b32_e32 v9, 16, v4
	v_mul_f32_e32 v3, v3, v9
	v_bfe_u32 v9, v3, 16, 1
	s_movk_i32 s3, 0x7fff
	v_add3_u32 v9, v3, v9, s3
	v_lshrrev_b32_e32 v9, 16, v9
	v_mov_b32_e32 v11, 0x7fc0
	v_cmp_o_f32_e32 vcc, v3, v3
	v_cndmask_b32_e32 v14, v11, v9, vcc
.LBB43_11:
	s_or_b64 exec, exec, s[4:5]
	v_and_b32_e32 v3, 0xffff0000, v6
	v_lshrrev_b32_e32 v16, 16, v6
	v_cmp_nlt_f32_e32 vcc, 0, v3
	s_and_saveexec_b64 s[4:5], vcc
	s_cbranch_execz .LBB43_13
; %bb.12:
	s_waitcnt vmcnt(0)
	v_and_b32_e32 v4, 0xffff0000, v4
	v_mul_f32_e32 v3, v3, v4
	v_bfe_u32 v4, v3, 16, 1
	s_movk_i32 s3, 0x7fff
	v_add3_u32 v4, v3, v4, s3
	v_lshrrev_b32_e32 v4, 16, v4
	v_mov_b32_e32 v6, 0x7fc0
	v_cmp_o_f32_e32 vcc, v3, v3
	v_cndmask_b32_e32 v16, v6, v4, vcc
.LBB43_13:
	s_or_b64 exec, exec, s[4:5]
	v_mov_b32_e32 v6, v7
	v_lshlrev_b32_e32 v3, 16, v7
	v_cmp_nlt_f32_e32 vcc, 0, v3
	v_pk_mov_b32 v[18:19], v[6:7], v[6:7] op_sel:[0,1]
	s_and_saveexec_b64 s[4:5], vcc
	s_cbranch_execz .LBB43_15
; %bb.14:
	s_waitcnt vmcnt(0)
	v_lshlrev_b32_e32 v4, 16, v5
	v_mul_f32_e32 v3, v3, v4
	v_bfe_u32 v4, v3, 16, 1
	s_movk_i32 s3, 0x7fff
	v_add3_u32 v4, v3, v4, s3
	v_lshrrev_b32_e32 v4, 16, v4
	v_mov_b32_e32 v9, 0x7fc0
	v_cmp_o_f32_e32 vcc, v3, v3
	v_cndmask_b32_e32 v18, v9, v4, vcc
.LBB43_15:
	s_or_b64 exec, exec, s[4:5]
	v_and_b32_e32 v3, 0xffff0000, v6
	s_waitcnt vmcnt(0)
	v_lshrrev_b32_e32 v4, 16, v7
	v_cmp_nlt_f32_e32 vcc, 0, v3
	s_and_saveexec_b64 s[4:5], vcc
; %bb.16:
	v_and_b32_e32 v4, 0xffff0000, v5
	v_mul_f32_e32 v3, v3, v4
	v_bfe_u32 v4, v3, 16, 1
	s_movk_i32 s3, 0x7fff
	v_add3_u32 v4, v3, v4, s3
	v_lshrrev_b32_e32 v4, 16, v4
	v_mov_b32_e32 v5, 0x7fc0
	v_cmp_o_f32_e32 vcc, v3, v3
	v_cndmask_b32_e32 v4, v5, v4, vcc
; %bb.17:
	s_or_b64 exec, exec, s[4:5]
	s_mov_b32 s3, 0xffff
	v_lshlrev_b32_e32 v6, 16, v8
	s_add_u32 s0, s8, s0
	v_lshlrev_b32_e32 v3, 16, v12
	v_and_b32_e32 v5, 0xffff, v10
	v_and_or_b32 v2, v2, s3, v6
	s_addc_u32 s1, s9, s1
	v_or3_b32 v3, 0, v5, v3
	v_or3_b32 v2, v2, 0, 0
	global_store_dwordx2 v1, v[2:3], s[0:1]
	v_lshlrev_b32_e32 v2, 16, v4
	v_lshlrev_b32_e32 v4, 16, v16
	v_and_b32_e32 v3, 0xffff, v18
	v_and_or_b32 v4, v14, s3, v4
	v_or3_b32 v3, 0, v3, v2
	v_or3_b32 v2, v4, 0, 0
	global_store_dwordx2 v1, v[2:3], s[0:1] offset:2048
	s_mov_b64 s[0:1], 0
.LBB43_18:
	s_and_b64 vcc, exec, s[0:1]
	s_cbranch_vccz .LBB43_73
; %bb.19:
	v_cmp_gt_i32_e32 vcc, s14, v0
	v_mov_b32_e32 v1, 0
	v_or_b32_e32 v2, s2, v0
	v_mov_b32_e32 v4, 0
	v_mov_b32_e32 v3, 0
	;; [unrolled: 1-line block ×3, first 2 shown]
	s_and_saveexec_b64 s[4:5], vcc
	s_cbranch_execz .LBB43_21
; %bb.20:
	v_mov_b32_e32 v3, 0
	v_lshlrev_b64 v[4:5], 1, v[2:3]
	v_mov_b32_e32 v3, s13
	v_add_co_u32_e64 v6, s[0:1], s12, v4
	v_addc_co_u32_e64 v7, s[0:1], v3, v5, s[0:1]
	v_mov_b32_e32 v3, s11
	v_add_co_u32_e64 v8, s[0:1], s10, v4
	v_addc_co_u32_e64 v9, s[0:1], v3, v5, s[0:1]
	global_load_ushort v4, v[8:9], off
	global_load_ushort v3, v[6:7], off
	v_or_b32_e32 v18, 0x100, v0
.LBB43_21:
	s_or_b64 exec, exec, s[4:5]
	v_cmp_gt_i32_e64 s[0:1], s14, v18
	v_mov_b32_e32 v11, 0
	s_and_saveexec_b64 s[4:5], s[0:1]
	s_cbranch_execz .LBB43_23
; %bb.22:
	v_add_u32_e32 v6, s2, v18
	v_mov_b32_e32 v7, 0
	v_lshlrev_b64 v[6:7], 1, v[6:7]
	v_mov_b32_e32 v1, s13
	v_add_co_u32_e64 v8, s[0:1], s12, v6
	v_addc_co_u32_e64 v9, s[0:1], v1, v7, s[0:1]
	v_mov_b32_e32 v1, s11
	v_add_co_u32_e64 v6, s[0:1], s10, v6
	v_addc_co_u32_e64 v7, s[0:1], v1, v7, s[0:1]
	global_load_ushort v1, v[6:7], off
	global_load_ushort v11, v[8:9], off
	v_add_u32_e32 v18, 0x100, v18
.LBB43_23:
	s_or_b64 exec, exec, s[4:5]
	v_cmp_gt_i32_e64 s[0:1], s14, v18
	v_mov_b32_e32 v5, 0
	v_mov_b32_e32 v6, 0
	v_mov_b32_e32 v12, 0
	s_and_saveexec_b64 s[4:5], s[0:1]
	s_cbranch_execz .LBB43_25
; %bb.24:
	v_add_u32_e32 v6, s2, v18
	v_mov_b32_e32 v7, 0
	v_lshlrev_b64 v[6:7], 1, v[6:7]
	v_mov_b32_e32 v9, s13
	v_add_co_u32_e64 v8, s[0:1], s12, v6
	v_addc_co_u32_e64 v9, s[0:1], v9, v7, s[0:1]
	v_mov_b32_e32 v10, s11
	v_add_co_u32_e64 v14, s[0:1], s10, v6
	v_addc_co_u32_e64 v15, s[0:1], v10, v7, s[0:1]
	global_load_ushort v6, v[14:15], off
	global_load_ushort v12, v[8:9], off
	v_add_u32_e32 v18, 0x100, v18
.LBB43_25:
	s_or_b64 exec, exec, s[4:5]
	v_cmp_gt_i32_e64 s[0:1], s14, v18
	v_mov_b32_e32 v13, 0
	s_and_saveexec_b64 s[4:5], s[0:1]
	s_cbranch_execz .LBB43_27
; %bb.26:
	v_add_u32_e32 v8, s2, v18
	v_mov_b32_e32 v9, 0
	v_lshlrev_b64 v[8:9], 1, v[8:9]
	v_mov_b32_e32 v5, s13
	v_add_co_u32_e64 v14, s[0:1], s12, v8
	v_addc_co_u32_e64 v15, s[0:1], v5, v9, s[0:1]
	v_mov_b32_e32 v5, s11
	v_add_co_u32_e64 v8, s[0:1], s10, v8
	v_addc_co_u32_e64 v9, s[0:1], v5, v9, s[0:1]
	global_load_ushort v5, v[8:9], off
	global_load_ushort v13, v[14:15], off
	v_add_u32_e32 v18, 0x100, v18
.LBB43_27:
	s_or_b64 exec, exec, s[4:5]
	v_cmp_gt_i32_e64 s[0:1], s14, v18
	v_mov_b32_e32 v7, 0
	v_mov_b32_e32 v8, 0
	v_mov_b32_e32 v14, 0
	s_and_saveexec_b64 s[4:5], s[0:1]
	s_cbranch_execz .LBB43_29
; %bb.28:
	v_add_u32_e32 v8, s2, v18
	v_mov_b32_e32 v9, 0
	v_lshlrev_b64 v[8:9], 1, v[8:9]
	v_mov_b32_e32 v10, s13
	v_add_co_u32_e64 v16, s[0:1], s12, v8
	v_addc_co_u32_e64 v17, s[0:1], v10, v9, s[0:1]
	v_mov_b32_e32 v10, s11
	v_add_co_u32_e64 v20, s[0:1], s10, v8
	v_addc_co_u32_e64 v21, s[0:1], v10, v9, s[0:1]
	global_load_ushort v8, v[20:21], off
	global_load_ushort v14, v[16:17], off
	v_add_u32_e32 v18, 0x100, v18
.LBB43_29:
	s_or_b64 exec, exec, s[4:5]
	v_cmp_gt_i32_e64 s[0:1], s14, v18
	v_mov_b32_e32 v15, 0
	s_and_saveexec_b64 s[4:5], s[0:1]
	s_cbranch_execz .LBB43_31
; %bb.30:
	v_add_u32_e32 v16, s2, v18
	v_mov_b32_e32 v17, 0
	v_lshlrev_b64 v[16:17], 1, v[16:17]
	v_mov_b32_e32 v7, s13
	v_add_co_u32_e64 v20, s[0:1], s12, v16
	v_addc_co_u32_e64 v21, s[0:1], v7, v17, s[0:1]
	v_mov_b32_e32 v7, s11
	v_add_co_u32_e64 v16, s[0:1], s10, v16
	v_addc_co_u32_e64 v17, s[0:1], v7, v17, s[0:1]
	global_load_ushort v7, v[16:17], off
	global_load_ushort v15, v[20:21], off
	v_add_u32_e32 v18, 0x100, v18
.LBB43_31:
	s_or_b64 exec, exec, s[4:5]
	v_cmp_gt_i32_e64 s[0:1], s14, v18
	v_mov_b32_e32 v9, 0
	v_mov_b32_e32 v10, 0
	v_mov_b32_e32 v16, 0
	s_and_saveexec_b64 s[4:5], s[0:1]
	s_cbranch_execz .LBB43_33
; %bb.32:
	v_add_u32_e32 v16, s2, v18
	v_mov_b32_e32 v17, 0
	v_lshlrev_b64 v[16:17], 1, v[16:17]
	v_mov_b32_e32 v10, s13
	v_add_co_u32_e64 v20, s[0:1], s12, v16
	v_addc_co_u32_e64 v21, s[0:1], v10, v17, s[0:1]
	v_mov_b32_e32 v10, s11
	v_add_co_u32_e64 v22, s[0:1], s10, v16
	v_addc_co_u32_e64 v23, s[0:1], v10, v17, s[0:1]
	global_load_ushort v10, v[22:23], off
	global_load_ushort v16, v[20:21], off
	v_add_u32_e32 v18, 0x100, v18
.LBB43_33:
	s_or_b64 exec, exec, s[4:5]
	v_cmp_gt_i32_e64 s[0:1], s14, v18
	v_mov_b32_e32 v17, 0
	s_and_saveexec_b64 s[4:5], s[0:1]
	s_cbranch_execz .LBB43_35
; %bb.34:
	v_add_u32_e32 v18, s2, v18
	v_mov_b32_e32 v19, 0
	v_lshlrev_b64 v[18:19], 1, v[18:19]
	v_mov_b32_e32 v9, s13
	v_add_co_u32_e64 v20, s[0:1], s12, v18
	v_addc_co_u32_e64 v21, s[0:1], v9, v19, s[0:1]
	v_mov_b32_e32 v9, s11
	v_add_co_u32_e64 v18, s[0:1], s10, v18
	v_addc_co_u32_e64 v19, s[0:1], v9, v19, s[0:1]
	global_load_ushort v9, v[18:19], off
	global_load_ushort v17, v[20:21], off
.LBB43_35:
	s_or_b64 exec, exec, s[4:5]
	s_and_saveexec_b64 s[4:5], vcc
	s_cbranch_execz .LBB43_39
; %bb.36:
	s_waitcnt vmcnt(1)
	v_lshlrev_b32_e32 v18, 16, v4
	v_cmp_nlt_f32_e64 s[0:1], 0, v18
	s_and_saveexec_b64 s[6:7], s[0:1]
	s_cbranch_execz .LBB43_38
; %bb.37:
	s_waitcnt vmcnt(0)
	v_lshlrev_b32_e32 v3, 16, v3
	v_mul_f32_e32 v3, v18, v3
	v_bfe_u32 v4, v3, 16, 1
	s_movk_i32 s0, 0x7fff
	v_add3_u32 v4, v3, v4, s0
	v_lshrrev_b32_e32 v4, 16, v4
	v_mov_b32_e32 v18, 0x7fc0
	v_cmp_o_f32_e64 s[0:1], v3, v3
	v_cndmask_b32_e64 v4, v18, v4, s[0:1]
.LBB43_38:
	s_or_b64 exec, exec, s[6:7]
.LBB43_39:
	s_or_b64 exec, exec, s[4:5]
	v_or_b32_e32 v18, 0x100, v0
	v_cmp_gt_i32_e64 s[0:1], s14, v18
	s_and_saveexec_b64 s[4:5], s[0:1]
	s_cbranch_execz .LBB43_43
; %bb.40:
	s_waitcnt vmcnt(0)
	v_lshlrev_b32_e32 v3, 16, v1
	v_cmp_nlt_f32_e64 s[0:1], 0, v3
	s_and_saveexec_b64 s[6:7], s[0:1]
; %bb.41:
	v_lshlrev_b32_e32 v1, 16, v11
	v_mul_f32_e32 v1, v3, v1
	v_bfe_u32 v3, v1, 16, 1
	s_movk_i32 s0, 0x7fff
	v_add3_u32 v3, v1, v3, s0
	v_lshrrev_b32_e32 v3, 16, v3
	v_mov_b32_e32 v11, 0x7fc0
	v_cmp_o_f32_e64 s[0:1], v1, v1
	v_cndmask_b32_e64 v1, v11, v3, s[0:1]
; %bb.42:
	s_or_b64 exec, exec, s[6:7]
.LBB43_43:
	s_or_b64 exec, exec, s[4:5]
	s_waitcnt vmcnt(0)
	v_or_b32_e32 v3, 0x200, v0
	v_cmp_gt_i32_e64 s[0:1], s14, v3
	s_and_saveexec_b64 s[4:5], s[0:1]
	s_cbranch_execz .LBB43_47
; %bb.44:
	v_lshlrev_b32_e32 v3, 16, v6
	v_cmp_nlt_f32_e64 s[0:1], 0, v3
	s_and_saveexec_b64 s[6:7], s[0:1]
; %bb.45:
	v_lshlrev_b32_e32 v6, 16, v12
	v_mul_f32_e32 v3, v3, v6
	v_bfe_u32 v6, v3, 16, 1
	s_movk_i32 s0, 0x7fff
	v_add3_u32 v6, v3, v6, s0
	v_lshrrev_b32_e32 v6, 16, v6
	v_mov_b32_e32 v11, 0x7fc0
	v_cmp_o_f32_e64 s[0:1], v3, v3
	v_cndmask_b32_e64 v6, v11, v6, s[0:1]
; %bb.46:
	s_or_b64 exec, exec, s[6:7]
.LBB43_47:
	s_or_b64 exec, exec, s[4:5]
	v_or_b32_e32 v3, 0x300, v0
	v_cmp_gt_i32_e64 s[0:1], s14, v3
	s_and_saveexec_b64 s[4:5], s[0:1]
	s_cbranch_execz .LBB43_51
; %bb.48:
	v_lshlrev_b32_e32 v3, 16, v5
	v_cmp_nlt_f32_e64 s[0:1], 0, v3
	s_and_saveexec_b64 s[6:7], s[0:1]
; %bb.49:
	v_lshlrev_b32_e32 v5, 16, v13
	v_mul_f32_e32 v3, v3, v5
	v_bfe_u32 v5, v3, 16, 1
	s_movk_i32 s0, 0x7fff
	v_add3_u32 v5, v3, v5, s0
	v_lshrrev_b32_e32 v5, 16, v5
	v_mov_b32_e32 v11, 0x7fc0
	v_cmp_o_f32_e64 s[0:1], v3, v3
	v_cndmask_b32_e64 v5, v11, v5, s[0:1]
; %bb.50:
	s_or_b64 exec, exec, s[6:7]
.LBB43_51:
	s_or_b64 exec, exec, s[4:5]
	;; [unrolled: 22-line block ×5, first 2 shown]
	v_or_b32_e32 v3, 0x700, v0
	v_cmp_gt_i32_e64 s[0:1], s14, v3
	s_and_saveexec_b64 s[4:5], s[0:1]
	s_cbranch_execnz .LBB43_74
; %bb.64:
	s_or_b64 exec, exec, s[4:5]
	s_and_saveexec_b64 s[0:1], vcc
	s_xor_b64 s[0:1], exec, s[0:1]
	s_cbranch_execnz .LBB43_77
.LBB43_65:
	s_or_b64 exec, exec, s[0:1]
	v_cmp_gt_i32_e32 vcc, s14, v0
	s_and_saveexec_b64 s[0:1], vcc
	s_cbranch_execnz .LBB43_78
.LBB43_66:
	s_or_b64 exec, exec, s[0:1]
	v_cmp_gt_i32_e32 vcc, s14, v0
	s_and_saveexec_b64 s[0:1], vcc
	s_cbranch_execnz .LBB43_79
.LBB43_67:
	s_or_b64 exec, exec, s[0:1]
	v_cmp_gt_i32_e32 vcc, s14, v0
	s_and_saveexec_b64 s[0:1], vcc
	s_cbranch_execnz .LBB43_80
.LBB43_68:
	s_or_b64 exec, exec, s[0:1]
	v_cmp_gt_i32_e32 vcc, s14, v0
	s_and_saveexec_b64 s[0:1], vcc
	s_cbranch_execnz .LBB43_81
.LBB43_69:
	s_or_b64 exec, exec, s[0:1]
	v_cmp_gt_i32_e32 vcc, s14, v0
	s_and_saveexec_b64 s[0:1], vcc
	s_cbranch_execnz .LBB43_82
.LBB43_70:
	s_or_b64 exec, exec, s[0:1]
	v_cmp_gt_i32_e32 vcc, s14, v0
	s_and_saveexec_b64 s[0:1], vcc
	s_cbranch_execnz .LBB43_83
.LBB43_71:
	s_or_b64 exec, exec, s[0:1]
	v_cmp_gt_i32_e32 vcc, s14, v0
	s_and_saveexec_b64 s[0:1], vcc
	s_cbranch_execz .LBB43_73
.LBB43_72:
	v_add_u32_e32 v0, s2, v0
	v_mov_b32_e32 v1, 0
	v_lshlrev_b64 v[0:1], 1, v[0:1]
	v_mov_b32_e32 v2, s9
	v_add_co_u32_e32 v0, vcc, s8, v0
	v_addc_co_u32_e32 v1, vcc, v2, v1, vcc
	global_store_short v[0:1], v9, off
.LBB43_73:
	s_endpgm
.LBB43_74:
	v_lshlrev_b32_e32 v3, 16, v9
	v_cmp_nlt_f32_e64 s[0:1], 0, v3
	s_and_saveexec_b64 s[6:7], s[0:1]
; %bb.75:
	v_lshlrev_b32_e32 v9, 16, v17
	v_mul_f32_e32 v3, v3, v9
	v_bfe_u32 v9, v3, 16, 1
	s_movk_i32 s0, 0x7fff
	v_add3_u32 v9, v3, v9, s0
	v_lshrrev_b32_e32 v9, 16, v9
	v_mov_b32_e32 v11, 0x7fc0
	v_cmp_o_f32_e64 s[0:1], v3, v3
	v_cndmask_b32_e64 v9, v11, v9, s[0:1]
; %bb.76:
	s_or_b64 exec, exec, s[6:7]
	s_or_b64 exec, exec, s[4:5]
	s_and_saveexec_b64 s[0:1], vcc
	s_xor_b64 s[0:1], exec, s[0:1]
	s_cbranch_execz .LBB43_65
.LBB43_77:
	v_mov_b32_e32 v3, 0
	v_lshlrev_b64 v[2:3], 1, v[2:3]
	v_mov_b32_e32 v0, s9
	v_add_co_u32_e32 v2, vcc, s8, v2
	v_addc_co_u32_e32 v3, vcc, v0, v3, vcc
	v_mov_b32_e32 v0, v18
	global_store_short v[2:3], v4, off
	s_or_b64 exec, exec, s[0:1]
	v_cmp_gt_i32_e32 vcc, s14, v0
	s_and_saveexec_b64 s[0:1], vcc
	s_cbranch_execz .LBB43_66
.LBB43_78:
	v_add_u32_e32 v2, s2, v0
	v_mov_b32_e32 v3, 0
	v_lshlrev_b64 v[2:3], 1, v[2:3]
	v_mov_b32_e32 v4, s9
	v_add_co_u32_e32 v2, vcc, s8, v2
	v_addc_co_u32_e32 v3, vcc, v4, v3, vcc
	v_add_u32_e32 v0, 0x100, v0
	global_store_short v[2:3], v1, off
	s_or_b64 exec, exec, s[0:1]
	v_cmp_gt_i32_e32 vcc, s14, v0
	s_and_saveexec_b64 s[0:1], vcc
	s_cbranch_execz .LBB43_67
.LBB43_79:
	v_add_u32_e32 v2, s2, v0
	v_mov_b32_e32 v3, 0
	v_lshlrev_b64 v[2:3], 1, v[2:3]
	v_mov_b32_e32 v1, s9
	v_add_co_u32_e32 v2, vcc, s8, v2
	v_addc_co_u32_e32 v3, vcc, v1, v3, vcc
	v_add_u32_e32 v0, 0x100, v0
	global_store_short v[2:3], v6, off
	s_or_b64 exec, exec, s[0:1]
	v_cmp_gt_i32_e32 vcc, s14, v0
	s_and_saveexec_b64 s[0:1], vcc
	s_cbranch_execz .LBB43_68
.LBB43_80:
	v_add_u32_e32 v2, s2, v0
	v_mov_b32_e32 v3, 0
	v_lshlrev_b64 v[2:3], 1, v[2:3]
	v_mov_b32_e32 v1, s9
	v_add_co_u32_e32 v2, vcc, s8, v2
	v_addc_co_u32_e32 v3, vcc, v1, v3, vcc
	v_add_u32_e32 v0, 0x100, v0
	global_store_short v[2:3], v5, off
	s_or_b64 exec, exec, s[0:1]
	v_cmp_gt_i32_e32 vcc, s14, v0
	s_and_saveexec_b64 s[0:1], vcc
	s_cbranch_execz .LBB43_69
.LBB43_81:
	v_add_u32_e32 v2, s2, v0
	v_mov_b32_e32 v3, 0
	v_lshlrev_b64 v[2:3], 1, v[2:3]
	v_mov_b32_e32 v1, s9
	v_add_co_u32_e32 v2, vcc, s8, v2
	v_addc_co_u32_e32 v3, vcc, v1, v3, vcc
	v_add_u32_e32 v0, 0x100, v0
	global_store_short v[2:3], v8, off
	s_or_b64 exec, exec, s[0:1]
	v_cmp_gt_i32_e32 vcc, s14, v0
	s_and_saveexec_b64 s[0:1], vcc
	s_cbranch_execz .LBB43_70
.LBB43_82:
	v_add_u32_e32 v2, s2, v0
	v_mov_b32_e32 v3, 0
	v_lshlrev_b64 v[2:3], 1, v[2:3]
	v_mov_b32_e32 v1, s9
	v_add_co_u32_e32 v2, vcc, s8, v2
	v_addc_co_u32_e32 v3, vcc, v1, v3, vcc
	v_add_u32_e32 v0, 0x100, v0
	global_store_short v[2:3], v7, off
	s_or_b64 exec, exec, s[0:1]
	v_cmp_gt_i32_e32 vcc, s14, v0
	s_and_saveexec_b64 s[0:1], vcc
	s_cbranch_execz .LBB43_71
.LBB43_83:
	v_add_u32_e32 v2, s2, v0
	v_mov_b32_e32 v3, 0
	v_lshlrev_b64 v[2:3], 1, v[2:3]
	v_mov_b32_e32 v1, s9
	v_add_co_u32_e32 v2, vcc, s8, v2
	v_addc_co_u32_e32 v3, vcc, v1, v3, vcc
	v_add_u32_e32 v0, 0x100, v0
	global_store_short v[2:3], v10, off
	s_or_b64 exec, exec, s[0:1]
	v_cmp_gt_i32_e32 vcc, s14, v0
	s_and_saveexec_b64 s[0:1], vcc
	s_cbranch_execnz .LBB43_72
	s_branch .LBB43_73
	.section	.rodata,"a",@progbits
	.p2align	6, 0x0
	.amdhsa_kernel _ZN2at6native29vectorized_elementwise_kernelILi4EZZZNS0_12prelu_kernelERNS_14TensorIteratorEENKUlvE_clEvENKUlvE1_clEvEUlN3c108BFloat16ES7_E_St5arrayIPcLm3EEEEviT0_T1_
		.amdhsa_group_segment_fixed_size 0
		.amdhsa_private_segment_fixed_size 0
		.amdhsa_kernarg_size 32
		.amdhsa_user_sgpr_count 6
		.amdhsa_user_sgpr_private_segment_buffer 1
		.amdhsa_user_sgpr_dispatch_ptr 0
		.amdhsa_user_sgpr_queue_ptr 0
		.amdhsa_user_sgpr_kernarg_segment_ptr 1
		.amdhsa_user_sgpr_dispatch_id 0
		.amdhsa_user_sgpr_flat_scratch_init 0
		.amdhsa_user_sgpr_kernarg_preload_length 0
		.amdhsa_user_sgpr_kernarg_preload_offset 0
		.amdhsa_user_sgpr_private_segment_size 0
		.amdhsa_uses_dynamic_stack 0
		.amdhsa_system_sgpr_private_segment_wavefront_offset 0
		.amdhsa_system_sgpr_workgroup_id_x 1
		.amdhsa_system_sgpr_workgroup_id_y 0
		.amdhsa_system_sgpr_workgroup_id_z 0
		.amdhsa_system_sgpr_workgroup_info 0
		.amdhsa_system_vgpr_workitem_id 0
		.amdhsa_next_free_vgpr 24
		.amdhsa_next_free_sgpr 15
		.amdhsa_accum_offset 24
		.amdhsa_reserve_vcc 1
		.amdhsa_reserve_flat_scratch 0
		.amdhsa_float_round_mode_32 0
		.amdhsa_float_round_mode_16_64 0
		.amdhsa_float_denorm_mode_32 3
		.amdhsa_float_denorm_mode_16_64 3
		.amdhsa_dx10_clamp 1
		.amdhsa_ieee_mode 1
		.amdhsa_fp16_overflow 0
		.amdhsa_tg_split 0
		.amdhsa_exception_fp_ieee_invalid_op 0
		.amdhsa_exception_fp_denorm_src 0
		.amdhsa_exception_fp_ieee_div_zero 0
		.amdhsa_exception_fp_ieee_overflow 0
		.amdhsa_exception_fp_ieee_underflow 0
		.amdhsa_exception_fp_ieee_inexact 0
		.amdhsa_exception_int_div_zero 0
	.end_amdhsa_kernel
	.section	.text._ZN2at6native29vectorized_elementwise_kernelILi4EZZZNS0_12prelu_kernelERNS_14TensorIteratorEENKUlvE_clEvENKUlvE1_clEvEUlN3c108BFloat16ES7_E_St5arrayIPcLm3EEEEviT0_T1_,"axG",@progbits,_ZN2at6native29vectorized_elementwise_kernelILi4EZZZNS0_12prelu_kernelERNS_14TensorIteratorEENKUlvE_clEvENKUlvE1_clEvEUlN3c108BFloat16ES7_E_St5arrayIPcLm3EEEEviT0_T1_,comdat
.Lfunc_end43:
	.size	_ZN2at6native29vectorized_elementwise_kernelILi4EZZZNS0_12prelu_kernelERNS_14TensorIteratorEENKUlvE_clEvENKUlvE1_clEvEUlN3c108BFloat16ES7_E_St5arrayIPcLm3EEEEviT0_T1_, .Lfunc_end43-_ZN2at6native29vectorized_elementwise_kernelILi4EZZZNS0_12prelu_kernelERNS_14TensorIteratorEENKUlvE_clEvENKUlvE1_clEvEUlN3c108BFloat16ES7_E_St5arrayIPcLm3EEEEviT0_T1_
                                        ; -- End function
	.section	.AMDGPU.csdata,"",@progbits
; Kernel info:
; codeLenInByte = 3180
; NumSgprs: 19
; NumVgprs: 24
; NumAgprs: 0
; TotalNumVgprs: 24
; ScratchSize: 0
; MemoryBound: 0
; FloatMode: 240
; IeeeMode: 1
; LDSByteSize: 0 bytes/workgroup (compile time only)
; SGPRBlocks: 2
; VGPRBlocks: 2
; NumSGPRsForWavesPerEU: 19
; NumVGPRsForWavesPerEU: 24
; AccumOffset: 24
; Occupancy: 8
; WaveLimiterHint : 1
; COMPUTE_PGM_RSRC2:SCRATCH_EN: 0
; COMPUTE_PGM_RSRC2:USER_SGPR: 6
; COMPUTE_PGM_RSRC2:TRAP_HANDLER: 0
; COMPUTE_PGM_RSRC2:TGID_X_EN: 1
; COMPUTE_PGM_RSRC2:TGID_Y_EN: 0
; COMPUTE_PGM_RSRC2:TGID_Z_EN: 0
; COMPUTE_PGM_RSRC2:TIDIG_COMP_CNT: 0
; COMPUTE_PGM_RSRC3_GFX90A:ACCUM_OFFSET: 5
; COMPUTE_PGM_RSRC3_GFX90A:TG_SPLIT: 0
	.section	.text._ZN2at6native29vectorized_elementwise_kernelILi2EZZZNS0_12prelu_kernelERNS_14TensorIteratorEENKUlvE_clEvENKUlvE1_clEvEUlN3c108BFloat16ES7_E_St5arrayIPcLm3EEEEviT0_T1_,"axG",@progbits,_ZN2at6native29vectorized_elementwise_kernelILi2EZZZNS0_12prelu_kernelERNS_14TensorIteratorEENKUlvE_clEvENKUlvE1_clEvEUlN3c108BFloat16ES7_E_St5arrayIPcLm3EEEEviT0_T1_,comdat
	.globl	_ZN2at6native29vectorized_elementwise_kernelILi2EZZZNS0_12prelu_kernelERNS_14TensorIteratorEENKUlvE_clEvENKUlvE1_clEvEUlN3c108BFloat16ES7_E_St5arrayIPcLm3EEEEviT0_T1_ ; -- Begin function _ZN2at6native29vectorized_elementwise_kernelILi2EZZZNS0_12prelu_kernelERNS_14TensorIteratorEENKUlvE_clEvENKUlvE1_clEvEUlN3c108BFloat16ES7_E_St5arrayIPcLm3EEEEviT0_T1_
	.p2align	8
	.type	_ZN2at6native29vectorized_elementwise_kernelILi2EZZZNS0_12prelu_kernelERNS_14TensorIteratorEENKUlvE_clEvENKUlvE1_clEvEUlN3c108BFloat16ES7_E_St5arrayIPcLm3EEEEviT0_T1_,@function
_ZN2at6native29vectorized_elementwise_kernelILi2EZZZNS0_12prelu_kernelERNS_14TensorIteratorEENKUlvE_clEvENKUlvE1_clEvEUlN3c108BFloat16ES7_E_St5arrayIPcLm3EEEEviT0_T1_: ; @_ZN2at6native29vectorized_elementwise_kernelILi2EZZZNS0_12prelu_kernelERNS_14TensorIteratorEENKUlvE_clEvENKUlvE1_clEvEUlN3c108BFloat16ES7_E_St5arrayIPcLm3EEEEviT0_T1_
; %bb.0:
	s_load_dword s0, s[4:5], 0x0
	s_load_dwordx4 s[8:11], s[4:5], 0x8
	s_load_dwordx2 s[12:13], s[4:5], 0x18
	s_lshl_b32 s2, s6, 11
	s_waitcnt lgkmcnt(0)
	s_sub_i32 s14, s0, s2
	s_cmpk_gt_i32 s14, 0x7ff
	s_mov_b64 s[0:1], -1
	s_cbranch_scc0 .LBB44_18
; %bb.1:
	s_ashr_i32 s3, s2, 31
	s_lshl_b64 s[0:1], s[2:3], 1
	s_add_u32 s4, s10, s0
	s_addc_u32 s5, s11, s1
	v_lshlrev_b32_e32 v1, 2, v0
	s_add_u32 s6, s12, s0
	s_addc_u32 s7, s13, s1
	global_load_dword v5, v1, s[4:5]
	global_load_dword v9, v1, s[4:5] offset:1024
	global_load_dword v8, v1, s[4:5] offset:2048
	global_load_dword v4, v1, s[4:5] offset:3072
	global_load_dword v6, v1, s[6:7]
	global_load_dword v10, v1, s[6:7] offset:1024
	global_load_dword v7, v1, s[6:7] offset:2048
	;; [unrolled: 1-line block ×3, first 2 shown]
	s_waitcnt vmcnt(7)
	v_lshlrev_b32_e32 v11, 16, v5
	v_cmp_nlt_f32_e32 vcc, 0, v11
	v_mov_b32_e32 v2, v5
	s_and_saveexec_b64 s[4:5], vcc
	s_cbranch_execz .LBB44_3
; %bb.2:
	s_waitcnt vmcnt(3)
	v_lshlrev_b32_e32 v2, 16, v6
	v_mul_f32_e32 v2, v11, v2
	v_bfe_u32 v11, v2, 16, 1
	s_movk_i32 s3, 0x7fff
	v_add3_u32 v11, v2, v11, s3
	v_lshrrev_b32_e32 v11, 16, v11
	v_mov_b32_e32 v12, 0x7fc0
	v_cmp_o_f32_e32 vcc, v2, v2
	v_cndmask_b32_e32 v2, v12, v11, vcc
.LBB44_3:
	s_or_b64 exec, exec, s[4:5]
	v_and_b32_e32 v5, 0xffff0000, v5
	v_cmp_nlt_f32_e32 vcc, 0, v5
	s_and_saveexec_b64 s[4:5], vcc
	s_cbranch_execz .LBB44_5
; %bb.4:
	s_waitcnt vmcnt(3)
	v_and_b32_e32 v6, 0xffff0000, v6
	v_mul_f32_e32 v5, v5, v6
	v_bfe_u32 v6, v5, 16, 1
	s_movk_i32 s3, 0x7fff
	v_add3_u32 v6, v5, v6, s3
	v_and_b32_e32 v6, 0xffff0000, v6
	v_mov_b32_e32 v11, 0x7fc00000
	v_cmp_o_f32_e32 vcc, v5, v5
	v_cndmask_b32_e32 v5, v11, v6, vcc
.LBB44_5:
	s_or_b64 exec, exec, s[4:5]
	s_waitcnt vmcnt(6)
	v_lshlrev_b32_e32 v11, 16, v9
	v_cmp_nlt_f32_e32 vcc, 0, v11
	s_waitcnt vmcnt(3)
	v_mov_b32_e32 v6, v9
	s_and_saveexec_b64 s[4:5], vcc
	s_cbranch_execz .LBB44_7
; %bb.6:
	s_waitcnt vmcnt(2)
	v_lshlrev_b32_e32 v6, 16, v10
	v_mul_f32_e32 v6, v11, v6
	v_bfe_u32 v11, v6, 16, 1
	s_movk_i32 s3, 0x7fff
	v_add3_u32 v11, v6, v11, s3
	v_lshrrev_b32_e32 v11, 16, v11
	v_mov_b32_e32 v12, 0x7fc0
	v_cmp_o_f32_e32 vcc, v6, v6
	v_cndmask_b32_e32 v6, v12, v11, vcc
.LBB44_7:
	s_or_b64 exec, exec, s[4:5]
	v_and_b32_e32 v9, 0xffff0000, v9
	v_cmp_nlt_f32_e32 vcc, 0, v9
	s_and_saveexec_b64 s[4:5], vcc
	s_cbranch_execz .LBB44_9
; %bb.8:
	s_waitcnt vmcnt(2)
	v_and_b32_e32 v10, 0xffff0000, v10
	v_mul_f32_e32 v9, v9, v10
	v_bfe_u32 v10, v9, 16, 1
	s_movk_i32 s3, 0x7fff
	v_add3_u32 v10, v9, v10, s3
	v_and_b32_e32 v10, 0xffff0000, v10
	v_mov_b32_e32 v11, 0x7fc00000
	v_cmp_o_f32_e32 vcc, v9, v9
	v_cndmask_b32_e32 v9, v11, v10, vcc
.LBB44_9:
	s_or_b64 exec, exec, s[4:5]
	v_lshlrev_b32_e32 v11, 16, v8
	v_cmp_nlt_f32_e32 vcc, 0, v11
	s_waitcnt vmcnt(2)
	v_mov_b32_e32 v10, v8
	s_and_saveexec_b64 s[4:5], vcc
	s_cbranch_execz .LBB44_11
; %bb.10:
	s_waitcnt vmcnt(1)
	v_lshlrev_b32_e32 v10, 16, v7
	v_mul_f32_e32 v10, v11, v10
	v_bfe_u32 v11, v10, 16, 1
	s_movk_i32 s3, 0x7fff
	v_add3_u32 v11, v10, v11, s3
	v_lshrrev_b32_e32 v11, 16, v11
	v_mov_b32_e32 v12, 0x7fc0
	v_cmp_o_f32_e32 vcc, v10, v10
	v_cndmask_b32_e32 v10, v12, v11, vcc
.LBB44_11:
	s_or_b64 exec, exec, s[4:5]
	v_and_b32_e32 v8, 0xffff0000, v8
	v_cmp_nlt_f32_e32 vcc, 0, v8
	s_and_saveexec_b64 s[4:5], vcc
	s_cbranch_execz .LBB44_13
; %bb.12:
	s_waitcnt vmcnt(1)
	v_and_b32_e32 v7, 0xffff0000, v7
	v_mul_f32_e32 v7, v8, v7
	v_bfe_u32 v8, v7, 16, 1
	s_movk_i32 s3, 0x7fff
	v_add3_u32 v8, v7, v8, s3
	v_and_b32_e32 v8, 0xffff0000, v8
	v_mov_b32_e32 v11, 0x7fc00000
	v_cmp_o_f32_e32 vcc, v7, v7
	v_cndmask_b32_e32 v8, v11, v8, vcc
.LBB44_13:
	s_or_b64 exec, exec, s[4:5]
	;; [unrolled: 36-line block ×3, first 2 shown]
	s_add_u32 s0, s8, s0
	s_mov_b32 s3, 0xffff
	s_addc_u32 s1, s9, s1
	v_and_or_b32 v2, v2, s3, v5
	global_store_dword v1, v2, s[0:1]
	v_and_or_b32 v2, v6, s3, v9
	global_store_dword v1, v2, s[0:1] offset:1024
	v_and_or_b32 v2, v10, s3, v8
	global_store_dword v1, v2, s[0:1] offset:2048
	;; [unrolled: 2-line block ×3, first 2 shown]
	s_mov_b64 s[0:1], 0
.LBB44_18:
	s_and_b64 vcc, exec, s[0:1]
	s_cbranch_vccz .LBB44_73
; %bb.19:
	v_cmp_gt_i32_e32 vcc, s14, v0
	v_mov_b32_e32 v1, 0
	v_or_b32_e32 v2, s2, v0
	v_mov_b32_e32 v4, 0
	s_waitcnt vmcnt(4)
	v_mov_b32_e32 v3, 0
	v_mov_b32_e32 v18, v0
	s_and_saveexec_b64 s[4:5], vcc
	s_cbranch_execz .LBB44_21
; %bb.20:
	v_mov_b32_e32 v3, 0
	v_lshlrev_b64 v[4:5], 1, v[2:3]
	v_mov_b32_e32 v3, s13
	v_add_co_u32_e64 v6, s[0:1], s12, v4
	v_addc_co_u32_e64 v7, s[0:1], v3, v5, s[0:1]
	v_mov_b32_e32 v3, s11
	v_add_co_u32_e64 v8, s[0:1], s10, v4
	v_addc_co_u32_e64 v9, s[0:1], v3, v5, s[0:1]
	global_load_ushort v4, v[8:9], off
	global_load_ushort v3, v[6:7], off
	v_or_b32_e32 v18, 0x100, v0
.LBB44_21:
	s_or_b64 exec, exec, s[4:5]
	v_cmp_gt_i32_e64 s[0:1], s14, v18
	v_mov_b32_e32 v11, 0
	s_and_saveexec_b64 s[4:5], s[0:1]
	s_cbranch_execz .LBB44_23
; %bb.22:
	v_add_u32_e32 v6, s2, v18
	v_mov_b32_e32 v7, 0
	v_lshlrev_b64 v[6:7], 1, v[6:7]
	v_mov_b32_e32 v1, s13
	v_add_co_u32_e64 v8, s[0:1], s12, v6
	v_addc_co_u32_e64 v9, s[0:1], v1, v7, s[0:1]
	v_mov_b32_e32 v1, s11
	v_add_co_u32_e64 v6, s[0:1], s10, v6
	v_addc_co_u32_e64 v7, s[0:1], v1, v7, s[0:1]
	global_load_ushort v1, v[6:7], off
	global_load_ushort v11, v[8:9], off
	v_add_u32_e32 v18, 0x100, v18
.LBB44_23:
	s_or_b64 exec, exec, s[4:5]
	v_cmp_gt_i32_e64 s[0:1], s14, v18
	v_mov_b32_e32 v5, 0
	v_mov_b32_e32 v6, 0
	v_mov_b32_e32 v12, 0
	s_and_saveexec_b64 s[4:5], s[0:1]
	s_cbranch_execz .LBB44_25
; %bb.24:
	v_add_u32_e32 v6, s2, v18
	v_mov_b32_e32 v7, 0
	v_lshlrev_b64 v[6:7], 1, v[6:7]
	v_mov_b32_e32 v9, s13
	v_add_co_u32_e64 v8, s[0:1], s12, v6
	v_addc_co_u32_e64 v9, s[0:1], v9, v7, s[0:1]
	v_mov_b32_e32 v10, s11
	v_add_co_u32_e64 v14, s[0:1], s10, v6
	v_addc_co_u32_e64 v15, s[0:1], v10, v7, s[0:1]
	global_load_ushort v6, v[14:15], off
	global_load_ushort v12, v[8:9], off
	v_add_u32_e32 v18, 0x100, v18
.LBB44_25:
	s_or_b64 exec, exec, s[4:5]
	v_cmp_gt_i32_e64 s[0:1], s14, v18
	v_mov_b32_e32 v13, 0
	s_and_saveexec_b64 s[4:5], s[0:1]
	s_cbranch_execz .LBB44_27
; %bb.26:
	v_add_u32_e32 v8, s2, v18
	v_mov_b32_e32 v9, 0
	v_lshlrev_b64 v[8:9], 1, v[8:9]
	v_mov_b32_e32 v5, s13
	v_add_co_u32_e64 v14, s[0:1], s12, v8
	v_addc_co_u32_e64 v15, s[0:1], v5, v9, s[0:1]
	v_mov_b32_e32 v5, s11
	v_add_co_u32_e64 v8, s[0:1], s10, v8
	v_addc_co_u32_e64 v9, s[0:1], v5, v9, s[0:1]
	global_load_ushort v5, v[8:9], off
	global_load_ushort v13, v[14:15], off
	v_add_u32_e32 v18, 0x100, v18
.LBB44_27:
	s_or_b64 exec, exec, s[4:5]
	v_cmp_gt_i32_e64 s[0:1], s14, v18
	v_mov_b32_e32 v7, 0
	v_mov_b32_e32 v8, 0
	v_mov_b32_e32 v14, 0
	s_and_saveexec_b64 s[4:5], s[0:1]
	s_cbranch_execz .LBB44_29
; %bb.28:
	v_add_u32_e32 v8, s2, v18
	v_mov_b32_e32 v9, 0
	v_lshlrev_b64 v[8:9], 1, v[8:9]
	v_mov_b32_e32 v10, s13
	v_add_co_u32_e64 v16, s[0:1], s12, v8
	v_addc_co_u32_e64 v17, s[0:1], v10, v9, s[0:1]
	v_mov_b32_e32 v10, s11
	v_add_co_u32_e64 v20, s[0:1], s10, v8
	v_addc_co_u32_e64 v21, s[0:1], v10, v9, s[0:1]
	global_load_ushort v8, v[20:21], off
	global_load_ushort v14, v[16:17], off
	v_add_u32_e32 v18, 0x100, v18
.LBB44_29:
	;; [unrolled: 40-line block ×3, first 2 shown]
	s_or_b64 exec, exec, s[4:5]
	v_cmp_gt_i32_e64 s[0:1], s14, v18
	v_mov_b32_e32 v17, 0
	s_and_saveexec_b64 s[4:5], s[0:1]
	s_cbranch_execz .LBB44_35
; %bb.34:
	v_add_u32_e32 v18, s2, v18
	v_mov_b32_e32 v19, 0
	v_lshlrev_b64 v[18:19], 1, v[18:19]
	v_mov_b32_e32 v9, s13
	v_add_co_u32_e64 v20, s[0:1], s12, v18
	v_addc_co_u32_e64 v21, s[0:1], v9, v19, s[0:1]
	v_mov_b32_e32 v9, s11
	v_add_co_u32_e64 v18, s[0:1], s10, v18
	v_addc_co_u32_e64 v19, s[0:1], v9, v19, s[0:1]
	global_load_ushort v9, v[18:19], off
	global_load_ushort v17, v[20:21], off
.LBB44_35:
	s_or_b64 exec, exec, s[4:5]
	s_and_saveexec_b64 s[4:5], vcc
	s_cbranch_execz .LBB44_39
; %bb.36:
	s_waitcnt vmcnt(1)
	v_lshlrev_b32_e32 v18, 16, v4
	v_cmp_nlt_f32_e64 s[0:1], 0, v18
	s_and_saveexec_b64 s[6:7], s[0:1]
	s_cbranch_execz .LBB44_38
; %bb.37:
	s_waitcnt vmcnt(0)
	v_lshlrev_b32_e32 v3, 16, v3
	v_mul_f32_e32 v3, v18, v3
	v_bfe_u32 v4, v3, 16, 1
	s_movk_i32 s0, 0x7fff
	v_add3_u32 v4, v3, v4, s0
	v_lshrrev_b32_e32 v4, 16, v4
	v_mov_b32_e32 v18, 0x7fc0
	v_cmp_o_f32_e64 s[0:1], v3, v3
	v_cndmask_b32_e64 v4, v18, v4, s[0:1]
.LBB44_38:
	s_or_b64 exec, exec, s[6:7]
.LBB44_39:
	s_or_b64 exec, exec, s[4:5]
	v_or_b32_e32 v18, 0x100, v0
	v_cmp_gt_i32_e64 s[0:1], s14, v18
	s_and_saveexec_b64 s[4:5], s[0:1]
	s_cbranch_execz .LBB44_43
; %bb.40:
	s_waitcnt vmcnt(0)
	v_lshlrev_b32_e32 v3, 16, v1
	v_cmp_nlt_f32_e64 s[0:1], 0, v3
	s_and_saveexec_b64 s[6:7], s[0:1]
; %bb.41:
	v_lshlrev_b32_e32 v1, 16, v11
	v_mul_f32_e32 v1, v3, v1
	v_bfe_u32 v3, v1, 16, 1
	s_movk_i32 s0, 0x7fff
	v_add3_u32 v3, v1, v3, s0
	v_lshrrev_b32_e32 v3, 16, v3
	v_mov_b32_e32 v11, 0x7fc0
	v_cmp_o_f32_e64 s[0:1], v1, v1
	v_cndmask_b32_e64 v1, v11, v3, s[0:1]
; %bb.42:
	s_or_b64 exec, exec, s[6:7]
.LBB44_43:
	s_or_b64 exec, exec, s[4:5]
	s_waitcnt vmcnt(0)
	v_or_b32_e32 v3, 0x200, v0
	v_cmp_gt_i32_e64 s[0:1], s14, v3
	s_and_saveexec_b64 s[4:5], s[0:1]
	s_cbranch_execz .LBB44_47
; %bb.44:
	v_lshlrev_b32_e32 v3, 16, v6
	v_cmp_nlt_f32_e64 s[0:1], 0, v3
	s_and_saveexec_b64 s[6:7], s[0:1]
; %bb.45:
	v_lshlrev_b32_e32 v6, 16, v12
	v_mul_f32_e32 v3, v3, v6
	v_bfe_u32 v6, v3, 16, 1
	s_movk_i32 s0, 0x7fff
	v_add3_u32 v6, v3, v6, s0
	v_lshrrev_b32_e32 v6, 16, v6
	v_mov_b32_e32 v11, 0x7fc0
	v_cmp_o_f32_e64 s[0:1], v3, v3
	v_cndmask_b32_e64 v6, v11, v6, s[0:1]
; %bb.46:
	s_or_b64 exec, exec, s[6:7]
.LBB44_47:
	s_or_b64 exec, exec, s[4:5]
	v_or_b32_e32 v3, 0x300, v0
	v_cmp_gt_i32_e64 s[0:1], s14, v3
	s_and_saveexec_b64 s[4:5], s[0:1]
	s_cbranch_execz .LBB44_51
; %bb.48:
	v_lshlrev_b32_e32 v3, 16, v5
	v_cmp_nlt_f32_e64 s[0:1], 0, v3
	s_and_saveexec_b64 s[6:7], s[0:1]
; %bb.49:
	v_lshlrev_b32_e32 v5, 16, v13
	v_mul_f32_e32 v3, v3, v5
	v_bfe_u32 v5, v3, 16, 1
	s_movk_i32 s0, 0x7fff
	v_add3_u32 v5, v3, v5, s0
	v_lshrrev_b32_e32 v5, 16, v5
	v_mov_b32_e32 v11, 0x7fc0
	v_cmp_o_f32_e64 s[0:1], v3, v3
	v_cndmask_b32_e64 v5, v11, v5, s[0:1]
; %bb.50:
	s_or_b64 exec, exec, s[6:7]
.LBB44_51:
	s_or_b64 exec, exec, s[4:5]
	;; [unrolled: 22-line block ×5, first 2 shown]
	v_or_b32_e32 v3, 0x700, v0
	v_cmp_gt_i32_e64 s[0:1], s14, v3
	s_and_saveexec_b64 s[4:5], s[0:1]
	s_cbranch_execnz .LBB44_74
; %bb.64:
	s_or_b64 exec, exec, s[4:5]
	s_and_saveexec_b64 s[0:1], vcc
	s_xor_b64 s[0:1], exec, s[0:1]
	s_cbranch_execnz .LBB44_77
.LBB44_65:
	s_or_b64 exec, exec, s[0:1]
	v_cmp_gt_i32_e32 vcc, s14, v0
	s_and_saveexec_b64 s[0:1], vcc
	s_cbranch_execnz .LBB44_78
.LBB44_66:
	s_or_b64 exec, exec, s[0:1]
	v_cmp_gt_i32_e32 vcc, s14, v0
	s_and_saveexec_b64 s[0:1], vcc
	s_cbranch_execnz .LBB44_79
.LBB44_67:
	s_or_b64 exec, exec, s[0:1]
	v_cmp_gt_i32_e32 vcc, s14, v0
	s_and_saveexec_b64 s[0:1], vcc
	s_cbranch_execnz .LBB44_80
.LBB44_68:
	s_or_b64 exec, exec, s[0:1]
	v_cmp_gt_i32_e32 vcc, s14, v0
	s_and_saveexec_b64 s[0:1], vcc
	s_cbranch_execnz .LBB44_81
.LBB44_69:
	s_or_b64 exec, exec, s[0:1]
	v_cmp_gt_i32_e32 vcc, s14, v0
	s_and_saveexec_b64 s[0:1], vcc
	s_cbranch_execnz .LBB44_82
.LBB44_70:
	s_or_b64 exec, exec, s[0:1]
	v_cmp_gt_i32_e32 vcc, s14, v0
	s_and_saveexec_b64 s[0:1], vcc
	s_cbranch_execnz .LBB44_83
.LBB44_71:
	s_or_b64 exec, exec, s[0:1]
	v_cmp_gt_i32_e32 vcc, s14, v0
	s_and_saveexec_b64 s[0:1], vcc
	s_cbranch_execz .LBB44_73
.LBB44_72:
	v_add_u32_e32 v0, s2, v0
	v_mov_b32_e32 v1, 0
	v_lshlrev_b64 v[0:1], 1, v[0:1]
	v_mov_b32_e32 v2, s9
	v_add_co_u32_e32 v0, vcc, s8, v0
	v_addc_co_u32_e32 v1, vcc, v2, v1, vcc
	global_store_short v[0:1], v9, off
.LBB44_73:
	s_endpgm
.LBB44_74:
	v_lshlrev_b32_e32 v3, 16, v9
	v_cmp_nlt_f32_e64 s[0:1], 0, v3
	s_and_saveexec_b64 s[6:7], s[0:1]
; %bb.75:
	v_lshlrev_b32_e32 v9, 16, v17
	v_mul_f32_e32 v3, v3, v9
	v_bfe_u32 v9, v3, 16, 1
	s_movk_i32 s0, 0x7fff
	v_add3_u32 v9, v3, v9, s0
	v_lshrrev_b32_e32 v9, 16, v9
	v_mov_b32_e32 v11, 0x7fc0
	v_cmp_o_f32_e64 s[0:1], v3, v3
	v_cndmask_b32_e64 v9, v11, v9, s[0:1]
; %bb.76:
	s_or_b64 exec, exec, s[6:7]
	s_or_b64 exec, exec, s[4:5]
	s_and_saveexec_b64 s[0:1], vcc
	s_xor_b64 s[0:1], exec, s[0:1]
	s_cbranch_execz .LBB44_65
.LBB44_77:
	v_mov_b32_e32 v3, 0
	v_lshlrev_b64 v[2:3], 1, v[2:3]
	v_mov_b32_e32 v0, s9
	v_add_co_u32_e32 v2, vcc, s8, v2
	v_addc_co_u32_e32 v3, vcc, v0, v3, vcc
	v_mov_b32_e32 v0, v18
	global_store_short v[2:3], v4, off
	s_or_b64 exec, exec, s[0:1]
	v_cmp_gt_i32_e32 vcc, s14, v0
	s_and_saveexec_b64 s[0:1], vcc
	s_cbranch_execz .LBB44_66
.LBB44_78:
	v_add_u32_e32 v2, s2, v0
	v_mov_b32_e32 v3, 0
	v_lshlrev_b64 v[2:3], 1, v[2:3]
	v_mov_b32_e32 v4, s9
	v_add_co_u32_e32 v2, vcc, s8, v2
	v_addc_co_u32_e32 v3, vcc, v4, v3, vcc
	v_add_u32_e32 v0, 0x100, v0
	global_store_short v[2:3], v1, off
	s_or_b64 exec, exec, s[0:1]
	v_cmp_gt_i32_e32 vcc, s14, v0
	s_and_saveexec_b64 s[0:1], vcc
	s_cbranch_execz .LBB44_67
.LBB44_79:
	v_add_u32_e32 v2, s2, v0
	v_mov_b32_e32 v3, 0
	v_lshlrev_b64 v[2:3], 1, v[2:3]
	v_mov_b32_e32 v1, s9
	v_add_co_u32_e32 v2, vcc, s8, v2
	v_addc_co_u32_e32 v3, vcc, v1, v3, vcc
	v_add_u32_e32 v0, 0x100, v0
	global_store_short v[2:3], v6, off
	s_or_b64 exec, exec, s[0:1]
	v_cmp_gt_i32_e32 vcc, s14, v0
	s_and_saveexec_b64 s[0:1], vcc
	s_cbranch_execz .LBB44_68
.LBB44_80:
	v_add_u32_e32 v2, s2, v0
	v_mov_b32_e32 v3, 0
	v_lshlrev_b64 v[2:3], 1, v[2:3]
	v_mov_b32_e32 v1, s9
	v_add_co_u32_e32 v2, vcc, s8, v2
	v_addc_co_u32_e32 v3, vcc, v1, v3, vcc
	v_add_u32_e32 v0, 0x100, v0
	global_store_short v[2:3], v5, off
	s_or_b64 exec, exec, s[0:1]
	v_cmp_gt_i32_e32 vcc, s14, v0
	s_and_saveexec_b64 s[0:1], vcc
	s_cbranch_execz .LBB44_69
.LBB44_81:
	v_add_u32_e32 v2, s2, v0
	v_mov_b32_e32 v3, 0
	v_lshlrev_b64 v[2:3], 1, v[2:3]
	v_mov_b32_e32 v1, s9
	v_add_co_u32_e32 v2, vcc, s8, v2
	v_addc_co_u32_e32 v3, vcc, v1, v3, vcc
	v_add_u32_e32 v0, 0x100, v0
	global_store_short v[2:3], v8, off
	s_or_b64 exec, exec, s[0:1]
	v_cmp_gt_i32_e32 vcc, s14, v0
	s_and_saveexec_b64 s[0:1], vcc
	s_cbranch_execz .LBB44_70
.LBB44_82:
	v_add_u32_e32 v2, s2, v0
	v_mov_b32_e32 v3, 0
	v_lshlrev_b64 v[2:3], 1, v[2:3]
	v_mov_b32_e32 v1, s9
	v_add_co_u32_e32 v2, vcc, s8, v2
	v_addc_co_u32_e32 v3, vcc, v1, v3, vcc
	v_add_u32_e32 v0, 0x100, v0
	global_store_short v[2:3], v7, off
	s_or_b64 exec, exec, s[0:1]
	v_cmp_gt_i32_e32 vcc, s14, v0
	s_and_saveexec_b64 s[0:1], vcc
	s_cbranch_execz .LBB44_71
.LBB44_83:
	v_add_u32_e32 v2, s2, v0
	v_mov_b32_e32 v3, 0
	v_lshlrev_b64 v[2:3], 1, v[2:3]
	v_mov_b32_e32 v1, s9
	v_add_co_u32_e32 v2, vcc, s8, v2
	v_addc_co_u32_e32 v3, vcc, v1, v3, vcc
	v_add_u32_e32 v0, 0x100, v0
	global_store_short v[2:3], v10, off
	s_or_b64 exec, exec, s[0:1]
	v_cmp_gt_i32_e32 vcc, s14, v0
	s_and_saveexec_b64 s[0:1], vcc
	s_cbranch_execnz .LBB44_72
	s_branch .LBB44_73
	.section	.rodata,"a",@progbits
	.p2align	6, 0x0
	.amdhsa_kernel _ZN2at6native29vectorized_elementwise_kernelILi2EZZZNS0_12prelu_kernelERNS_14TensorIteratorEENKUlvE_clEvENKUlvE1_clEvEUlN3c108BFloat16ES7_E_St5arrayIPcLm3EEEEviT0_T1_
		.amdhsa_group_segment_fixed_size 0
		.amdhsa_private_segment_fixed_size 0
		.amdhsa_kernarg_size 32
		.amdhsa_user_sgpr_count 6
		.amdhsa_user_sgpr_private_segment_buffer 1
		.amdhsa_user_sgpr_dispatch_ptr 0
		.amdhsa_user_sgpr_queue_ptr 0
		.amdhsa_user_sgpr_kernarg_segment_ptr 1
		.amdhsa_user_sgpr_dispatch_id 0
		.amdhsa_user_sgpr_flat_scratch_init 0
		.amdhsa_user_sgpr_kernarg_preload_length 0
		.amdhsa_user_sgpr_kernarg_preload_offset 0
		.amdhsa_user_sgpr_private_segment_size 0
		.amdhsa_uses_dynamic_stack 0
		.amdhsa_system_sgpr_private_segment_wavefront_offset 0
		.amdhsa_system_sgpr_workgroup_id_x 1
		.amdhsa_system_sgpr_workgroup_id_y 0
		.amdhsa_system_sgpr_workgroup_id_z 0
		.amdhsa_system_sgpr_workgroup_info 0
		.amdhsa_system_vgpr_workitem_id 0
		.amdhsa_next_free_vgpr 24
		.amdhsa_next_free_sgpr 15
		.amdhsa_accum_offset 24
		.amdhsa_reserve_vcc 1
		.amdhsa_reserve_flat_scratch 0
		.amdhsa_float_round_mode_32 0
		.amdhsa_float_round_mode_16_64 0
		.amdhsa_float_denorm_mode_32 3
		.amdhsa_float_denorm_mode_16_64 3
		.amdhsa_dx10_clamp 1
		.amdhsa_ieee_mode 1
		.amdhsa_fp16_overflow 0
		.amdhsa_tg_split 0
		.amdhsa_exception_fp_ieee_invalid_op 0
		.amdhsa_exception_fp_denorm_src 0
		.amdhsa_exception_fp_ieee_div_zero 0
		.amdhsa_exception_fp_ieee_overflow 0
		.amdhsa_exception_fp_ieee_underflow 0
		.amdhsa_exception_fp_ieee_inexact 0
		.amdhsa_exception_int_div_zero 0
	.end_amdhsa_kernel
	.section	.text._ZN2at6native29vectorized_elementwise_kernelILi2EZZZNS0_12prelu_kernelERNS_14TensorIteratorEENKUlvE_clEvENKUlvE1_clEvEUlN3c108BFloat16ES7_E_St5arrayIPcLm3EEEEviT0_T1_,"axG",@progbits,_ZN2at6native29vectorized_elementwise_kernelILi2EZZZNS0_12prelu_kernelERNS_14TensorIteratorEENKUlvE_clEvENKUlvE1_clEvEUlN3c108BFloat16ES7_E_St5arrayIPcLm3EEEEviT0_T1_,comdat
.Lfunc_end44:
	.size	_ZN2at6native29vectorized_elementwise_kernelILi2EZZZNS0_12prelu_kernelERNS_14TensorIteratorEENKUlvE_clEvENKUlvE1_clEvEUlN3c108BFloat16ES7_E_St5arrayIPcLm3EEEEviT0_T1_, .Lfunc_end44-_ZN2at6native29vectorized_elementwise_kernelILi2EZZZNS0_12prelu_kernelERNS_14TensorIteratorEENKUlvE_clEvENKUlvE1_clEvEUlN3c108BFloat16ES7_E_St5arrayIPcLm3EEEEviT0_T1_
                                        ; -- End function
	.section	.AMDGPU.csdata,"",@progbits
; Kernel info:
; codeLenInByte = 3184
; NumSgprs: 19
; NumVgprs: 24
; NumAgprs: 0
; TotalNumVgprs: 24
; ScratchSize: 0
; MemoryBound: 0
; FloatMode: 240
; IeeeMode: 1
; LDSByteSize: 0 bytes/workgroup (compile time only)
; SGPRBlocks: 2
; VGPRBlocks: 2
; NumSGPRsForWavesPerEU: 19
; NumVGPRsForWavesPerEU: 24
; AccumOffset: 24
; Occupancy: 8
; WaveLimiterHint : 1
; COMPUTE_PGM_RSRC2:SCRATCH_EN: 0
; COMPUTE_PGM_RSRC2:USER_SGPR: 6
; COMPUTE_PGM_RSRC2:TRAP_HANDLER: 0
; COMPUTE_PGM_RSRC2:TGID_X_EN: 1
; COMPUTE_PGM_RSRC2:TGID_Y_EN: 0
; COMPUTE_PGM_RSRC2:TGID_Z_EN: 0
; COMPUTE_PGM_RSRC2:TIDIG_COMP_CNT: 0
; COMPUTE_PGM_RSRC3_GFX90A:ACCUM_OFFSET: 5
; COMPUTE_PGM_RSRC3_GFX90A:TG_SPLIT: 0
	.section	.text._ZN2at6native27unrolled_elementwise_kernelIZZZNS0_12prelu_kernelERNS_14TensorIteratorEENKUlvE_clEvENKUlvE1_clEvEUlN3c108BFloat16ES7_E_St5arrayIPcLm3EELi4E23TrivialOffsetCalculatorILi2EjESC_ILi1EjENS0_6memory15LoadWithoutCastENSF_16StoreWithoutCastEEEviT_T0_T2_T3_T4_T5_,"axG",@progbits,_ZN2at6native27unrolled_elementwise_kernelIZZZNS0_12prelu_kernelERNS_14TensorIteratorEENKUlvE_clEvENKUlvE1_clEvEUlN3c108BFloat16ES7_E_St5arrayIPcLm3EELi4E23TrivialOffsetCalculatorILi2EjESC_ILi1EjENS0_6memory15LoadWithoutCastENSF_16StoreWithoutCastEEEviT_T0_T2_T3_T4_T5_,comdat
	.globl	_ZN2at6native27unrolled_elementwise_kernelIZZZNS0_12prelu_kernelERNS_14TensorIteratorEENKUlvE_clEvENKUlvE1_clEvEUlN3c108BFloat16ES7_E_St5arrayIPcLm3EELi4E23TrivialOffsetCalculatorILi2EjESC_ILi1EjENS0_6memory15LoadWithoutCastENSF_16StoreWithoutCastEEEviT_T0_T2_T3_T4_T5_ ; -- Begin function _ZN2at6native27unrolled_elementwise_kernelIZZZNS0_12prelu_kernelERNS_14TensorIteratorEENKUlvE_clEvENKUlvE1_clEvEUlN3c108BFloat16ES7_E_St5arrayIPcLm3EELi4E23TrivialOffsetCalculatorILi2EjESC_ILi1EjENS0_6memory15LoadWithoutCastENSF_16StoreWithoutCastEEEviT_T0_T2_T3_T4_T5_
	.p2align	8
	.type	_ZN2at6native27unrolled_elementwise_kernelIZZZNS0_12prelu_kernelERNS_14TensorIteratorEENKUlvE_clEvENKUlvE1_clEvEUlN3c108BFloat16ES7_E_St5arrayIPcLm3EELi4E23TrivialOffsetCalculatorILi2EjESC_ILi1EjENS0_6memory15LoadWithoutCastENSF_16StoreWithoutCastEEEviT_T0_T2_T3_T4_T5_,@function
_ZN2at6native27unrolled_elementwise_kernelIZZZNS0_12prelu_kernelERNS_14TensorIteratorEENKUlvE_clEvENKUlvE1_clEvEUlN3c108BFloat16ES7_E_St5arrayIPcLm3EELi4E23TrivialOffsetCalculatorILi2EjESC_ILi1EjENS0_6memory15LoadWithoutCastENSF_16StoreWithoutCastEEEviT_T0_T2_T3_T4_T5_: ; @_ZN2at6native27unrolled_elementwise_kernelIZZZNS0_12prelu_kernelERNS_14TensorIteratorEENKUlvE_clEvENKUlvE1_clEvEUlN3c108BFloat16ES7_E_St5arrayIPcLm3EELi4E23TrivialOffsetCalculatorILi2EjESC_ILi1EjENS0_6memory15LoadWithoutCastENSF_16StoreWithoutCastEEEviT_T0_T2_T3_T4_T5_
; %bb.0:
	s_load_dword s0, s[4:5], 0x0
	s_load_dwordx4 s[8:11], s[4:5], 0x8
	s_load_dwordx2 s[2:3], s[4:5], 0x18
	s_lshl_b32 s6, s6, 10
	v_mov_b32_e32 v4, 0
	s_waitcnt lgkmcnt(0)
	s_sub_i32 s7, s0, s6
	v_cmp_gt_i32_e32 vcc, s7, v0
	v_mov_b32_e32 v1, 0
	v_or_b32_e32 v2, s6, v0
	v_mov_b32_e32 v3, 0
	v_mov_b32_e32 v10, v0
	s_and_saveexec_b64 s[4:5], vcc
	s_cbranch_execz .LBB45_2
; %bb.1:
	v_mov_b32_e32 v3, 0
	v_lshlrev_b64 v[4:5], 1, v[2:3]
	v_mov_b32_e32 v3, s3
	v_add_co_u32_e64 v6, s[0:1], s2, v4
	v_addc_co_u32_e64 v7, s[0:1], v3, v5, s[0:1]
	v_mov_b32_e32 v3, s11
	v_add_co_u32_e64 v8, s[0:1], s10, v4
	v_addc_co_u32_e64 v9, s[0:1], v3, v5, s[0:1]
	global_load_ushort v3, v[6:7], off
	global_load_ushort v4, v[8:9], off
	v_or_b32_e32 v10, 0x100, v0
	s_waitcnt vmcnt(1)
	v_lshlrev_b32_e32 v3, 16, v3
.LBB45_2:
	s_or_b64 exec, exec, s[4:5]
	v_cmp_gt_i32_e64 s[0:1], s7, v10
	v_mov_b32_e32 v7, 0
	s_and_saveexec_b64 s[4:5], s[0:1]
	s_cbranch_execz .LBB45_4
; %bb.3:
	v_add_u32_e32 v6, s6, v10
	v_mov_b32_e32 v7, 0
	v_lshlrev_b64 v[6:7], 1, v[6:7]
	v_mov_b32_e32 v1, s3
	v_add_co_u32_e64 v8, s[0:1], s2, v6
	v_addc_co_u32_e64 v9, s[0:1], v1, v7, s[0:1]
	v_mov_b32_e32 v1, s11
	v_add_co_u32_e64 v6, s[0:1], s10, v6
	global_load_ushort v5, v[8:9], off
	v_addc_co_u32_e64 v7, s[0:1], v1, v7, s[0:1]
	global_load_ushort v1, v[6:7], off
	v_add_u32_e32 v10, 0x100, v10
	s_waitcnt vmcnt(1)
	v_lshlrev_b32_e32 v7, 16, v5
.LBB45_4:
	s_or_b64 exec, exec, s[4:5]
	v_cmp_gt_i32_e64 s[0:1], s7, v10
	v_mov_b32_e32 v6, 0
	v_mov_b32_e32 v5, 0
	;; [unrolled: 1-line block ×3, first 2 shown]
	s_and_saveexec_b64 s[4:5], s[0:1]
	s_cbranch_execz .LBB45_6
; %bb.5:
	v_add_u32_e32 v8, s6, v10
	v_mov_b32_e32 v9, 0
	v_lshlrev_b64 v[8:9], 1, v[8:9]
	v_mov_b32_e32 v6, s3
	v_add_co_u32_e64 v12, s[0:1], s2, v8
	v_addc_co_u32_e64 v13, s[0:1], v6, v9, s[0:1]
	v_mov_b32_e32 v6, s11
	v_add_co_u32_e64 v8, s[0:1], s10, v8
	global_load_ushort v11, v[12:13], off
	v_addc_co_u32_e64 v9, s[0:1], v6, v9, s[0:1]
	global_load_ushort v6, v[8:9], off
	v_add_u32_e32 v10, 0x100, v10
	s_waitcnt vmcnt(1)
	v_lshlrev_b32_e32 v8, 16, v11
.LBB45_6:
	s_or_b64 exec, exec, s[4:5]
	v_cmp_gt_i32_e64 s[0:1], s7, v10
	v_mov_b32_e32 v9, 0
	s_and_saveexec_b64 s[4:5], s[0:1]
	s_cbranch_execz .LBB45_8
; %bb.7:
	v_add_u32_e32 v10, s6, v10
	v_mov_b32_e32 v11, 0
	v_lshlrev_b64 v[10:11], 1, v[10:11]
	v_mov_b32_e32 v5, s3
	v_add_co_u32_e64 v12, s[0:1], s2, v10
	v_addc_co_u32_e64 v13, s[0:1], v5, v11, s[0:1]
	v_mov_b32_e32 v5, s11
	v_add_co_u32_e64 v10, s[0:1], s10, v10
	v_addc_co_u32_e64 v11, s[0:1], v5, v11, s[0:1]
	global_load_ushort v9, v[12:13], off
	global_load_ushort v5, v[10:11], off
	s_waitcnt vmcnt(1)
	v_lshlrev_b32_e32 v9, 16, v9
.LBB45_8:
	s_or_b64 exec, exec, s[4:5]
	s_and_saveexec_b64 s[2:3], vcc
	s_cbranch_execz .LBB45_12
; %bb.9:
	s_waitcnt vmcnt(0)
	v_lshlrev_b32_e32 v10, 16, v4
	v_cmp_nlt_f32_e64 s[0:1], 0, v10
	s_and_saveexec_b64 s[4:5], s[0:1]
; %bb.10:
	v_mul_f32_e32 v3, v3, v10
	v_bfe_u32 v4, v3, 16, 1
	s_movk_i32 s0, 0x7fff
	v_add3_u32 v4, v3, v4, s0
	v_lshrrev_b32_e32 v4, 16, v4
	v_mov_b32_e32 v10, 0x7fc0
	v_cmp_o_f32_e64 s[0:1], v3, v3
	v_cndmask_b32_e64 v4, v10, v4, s[0:1]
; %bb.11:
	s_or_b64 exec, exec, s[4:5]
.LBB45_12:
	s_or_b64 exec, exec, s[2:3]
	v_or_b32_e32 v10, 0x100, v0
	v_cmp_gt_i32_e64 s[0:1], s7, v10
	s_and_saveexec_b64 s[2:3], s[0:1]
	s_cbranch_execz .LBB45_16
; %bb.13:
	s_waitcnt vmcnt(0)
	v_lshlrev_b32_e32 v3, 16, v1
	v_cmp_nlt_f32_e64 s[0:1], 0, v3
	s_and_saveexec_b64 s[4:5], s[0:1]
; %bb.14:
	v_mul_f32_e32 v1, v7, v3
	v_bfe_u32 v3, v1, 16, 1
	s_movk_i32 s0, 0x7fff
	v_add3_u32 v3, v1, v3, s0
	v_lshrrev_b32_e32 v3, 16, v3
	v_mov_b32_e32 v7, 0x7fc0
	v_cmp_o_f32_e64 s[0:1], v1, v1
	v_cndmask_b32_e64 v1, v7, v3, s[0:1]
; %bb.15:
	s_or_b64 exec, exec, s[4:5]
.LBB45_16:
	s_or_b64 exec, exec, s[2:3]
	v_or_b32_e32 v3, 0x200, v0
	v_cmp_gt_i32_e64 s[0:1], s7, v3
	s_and_saveexec_b64 s[2:3], s[0:1]
	;; [unrolled: 22-line block ×3, first 2 shown]
	s_cbranch_execnz .LBB45_26
; %bb.21:
	s_or_b64 exec, exec, s[2:3]
	s_and_saveexec_b64 s[0:1], vcc
	s_xor_b64 s[0:1], exec, s[0:1]
	s_cbranch_execnz .LBB45_29
.LBB45_22:
	s_or_b64 exec, exec, s[0:1]
	v_cmp_gt_i32_e32 vcc, s7, v0
	s_and_saveexec_b64 s[0:1], vcc
	s_cbranch_execnz .LBB45_30
.LBB45_23:
	s_or_b64 exec, exec, s[0:1]
	v_cmp_gt_i32_e32 vcc, s7, v0
	s_and_saveexec_b64 s[0:1], vcc
	s_cbranch_execnz .LBB45_31
.LBB45_24:
	s_or_b64 exec, exec, s[0:1]
	v_cmp_gt_i32_e32 vcc, s7, v0
	s_and_saveexec_b64 s[0:1], vcc
	s_cbranch_execnz .LBB45_32
.LBB45_25:
	s_endpgm
.LBB45_26:
	s_waitcnt vmcnt(0)
	v_lshlrev_b32_e32 v3, 16, v5
	v_cmp_nlt_f32_e64 s[0:1], 0, v3
	s_and_saveexec_b64 s[4:5], s[0:1]
; %bb.27:
	v_mul_f32_e32 v3, v9, v3
	v_bfe_u32 v5, v3, 16, 1
	s_movk_i32 s0, 0x7fff
	v_add3_u32 v5, v3, v5, s0
	v_lshrrev_b32_e32 v5, 16, v5
	v_mov_b32_e32 v7, 0x7fc0
	v_cmp_o_f32_e64 s[0:1], v3, v3
	v_cndmask_b32_e64 v5, v7, v5, s[0:1]
; %bb.28:
	s_or_b64 exec, exec, s[4:5]
	s_or_b64 exec, exec, s[2:3]
	s_and_saveexec_b64 s[0:1], vcc
	s_xor_b64 s[0:1], exec, s[0:1]
	s_cbranch_execz .LBB45_22
.LBB45_29:
	v_mov_b32_e32 v3, 0
	v_lshlrev_b64 v[2:3], 1, v[2:3]
	v_mov_b32_e32 v0, s9
	v_add_co_u32_e32 v2, vcc, s8, v2
	v_addc_co_u32_e32 v3, vcc, v0, v3, vcc
	v_mov_b32_e32 v0, v10
	s_waitcnt vmcnt(0)
	global_store_short v[2:3], v4, off
	s_or_b64 exec, exec, s[0:1]
	v_cmp_gt_i32_e32 vcc, s7, v0
	s_and_saveexec_b64 s[0:1], vcc
	s_cbranch_execz .LBB45_23
.LBB45_30:
	v_add_u32_e32 v2, s6, v0
	v_mov_b32_e32 v3, 0
	v_lshlrev_b64 v[2:3], 1, v[2:3]
	s_waitcnt vmcnt(0)
	v_add_u32_e32 v4, 0x100, v0
	v_mov_b32_e32 v0, s9
	v_add_co_u32_e32 v2, vcc, s8, v2
	v_addc_co_u32_e32 v3, vcc, v0, v3, vcc
	v_mov_b32_e32 v0, v4
	global_store_short v[2:3], v1, off
	s_or_b64 exec, exec, s[0:1]
	v_cmp_gt_i32_e32 vcc, s7, v0
	s_and_saveexec_b64 s[0:1], vcc
	s_cbranch_execz .LBB45_24
.LBB45_31:
	v_add_u32_e32 v2, 0x100, v0
	v_add_u32_e32 v0, s6, v0
	s_waitcnt vmcnt(0)
	v_mov_b32_e32 v1, 0
	v_lshlrev_b64 v[0:1], 1, v[0:1]
	v_mov_b32_e32 v3, s9
	v_add_co_u32_e32 v0, vcc, s8, v0
	v_addc_co_u32_e32 v1, vcc, v3, v1, vcc
	global_store_short v[0:1], v6, off
	v_mov_b32_e32 v0, v2
	s_or_b64 exec, exec, s[0:1]
	v_cmp_gt_i32_e32 vcc, s7, v0
	s_and_saveexec_b64 s[0:1], vcc
	s_cbranch_execz .LBB45_25
.LBB45_32:
	v_add_u32_e32 v0, s6, v0
	s_waitcnt vmcnt(0)
	v_mov_b32_e32 v1, 0
	v_lshlrev_b64 v[0:1], 1, v[0:1]
	v_mov_b32_e32 v2, s9
	v_add_co_u32_e32 v0, vcc, s8, v0
	v_addc_co_u32_e32 v1, vcc, v2, v1, vcc
	global_store_short v[0:1], v5, off
	s_endpgm
	.section	.rodata,"a",@progbits
	.p2align	6, 0x0
	.amdhsa_kernel _ZN2at6native27unrolled_elementwise_kernelIZZZNS0_12prelu_kernelERNS_14TensorIteratorEENKUlvE_clEvENKUlvE1_clEvEUlN3c108BFloat16ES7_E_St5arrayIPcLm3EELi4E23TrivialOffsetCalculatorILi2EjESC_ILi1EjENS0_6memory15LoadWithoutCastENSF_16StoreWithoutCastEEEviT_T0_T2_T3_T4_T5_
		.amdhsa_group_segment_fixed_size 0
		.amdhsa_private_segment_fixed_size 0
		.amdhsa_kernarg_size 36
		.amdhsa_user_sgpr_count 6
		.amdhsa_user_sgpr_private_segment_buffer 1
		.amdhsa_user_sgpr_dispatch_ptr 0
		.amdhsa_user_sgpr_queue_ptr 0
		.amdhsa_user_sgpr_kernarg_segment_ptr 1
		.amdhsa_user_sgpr_dispatch_id 0
		.amdhsa_user_sgpr_flat_scratch_init 0
		.amdhsa_user_sgpr_kernarg_preload_length 0
		.amdhsa_user_sgpr_kernarg_preload_offset 0
		.amdhsa_user_sgpr_private_segment_size 0
		.amdhsa_uses_dynamic_stack 0
		.amdhsa_system_sgpr_private_segment_wavefront_offset 0
		.amdhsa_system_sgpr_workgroup_id_x 1
		.amdhsa_system_sgpr_workgroup_id_y 0
		.amdhsa_system_sgpr_workgroup_id_z 0
		.amdhsa_system_sgpr_workgroup_info 0
		.amdhsa_system_vgpr_workitem_id 0
		.amdhsa_next_free_vgpr 14
		.amdhsa_next_free_sgpr 12
		.amdhsa_accum_offset 16
		.amdhsa_reserve_vcc 1
		.amdhsa_reserve_flat_scratch 0
		.amdhsa_float_round_mode_32 0
		.amdhsa_float_round_mode_16_64 0
		.amdhsa_float_denorm_mode_32 3
		.amdhsa_float_denorm_mode_16_64 3
		.amdhsa_dx10_clamp 1
		.amdhsa_ieee_mode 1
		.amdhsa_fp16_overflow 0
		.amdhsa_tg_split 0
		.amdhsa_exception_fp_ieee_invalid_op 0
		.amdhsa_exception_fp_denorm_src 0
		.amdhsa_exception_fp_ieee_div_zero 0
		.amdhsa_exception_fp_ieee_overflow 0
		.amdhsa_exception_fp_ieee_underflow 0
		.amdhsa_exception_fp_ieee_inexact 0
		.amdhsa_exception_int_div_zero 0
	.end_amdhsa_kernel
	.section	.text._ZN2at6native27unrolled_elementwise_kernelIZZZNS0_12prelu_kernelERNS_14TensorIteratorEENKUlvE_clEvENKUlvE1_clEvEUlN3c108BFloat16ES7_E_St5arrayIPcLm3EELi4E23TrivialOffsetCalculatorILi2EjESC_ILi1EjENS0_6memory15LoadWithoutCastENSF_16StoreWithoutCastEEEviT_T0_T2_T3_T4_T5_,"axG",@progbits,_ZN2at6native27unrolled_elementwise_kernelIZZZNS0_12prelu_kernelERNS_14TensorIteratorEENKUlvE_clEvENKUlvE1_clEvEUlN3c108BFloat16ES7_E_St5arrayIPcLm3EELi4E23TrivialOffsetCalculatorILi2EjESC_ILi1EjENS0_6memory15LoadWithoutCastENSF_16StoreWithoutCastEEEviT_T0_T2_T3_T4_T5_,comdat
.Lfunc_end45:
	.size	_ZN2at6native27unrolled_elementwise_kernelIZZZNS0_12prelu_kernelERNS_14TensorIteratorEENKUlvE_clEvENKUlvE1_clEvEUlN3c108BFloat16ES7_E_St5arrayIPcLm3EELi4E23TrivialOffsetCalculatorILi2EjESC_ILi1EjENS0_6memory15LoadWithoutCastENSF_16StoreWithoutCastEEEviT_T0_T2_T3_T4_T5_, .Lfunc_end45-_ZN2at6native27unrolled_elementwise_kernelIZZZNS0_12prelu_kernelERNS_14TensorIteratorEENKUlvE_clEvENKUlvE1_clEvEUlN3c108BFloat16ES7_E_St5arrayIPcLm3EELi4E23TrivialOffsetCalculatorILi2EjESC_ILi1EjENS0_6memory15LoadWithoutCastENSF_16StoreWithoutCastEEEviT_T0_T2_T3_T4_T5_
                                        ; -- End function
	.section	.AMDGPU.csdata,"",@progbits
; Kernel info:
; codeLenInByte = 1208
; NumSgprs: 16
; NumVgprs: 14
; NumAgprs: 0
; TotalNumVgprs: 14
; ScratchSize: 0
; MemoryBound: 0
; FloatMode: 240
; IeeeMode: 1
; LDSByteSize: 0 bytes/workgroup (compile time only)
; SGPRBlocks: 1
; VGPRBlocks: 1
; NumSGPRsForWavesPerEU: 16
; NumVGPRsForWavesPerEU: 14
; AccumOffset: 16
; Occupancy: 8
; WaveLimiterHint : 0
; COMPUTE_PGM_RSRC2:SCRATCH_EN: 0
; COMPUTE_PGM_RSRC2:USER_SGPR: 6
; COMPUTE_PGM_RSRC2:TRAP_HANDLER: 0
; COMPUTE_PGM_RSRC2:TGID_X_EN: 1
; COMPUTE_PGM_RSRC2:TGID_Y_EN: 0
; COMPUTE_PGM_RSRC2:TGID_Z_EN: 0
; COMPUTE_PGM_RSRC2:TIDIG_COMP_CNT: 0
; COMPUTE_PGM_RSRC3_GFX90A:ACCUM_OFFSET: 3
; COMPUTE_PGM_RSRC3_GFX90A:TG_SPLIT: 0
	.section	.text._ZN2at6native32elementwise_kernel_manual_unrollILi128ELi8EZNS0_22gpu_kernel_impl_nocastIZZZNS0_12prelu_kernelERNS_14TensorIteratorEENKUlvE_clEvENKUlvE1_clEvEUlN3c108BFloat16ES8_E_EEvRNS_18TensorIteratorBaseERKT_EUlibE_EEviT1_,"axG",@progbits,_ZN2at6native32elementwise_kernel_manual_unrollILi128ELi8EZNS0_22gpu_kernel_impl_nocastIZZZNS0_12prelu_kernelERNS_14TensorIteratorEENKUlvE_clEvENKUlvE1_clEvEUlN3c108BFloat16ES8_E_EEvRNS_18TensorIteratorBaseERKT_EUlibE_EEviT1_,comdat
	.globl	_ZN2at6native32elementwise_kernel_manual_unrollILi128ELi8EZNS0_22gpu_kernel_impl_nocastIZZZNS0_12prelu_kernelERNS_14TensorIteratorEENKUlvE_clEvENKUlvE1_clEvEUlN3c108BFloat16ES8_E_EEvRNS_18TensorIteratorBaseERKT_EUlibE_EEviT1_ ; -- Begin function _ZN2at6native32elementwise_kernel_manual_unrollILi128ELi8EZNS0_22gpu_kernel_impl_nocastIZZZNS0_12prelu_kernelERNS_14TensorIteratorEENKUlvE_clEvENKUlvE1_clEvEUlN3c108BFloat16ES8_E_EEvRNS_18TensorIteratorBaseERKT_EUlibE_EEviT1_
	.p2align	8
	.type	_ZN2at6native32elementwise_kernel_manual_unrollILi128ELi8EZNS0_22gpu_kernel_impl_nocastIZZZNS0_12prelu_kernelERNS_14TensorIteratorEENKUlvE_clEvENKUlvE1_clEvEUlN3c108BFloat16ES8_E_EEvRNS_18TensorIteratorBaseERKT_EUlibE_EEviT1_,@function
_ZN2at6native32elementwise_kernel_manual_unrollILi128ELi8EZNS0_22gpu_kernel_impl_nocastIZZZNS0_12prelu_kernelERNS_14TensorIteratorEENKUlvE_clEvENKUlvE1_clEvEUlN3c108BFloat16ES8_E_EEvRNS_18TensorIteratorBaseERKT_EUlibE_EEviT1_: ; @_ZN2at6native32elementwise_kernel_manual_unrollILi128ELi8EZNS0_22gpu_kernel_impl_nocastIZZZNS0_12prelu_kernelERNS_14TensorIteratorEENKUlvE_clEvENKUlvE1_clEvEUlN3c108BFloat16ES8_E_EEvRNS_18TensorIteratorBaseERKT_EUlibE_EEviT1_
; %bb.0:
	s_load_dword s36, s[4:5], 0x0
	s_load_dword s33, s[4:5], 0x8
	s_or_b32 s4, s4, 8
	v_lshl_or_b32 v36, s6, 10, v0
	v_or_b32_e32 v48, 0x380, v36
	s_waitcnt lgkmcnt(0)
	v_cmp_le_i32_e32 vcc, s36, v48
	s_add_i32 s34, s33, -1
	s_cmp_gt_u32 s34, 1
	s_cselect_b64 s[6:7], -1, 0
	s_and_saveexec_b64 s[0:1], vcc
	s_xor_b64 s[16:17], exec, s[0:1]
	s_cbranch_execz .LBB46_114
; %bb.1:
	s_load_dwordx4 s[12:15], s[4:5], 0x4
	s_load_dwordx2 s[22:23], s[4:5], 0x14
	s_load_dwordx4 s[8:11], s[4:5], 0xc4
	s_load_dwordx2 s[20:21], s[4:5], 0xd4
	s_load_dwordx2 s[18:19], s[4:5], 0x198
	s_load_dwordx4 s[0:3], s[4:5], 0x188
	s_cmp_lg_u32 s33, 0
	s_cselect_b64 s[26:27], -1, 0
	s_min_u32 s35, s34, 15
	s_cmp_gt_u32 s33, 1
	s_cselect_b64 s[24:25], -1, 0
	v_cmp_gt_i32_e32 vcc, s36, v36
	s_and_saveexec_b64 s[28:29], vcc
	s_cbranch_execnz .LBB46_9
; %bb.2:
	s_or_b64 exec, exec, s[28:29]
	v_cmp_gt_i32_e32 vcc, s36, v36
	s_and_saveexec_b64 s[28:29], vcc
	s_cbranch_execnz .LBB46_22
.LBB46_3:
	s_or_b64 exec, exec, s[28:29]
	v_cmp_gt_i32_e32 vcc, s36, v36
	s_and_saveexec_b64 s[28:29], vcc
	s_cbranch_execnz .LBB46_35
.LBB46_4:
	s_or_b64 exec, exec, s[28:29]
	v_cmp_gt_i32_e32 vcc, s36, v36
	s_and_saveexec_b64 s[28:29], vcc
	s_cbranch_execnz .LBB46_48
.LBB46_5:
	s_or_b64 exec, exec, s[28:29]
	v_cmp_gt_i32_e32 vcc, s36, v36
	s_and_saveexec_b64 s[28:29], vcc
	s_cbranch_execnz .LBB46_61
.LBB46_6:
	s_or_b64 exec, exec, s[28:29]
	v_cmp_gt_i32_e32 vcc, s36, v36
	s_and_saveexec_b64 s[28:29], vcc
	s_cbranch_execnz .LBB46_74
.LBB46_7:
	s_or_b64 exec, exec, s[28:29]
	v_cmp_gt_i32_e32 vcc, s36, v36
	s_and_saveexec_b64 s[28:29], vcc
	s_cbranch_execnz .LBB46_87
.LBB46_8:
	s_or_b64 exec, exec, s[28:29]
	v_cmp_gt_i32_e32 vcc, s36, v36
	s_and_saveexec_b64 s[28:29], vcc
	s_cbranch_execnz .LBB46_100
	s_branch .LBB46_113
.LBB46_9:
	s_andn2_b64 vcc, exec, s[6:7]
	s_cbranch_vccnz .LBB46_16
; %bb.10:
	s_andn2_b64 vcc, exec, s[26:27]
	v_mov_b32_e32 v2, 0
	v_mov_b32_e32 v4, 0
	;; [unrolled: 1-line block ×3, first 2 shown]
	s_cbranch_vccnz .LBB46_15
; %bb.11:
	s_add_i32 s30, s35, 1
	s_and_b32 s37, s30, 30
	s_add_u32 s30, s4, 0xffffffec
	s_addc_u32 s31, s5, -1
	v_mov_b32_e32 v0, 0
	v_mov_b32_e32 v1, v36
	;; [unrolled: 1-line block ×4, first 2 shown]
.LBB46_12:                              ; =>This Inner Loop Header: Depth=1
	s_mov_b64 s[38:39], s[30:31]
	s_load_dwordx4 s[40:43], s[38:39], 0x18
	s_load_dwordx2 s[48:49], s[38:39], 0x28
	s_load_dwordx2 s[50:51], s[38:39], 0xe8
	s_load_dwordx4 s[44:47], s[38:39], 0xd8
	s_add_u32 s30, s38, 24
	s_waitcnt lgkmcnt(0)
	v_mul_hi_u32 v3, s41, v1
	v_add_u32_e32 v3, v1, v3
	v_lshrrev_b32_e32 v3, s42, v3
	v_mul_lo_u32 v5, v3, s40
	v_mul_hi_u32 v6, s48, v3
	v_sub_u32_e32 v1, v1, v5
	v_add_u32_e32 v5, v3, v6
	v_mul_lo_u32 v6, v1, s44
	v_mul_lo_u32 v7, v1, s45
	;; [unrolled: 1-line block ×3, first 2 shown]
	v_lshrrev_b32_e32 v1, s49, v5
	v_mul_lo_u32 v5, v1, s43
	v_sub_u32_e32 v3, v3, v5
	s_addc_u32 s31, s39, 0
	s_add_i32 s37, s37, -2
	v_mul_lo_u32 v5, v3, s47
	v_mul_lo_u32 v9, v3, s50
	;; [unrolled: 1-line block ×3, first 2 shown]
	s_cmp_lg_u32 s37, 0
	v_add3_u32 v0, v6, v0, v5
	v_add3_u32 v2, v8, v2, v3
	v_add3_u32 v4, v7, v4, v9
	s_cbranch_scc1 .LBB46_12
; %bb.13:
	s_bitcmp1_b32 s35, 0
	s_cselect_b64 s[38:39], -1, 0
	s_and_b64 vcc, exec, s[38:39]
	s_cbranch_vccnz .LBB46_15
; %bb.14:
	s_load_dwordx2 s[38:39], s[30:31], 0x18
	s_load_dword s37, s[30:31], 0x20
	s_load_dword s42, s[30:31], 0xe0
	s_load_dwordx2 s[40:41], s[30:31], 0xd8
	s_waitcnt lgkmcnt(0)
	v_mul_hi_u32 v3, s39, v1
	v_add_u32_e32 v3, v1, v3
	v_lshrrev_b32_e32 v3, s37, v3
	v_mul_lo_u32 v3, v3, s38
	v_sub_u32_e32 v3, v1, v3
	v_mad_u64_u32 v[0:1], s[30:31], v3, s40, v[0:1]
	v_mad_u64_u32 v[4:5], s[30:31], v3, s41, v[4:5]
	;; [unrolled: 1-line block ×3, first 2 shown]
.LBB46_15:
	s_cbranch_execz .LBB46_17
	s_branch .LBB46_19
.LBB46_16:
                                        ; implicit-def: $vgpr2
                                        ; implicit-def: $vgpr4
                                        ; implicit-def: $vgpr0
.LBB46_17:
	s_waitcnt lgkmcnt(0)
	v_mul_hi_u32 v0, s13, v36
	v_add_u32_e32 v0, v36, v0
	v_lshrrev_b32_e32 v1, s14, v0
	v_mul_lo_u32 v0, v1, s12
	v_sub_u32_e32 v3, v36, v0
	v_mul_lo_u32 v0, v3, s8
	v_mul_lo_u32 v2, v3, s10
	s_andn2_b64 vcc, exec, s[24:25]
	v_mul_lo_u32 v4, v3, s9
	s_cbranch_vccnz .LBB46_19
; %bb.18:
	v_mul_hi_u32 v3, s22, v1
	v_add_u32_e32 v3, v1, v3
	v_lshrrev_b32_e32 v3, s23, v3
	v_mul_lo_u32 v3, v3, s15
	v_sub_u32_e32 v3, v1, v3
	v_mad_u64_u32 v[0:1], s[30:31], v3, s11, v[0:1]
	v_mad_u64_u32 v[4:5], s[30:31], v3, s20, v[4:5]
	;; [unrolled: 1-line block ×3, first 2 shown]
.LBB46_19:
	s_waitcnt lgkmcnt(0)
	global_load_ushort v3, v4, s[2:3]
	s_waitcnt vmcnt(0)
	v_lshlrev_b32_e32 v1, 16, v3
	v_cmp_nlt_f32_e32 vcc, 0, v1
	s_and_saveexec_b64 s[30:31], vcc
	s_cbranch_execz .LBB46_21
; %bb.20:
	global_load_ushort v2, v2, s[18:19]
	s_movk_i32 s37, 0x7fff
	v_mov_b32_e32 v3, 0x7fc0
	s_waitcnt vmcnt(0)
	v_lshlrev_b32_e32 v2, 16, v2
	v_mul_f32_e32 v1, v1, v2
	v_bfe_u32 v2, v1, 16, 1
	v_add3_u32 v2, v1, v2, s37
	v_lshrrev_b32_e32 v2, 16, v2
	v_cmp_o_f32_e32 vcc, v1, v1
	v_cndmask_b32_e32 v3, v3, v2, vcc
.LBB46_21:
	s_or_b64 exec, exec, s[30:31]
	v_add_u32_e32 v36, 0x80, v36
	global_store_short v0, v3, s[0:1]
	s_or_b64 exec, exec, s[28:29]
	v_cmp_gt_i32_e32 vcc, s36, v36
	s_and_saveexec_b64 s[28:29], vcc
	s_cbranch_execz .LBB46_3
.LBB46_22:
	s_andn2_b64 vcc, exec, s[6:7]
	s_cbranch_vccnz .LBB46_29
; %bb.23:
	s_andn2_b64 vcc, exec, s[26:27]
	v_mov_b32_e32 v2, 0
	v_mov_b32_e32 v4, 0
	;; [unrolled: 1-line block ×3, first 2 shown]
	s_cbranch_vccnz .LBB46_28
; %bb.24:
	s_add_i32 s30, s35, 1
	s_and_b32 s37, s30, 30
	s_add_u32 s30, s4, 0xffffffec
	s_addc_u32 s31, s5, -1
	v_mov_b32_e32 v0, 0
	v_mov_b32_e32 v1, v36
	;; [unrolled: 1-line block ×4, first 2 shown]
.LBB46_25:                              ; =>This Inner Loop Header: Depth=1
	s_mov_b64 s[38:39], s[30:31]
	s_load_dwordx4 s[40:43], s[38:39], 0x18
	s_load_dwordx2 s[48:49], s[38:39], 0x28
	s_load_dwordx2 s[50:51], s[38:39], 0xe8
	s_load_dwordx4 s[44:47], s[38:39], 0xd8
	s_add_u32 s30, s38, 24
	s_waitcnt lgkmcnt(0)
	v_mul_hi_u32 v3, s41, v1
	v_add_u32_e32 v3, v1, v3
	v_lshrrev_b32_e32 v3, s42, v3
	v_mul_lo_u32 v5, v3, s40
	v_mul_hi_u32 v6, s48, v3
	v_sub_u32_e32 v1, v1, v5
	v_add_u32_e32 v5, v3, v6
	v_mul_lo_u32 v6, v1, s44
	v_mul_lo_u32 v7, v1, s45
	;; [unrolled: 1-line block ×3, first 2 shown]
	v_lshrrev_b32_e32 v1, s49, v5
	v_mul_lo_u32 v5, v1, s43
	v_sub_u32_e32 v3, v3, v5
	s_addc_u32 s31, s39, 0
	s_add_i32 s37, s37, -2
	v_mul_lo_u32 v5, v3, s47
	v_mul_lo_u32 v9, v3, s50
	;; [unrolled: 1-line block ×3, first 2 shown]
	s_cmp_eq_u32 s37, 0
	v_add3_u32 v0, v6, v0, v5
	v_add3_u32 v2, v8, v2, v3
	;; [unrolled: 1-line block ×3, first 2 shown]
	s_cbranch_scc0 .LBB46_25
; %bb.26:
	s_bitcmp1_b32 s35, 0
	s_cselect_b64 s[38:39], -1, 0
	s_and_b64 vcc, exec, s[38:39]
	s_cbranch_vccnz .LBB46_28
; %bb.27:
	s_load_dwordx2 s[38:39], s[30:31], 0x18
	s_load_dword s37, s[30:31], 0x20
	s_load_dword s42, s[30:31], 0xe0
	s_load_dwordx2 s[40:41], s[30:31], 0xd8
	s_waitcnt lgkmcnt(0)
	v_mul_hi_u32 v3, s39, v1
	v_add_u32_e32 v3, v1, v3
	v_lshrrev_b32_e32 v3, s37, v3
	v_mul_lo_u32 v3, v3, s38
	v_sub_u32_e32 v3, v1, v3
	v_mad_u64_u32 v[0:1], s[30:31], v3, s40, v[0:1]
	v_mad_u64_u32 v[4:5], s[30:31], v3, s41, v[4:5]
	;; [unrolled: 1-line block ×3, first 2 shown]
.LBB46_28:
	s_cbranch_execz .LBB46_30
	s_branch .LBB46_32
.LBB46_29:
                                        ; implicit-def: $vgpr2
                                        ; implicit-def: $vgpr4
                                        ; implicit-def: $vgpr0
.LBB46_30:
	s_waitcnt lgkmcnt(0)
	v_mul_hi_u32 v0, s13, v36
	v_add_u32_e32 v0, v36, v0
	v_lshrrev_b32_e32 v1, s14, v0
	v_mul_lo_u32 v0, v1, s12
	v_sub_u32_e32 v3, v36, v0
	v_mul_lo_u32 v0, v3, s8
	v_mul_lo_u32 v2, v3, s10
	s_andn2_b64 vcc, exec, s[24:25]
	v_mul_lo_u32 v4, v3, s9
	s_cbranch_vccnz .LBB46_32
; %bb.31:
	v_mul_hi_u32 v3, s22, v1
	v_add_u32_e32 v3, v1, v3
	v_lshrrev_b32_e32 v3, s23, v3
	v_mul_lo_u32 v3, v3, s15
	v_sub_u32_e32 v3, v1, v3
	v_mad_u64_u32 v[0:1], s[30:31], v3, s11, v[0:1]
	v_mad_u64_u32 v[4:5], s[30:31], v3, s20, v[4:5]
	;; [unrolled: 1-line block ×3, first 2 shown]
.LBB46_32:
	s_waitcnt lgkmcnt(0)
	global_load_ushort v3, v4, s[2:3]
	s_waitcnt vmcnt(0)
	v_lshlrev_b32_e32 v1, 16, v3
	v_cmp_nlt_f32_e32 vcc, 0, v1
	s_and_saveexec_b64 s[30:31], vcc
	s_cbranch_execz .LBB46_34
; %bb.33:
	global_load_ushort v2, v2, s[18:19]
	s_movk_i32 s37, 0x7fff
	v_mov_b32_e32 v3, 0x7fc0
	s_waitcnt vmcnt(0)
	v_lshlrev_b32_e32 v2, 16, v2
	v_mul_f32_e32 v1, v1, v2
	v_bfe_u32 v2, v1, 16, 1
	v_add3_u32 v2, v1, v2, s37
	v_lshrrev_b32_e32 v2, 16, v2
	v_cmp_o_f32_e32 vcc, v1, v1
	v_cndmask_b32_e32 v3, v3, v2, vcc
.LBB46_34:
	s_or_b64 exec, exec, s[30:31]
	v_add_u32_e32 v36, 0x80, v36
	global_store_short v0, v3, s[0:1]
	s_or_b64 exec, exec, s[28:29]
	v_cmp_gt_i32_e32 vcc, s36, v36
	s_and_saveexec_b64 s[28:29], vcc
	s_cbranch_execz .LBB46_4
.LBB46_35:
	s_andn2_b64 vcc, exec, s[6:7]
	s_cbranch_vccnz .LBB46_42
; %bb.36:
	s_andn2_b64 vcc, exec, s[26:27]
	v_mov_b32_e32 v2, 0
	v_mov_b32_e32 v4, 0
	;; [unrolled: 1-line block ×3, first 2 shown]
	s_cbranch_vccnz .LBB46_41
; %bb.37:
	s_add_i32 s30, s35, 1
	s_and_b32 s37, s30, 30
	s_add_u32 s30, s4, 0xffffffec
	s_addc_u32 s31, s5, -1
	v_mov_b32_e32 v0, 0
	v_mov_b32_e32 v1, v36
	v_mov_b32_e32 v4, 0
	v_mov_b32_e32 v2, 0
.LBB46_38:                              ; =>This Inner Loop Header: Depth=1
	s_mov_b64 s[38:39], s[30:31]
	s_load_dwordx4 s[40:43], s[38:39], 0x18
	s_load_dwordx2 s[48:49], s[38:39], 0x28
	s_load_dwordx2 s[50:51], s[38:39], 0xe8
	s_load_dwordx4 s[44:47], s[38:39], 0xd8
	s_add_u32 s30, s38, 24
	s_waitcnt lgkmcnt(0)
	v_mul_hi_u32 v3, s41, v1
	v_add_u32_e32 v3, v1, v3
	v_lshrrev_b32_e32 v3, s42, v3
	v_mul_lo_u32 v5, v3, s40
	v_mul_hi_u32 v6, s48, v3
	v_sub_u32_e32 v1, v1, v5
	v_add_u32_e32 v5, v3, v6
	v_mul_lo_u32 v6, v1, s44
	v_mul_lo_u32 v7, v1, s45
	;; [unrolled: 1-line block ×3, first 2 shown]
	v_lshrrev_b32_e32 v1, s49, v5
	v_mul_lo_u32 v5, v1, s43
	v_sub_u32_e32 v3, v3, v5
	s_addc_u32 s31, s39, 0
	s_add_i32 s37, s37, -2
	v_mul_lo_u32 v5, v3, s47
	v_mul_lo_u32 v9, v3, s50
	;; [unrolled: 1-line block ×3, first 2 shown]
	s_cmp_eq_u32 s37, 0
	v_add3_u32 v0, v6, v0, v5
	v_add3_u32 v2, v8, v2, v3
	;; [unrolled: 1-line block ×3, first 2 shown]
	s_cbranch_scc0 .LBB46_38
; %bb.39:
	s_bitcmp1_b32 s35, 0
	s_cselect_b64 s[38:39], -1, 0
	s_and_b64 vcc, exec, s[38:39]
	s_cbranch_vccnz .LBB46_41
; %bb.40:
	s_load_dwordx2 s[38:39], s[30:31], 0x18
	s_load_dword s37, s[30:31], 0x20
	s_load_dword s42, s[30:31], 0xe0
	s_load_dwordx2 s[40:41], s[30:31], 0xd8
	s_waitcnt lgkmcnt(0)
	v_mul_hi_u32 v3, s39, v1
	v_add_u32_e32 v3, v1, v3
	v_lshrrev_b32_e32 v3, s37, v3
	v_mul_lo_u32 v3, v3, s38
	v_sub_u32_e32 v3, v1, v3
	v_mad_u64_u32 v[0:1], s[30:31], v3, s40, v[0:1]
	v_mad_u64_u32 v[4:5], s[30:31], v3, s41, v[4:5]
	;; [unrolled: 1-line block ×3, first 2 shown]
.LBB46_41:
	s_cbranch_execz .LBB46_43
	s_branch .LBB46_45
.LBB46_42:
                                        ; implicit-def: $vgpr2
                                        ; implicit-def: $vgpr4
                                        ; implicit-def: $vgpr0
.LBB46_43:
	s_waitcnt lgkmcnt(0)
	v_mul_hi_u32 v0, s13, v36
	v_add_u32_e32 v0, v36, v0
	v_lshrrev_b32_e32 v1, s14, v0
	v_mul_lo_u32 v0, v1, s12
	v_sub_u32_e32 v3, v36, v0
	v_mul_lo_u32 v0, v3, s8
	v_mul_lo_u32 v2, v3, s10
	s_andn2_b64 vcc, exec, s[24:25]
	v_mul_lo_u32 v4, v3, s9
	s_cbranch_vccnz .LBB46_45
; %bb.44:
	v_mul_hi_u32 v3, s22, v1
	v_add_u32_e32 v3, v1, v3
	v_lshrrev_b32_e32 v3, s23, v3
	v_mul_lo_u32 v3, v3, s15
	v_sub_u32_e32 v3, v1, v3
	v_mad_u64_u32 v[0:1], s[30:31], v3, s11, v[0:1]
	v_mad_u64_u32 v[4:5], s[30:31], v3, s20, v[4:5]
	;; [unrolled: 1-line block ×3, first 2 shown]
.LBB46_45:
	s_waitcnt lgkmcnt(0)
	global_load_ushort v3, v4, s[2:3]
	s_waitcnt vmcnt(0)
	v_lshlrev_b32_e32 v1, 16, v3
	v_cmp_nlt_f32_e32 vcc, 0, v1
	s_and_saveexec_b64 s[30:31], vcc
	s_cbranch_execz .LBB46_47
; %bb.46:
	global_load_ushort v2, v2, s[18:19]
	s_movk_i32 s37, 0x7fff
	v_mov_b32_e32 v3, 0x7fc0
	s_waitcnt vmcnt(0)
	v_lshlrev_b32_e32 v2, 16, v2
	v_mul_f32_e32 v1, v1, v2
	v_bfe_u32 v2, v1, 16, 1
	v_add3_u32 v2, v1, v2, s37
	v_lshrrev_b32_e32 v2, 16, v2
	v_cmp_o_f32_e32 vcc, v1, v1
	v_cndmask_b32_e32 v3, v3, v2, vcc
.LBB46_47:
	s_or_b64 exec, exec, s[30:31]
	v_add_u32_e32 v36, 0x80, v36
	global_store_short v0, v3, s[0:1]
	s_or_b64 exec, exec, s[28:29]
	v_cmp_gt_i32_e32 vcc, s36, v36
	s_and_saveexec_b64 s[28:29], vcc
	s_cbranch_execz .LBB46_5
.LBB46_48:
	s_andn2_b64 vcc, exec, s[6:7]
	s_cbranch_vccnz .LBB46_55
; %bb.49:
	s_andn2_b64 vcc, exec, s[26:27]
	v_mov_b32_e32 v2, 0
	v_mov_b32_e32 v4, 0
	;; [unrolled: 1-line block ×3, first 2 shown]
	s_cbranch_vccnz .LBB46_54
; %bb.50:
	s_add_i32 s30, s35, 1
	s_and_b32 s37, s30, 30
	s_add_u32 s30, s4, 0xffffffec
	s_addc_u32 s31, s5, -1
	v_mov_b32_e32 v0, 0
	v_mov_b32_e32 v1, v36
	;; [unrolled: 1-line block ×4, first 2 shown]
.LBB46_51:                              ; =>This Inner Loop Header: Depth=1
	s_mov_b64 s[38:39], s[30:31]
	s_load_dwordx4 s[40:43], s[38:39], 0x18
	s_load_dwordx2 s[48:49], s[38:39], 0x28
	s_load_dwordx2 s[50:51], s[38:39], 0xe8
	s_load_dwordx4 s[44:47], s[38:39], 0xd8
	s_add_u32 s30, s38, 24
	s_waitcnt lgkmcnt(0)
	v_mul_hi_u32 v3, s41, v1
	v_add_u32_e32 v3, v1, v3
	v_lshrrev_b32_e32 v3, s42, v3
	v_mul_lo_u32 v5, v3, s40
	v_mul_hi_u32 v6, s48, v3
	v_sub_u32_e32 v1, v1, v5
	v_add_u32_e32 v5, v3, v6
	v_mul_lo_u32 v6, v1, s44
	v_mul_lo_u32 v7, v1, s45
	;; [unrolled: 1-line block ×3, first 2 shown]
	v_lshrrev_b32_e32 v1, s49, v5
	v_mul_lo_u32 v5, v1, s43
	v_sub_u32_e32 v3, v3, v5
	s_addc_u32 s31, s39, 0
	s_add_i32 s37, s37, -2
	v_mul_lo_u32 v5, v3, s47
	v_mul_lo_u32 v9, v3, s50
	;; [unrolled: 1-line block ×3, first 2 shown]
	s_cmp_eq_u32 s37, 0
	v_add3_u32 v0, v6, v0, v5
	v_add3_u32 v2, v8, v2, v3
	v_add3_u32 v4, v7, v4, v9
	s_cbranch_scc0 .LBB46_51
; %bb.52:
	s_bitcmp1_b32 s35, 0
	s_cselect_b64 s[38:39], -1, 0
	s_and_b64 vcc, exec, s[38:39]
	s_cbranch_vccnz .LBB46_54
; %bb.53:
	s_load_dwordx2 s[38:39], s[30:31], 0x18
	s_load_dword s37, s[30:31], 0x20
	s_load_dword s42, s[30:31], 0xe0
	s_load_dwordx2 s[40:41], s[30:31], 0xd8
	s_waitcnt lgkmcnt(0)
	v_mul_hi_u32 v3, s39, v1
	v_add_u32_e32 v3, v1, v3
	v_lshrrev_b32_e32 v3, s37, v3
	v_mul_lo_u32 v3, v3, s38
	v_sub_u32_e32 v3, v1, v3
	v_mad_u64_u32 v[0:1], s[30:31], v3, s40, v[0:1]
	v_mad_u64_u32 v[4:5], s[30:31], v3, s41, v[4:5]
	;; [unrolled: 1-line block ×3, first 2 shown]
.LBB46_54:
	s_cbranch_execz .LBB46_56
	s_branch .LBB46_58
.LBB46_55:
                                        ; implicit-def: $vgpr2
                                        ; implicit-def: $vgpr4
                                        ; implicit-def: $vgpr0
.LBB46_56:
	s_waitcnt lgkmcnt(0)
	v_mul_hi_u32 v0, s13, v36
	v_add_u32_e32 v0, v36, v0
	v_lshrrev_b32_e32 v1, s14, v0
	v_mul_lo_u32 v0, v1, s12
	v_sub_u32_e32 v3, v36, v0
	v_mul_lo_u32 v0, v3, s8
	v_mul_lo_u32 v2, v3, s10
	s_andn2_b64 vcc, exec, s[24:25]
	v_mul_lo_u32 v4, v3, s9
	s_cbranch_vccnz .LBB46_58
; %bb.57:
	v_mul_hi_u32 v3, s22, v1
	v_add_u32_e32 v3, v1, v3
	v_lshrrev_b32_e32 v3, s23, v3
	v_mul_lo_u32 v3, v3, s15
	v_sub_u32_e32 v3, v1, v3
	v_mad_u64_u32 v[0:1], s[30:31], v3, s11, v[0:1]
	v_mad_u64_u32 v[4:5], s[30:31], v3, s20, v[4:5]
	;; [unrolled: 1-line block ×3, first 2 shown]
.LBB46_58:
	s_waitcnt lgkmcnt(0)
	global_load_ushort v3, v4, s[2:3]
	s_waitcnt vmcnt(0)
	v_lshlrev_b32_e32 v1, 16, v3
	v_cmp_nlt_f32_e32 vcc, 0, v1
	s_and_saveexec_b64 s[30:31], vcc
	s_cbranch_execz .LBB46_60
; %bb.59:
	global_load_ushort v2, v2, s[18:19]
	s_movk_i32 s37, 0x7fff
	v_mov_b32_e32 v3, 0x7fc0
	s_waitcnt vmcnt(0)
	v_lshlrev_b32_e32 v2, 16, v2
	v_mul_f32_e32 v1, v1, v2
	v_bfe_u32 v2, v1, 16, 1
	v_add3_u32 v2, v1, v2, s37
	v_lshrrev_b32_e32 v2, 16, v2
	v_cmp_o_f32_e32 vcc, v1, v1
	v_cndmask_b32_e32 v3, v3, v2, vcc
.LBB46_60:
	s_or_b64 exec, exec, s[30:31]
	v_add_u32_e32 v36, 0x80, v36
	global_store_short v0, v3, s[0:1]
	s_or_b64 exec, exec, s[28:29]
	v_cmp_gt_i32_e32 vcc, s36, v36
	s_and_saveexec_b64 s[28:29], vcc
	s_cbranch_execz .LBB46_6
.LBB46_61:
	s_andn2_b64 vcc, exec, s[6:7]
	s_cbranch_vccnz .LBB46_68
; %bb.62:
	s_andn2_b64 vcc, exec, s[26:27]
	v_mov_b32_e32 v2, 0
	v_mov_b32_e32 v4, 0
	;; [unrolled: 1-line block ×3, first 2 shown]
	s_cbranch_vccnz .LBB46_67
; %bb.63:
	s_add_i32 s30, s35, 1
	s_and_b32 s37, s30, 30
	s_add_u32 s30, s4, 0xffffffec
	s_addc_u32 s31, s5, -1
	v_mov_b32_e32 v0, 0
	v_mov_b32_e32 v1, v36
	;; [unrolled: 1-line block ×4, first 2 shown]
.LBB46_64:                              ; =>This Inner Loop Header: Depth=1
	s_mov_b64 s[38:39], s[30:31]
	s_load_dwordx4 s[40:43], s[38:39], 0x18
	s_load_dwordx2 s[48:49], s[38:39], 0x28
	s_load_dwordx2 s[50:51], s[38:39], 0xe8
	s_load_dwordx4 s[44:47], s[38:39], 0xd8
	s_add_u32 s30, s38, 24
	s_waitcnt lgkmcnt(0)
	v_mul_hi_u32 v3, s41, v1
	v_add_u32_e32 v3, v1, v3
	v_lshrrev_b32_e32 v3, s42, v3
	v_mul_lo_u32 v5, v3, s40
	v_mul_hi_u32 v6, s48, v3
	v_sub_u32_e32 v1, v1, v5
	v_add_u32_e32 v5, v3, v6
	v_mul_lo_u32 v6, v1, s44
	v_mul_lo_u32 v7, v1, s45
	;; [unrolled: 1-line block ×3, first 2 shown]
	v_lshrrev_b32_e32 v1, s49, v5
	v_mul_lo_u32 v5, v1, s43
	v_sub_u32_e32 v3, v3, v5
	s_addc_u32 s31, s39, 0
	s_add_i32 s37, s37, -2
	v_mul_lo_u32 v5, v3, s47
	v_mul_lo_u32 v9, v3, s50
	;; [unrolled: 1-line block ×3, first 2 shown]
	s_cmp_eq_u32 s37, 0
	v_add3_u32 v0, v6, v0, v5
	v_add3_u32 v2, v8, v2, v3
	;; [unrolled: 1-line block ×3, first 2 shown]
	s_cbranch_scc0 .LBB46_64
; %bb.65:
	s_bitcmp1_b32 s35, 0
	s_cselect_b64 s[38:39], -1, 0
	s_and_b64 vcc, exec, s[38:39]
	s_cbranch_vccnz .LBB46_67
; %bb.66:
	s_load_dwordx2 s[38:39], s[30:31], 0x18
	s_load_dword s37, s[30:31], 0x20
	s_load_dword s42, s[30:31], 0xe0
	s_load_dwordx2 s[40:41], s[30:31], 0xd8
	s_waitcnt lgkmcnt(0)
	v_mul_hi_u32 v3, s39, v1
	v_add_u32_e32 v3, v1, v3
	v_lshrrev_b32_e32 v3, s37, v3
	v_mul_lo_u32 v3, v3, s38
	v_sub_u32_e32 v3, v1, v3
	v_mad_u64_u32 v[0:1], s[30:31], v3, s40, v[0:1]
	v_mad_u64_u32 v[4:5], s[30:31], v3, s41, v[4:5]
	v_mad_u64_u32 v[2:3], s[30:31], v3, s42, v[2:3]
.LBB46_67:
	s_cbranch_execz .LBB46_69
	s_branch .LBB46_71
.LBB46_68:
                                        ; implicit-def: $vgpr2
                                        ; implicit-def: $vgpr4
                                        ; implicit-def: $vgpr0
.LBB46_69:
	s_waitcnt lgkmcnt(0)
	v_mul_hi_u32 v0, s13, v36
	v_add_u32_e32 v0, v36, v0
	v_lshrrev_b32_e32 v1, s14, v0
	v_mul_lo_u32 v0, v1, s12
	v_sub_u32_e32 v3, v36, v0
	v_mul_lo_u32 v0, v3, s8
	v_mul_lo_u32 v2, v3, s10
	s_andn2_b64 vcc, exec, s[24:25]
	v_mul_lo_u32 v4, v3, s9
	s_cbranch_vccnz .LBB46_71
; %bb.70:
	v_mul_hi_u32 v3, s22, v1
	v_add_u32_e32 v3, v1, v3
	v_lshrrev_b32_e32 v3, s23, v3
	v_mul_lo_u32 v3, v3, s15
	v_sub_u32_e32 v3, v1, v3
	v_mad_u64_u32 v[0:1], s[30:31], v3, s11, v[0:1]
	v_mad_u64_u32 v[4:5], s[30:31], v3, s20, v[4:5]
	;; [unrolled: 1-line block ×3, first 2 shown]
.LBB46_71:
	s_waitcnt lgkmcnt(0)
	global_load_ushort v3, v4, s[2:3]
	s_waitcnt vmcnt(0)
	v_lshlrev_b32_e32 v1, 16, v3
	v_cmp_nlt_f32_e32 vcc, 0, v1
	s_and_saveexec_b64 s[30:31], vcc
	s_cbranch_execz .LBB46_73
; %bb.72:
	global_load_ushort v2, v2, s[18:19]
	s_movk_i32 s37, 0x7fff
	v_mov_b32_e32 v3, 0x7fc0
	s_waitcnt vmcnt(0)
	v_lshlrev_b32_e32 v2, 16, v2
	v_mul_f32_e32 v1, v1, v2
	v_bfe_u32 v2, v1, 16, 1
	v_add3_u32 v2, v1, v2, s37
	v_lshrrev_b32_e32 v2, 16, v2
	v_cmp_o_f32_e32 vcc, v1, v1
	v_cndmask_b32_e32 v3, v3, v2, vcc
.LBB46_73:
	s_or_b64 exec, exec, s[30:31]
	v_add_u32_e32 v36, 0x80, v36
	global_store_short v0, v3, s[0:1]
	s_or_b64 exec, exec, s[28:29]
	v_cmp_gt_i32_e32 vcc, s36, v36
	s_and_saveexec_b64 s[28:29], vcc
	s_cbranch_execz .LBB46_7
.LBB46_74:
	s_andn2_b64 vcc, exec, s[6:7]
	s_cbranch_vccnz .LBB46_81
; %bb.75:
	s_andn2_b64 vcc, exec, s[26:27]
	v_mov_b32_e32 v2, 0
	v_mov_b32_e32 v4, 0
	;; [unrolled: 1-line block ×3, first 2 shown]
	s_cbranch_vccnz .LBB46_80
; %bb.76:
	s_add_i32 s30, s35, 1
	s_and_b32 s37, s30, 30
	s_add_u32 s30, s4, 0xffffffec
	s_addc_u32 s31, s5, -1
	v_mov_b32_e32 v0, 0
	v_mov_b32_e32 v1, v36
	;; [unrolled: 1-line block ×4, first 2 shown]
.LBB46_77:                              ; =>This Inner Loop Header: Depth=1
	s_mov_b64 s[38:39], s[30:31]
	s_load_dwordx4 s[40:43], s[38:39], 0x18
	s_load_dwordx2 s[48:49], s[38:39], 0x28
	s_load_dwordx2 s[50:51], s[38:39], 0xe8
	s_load_dwordx4 s[44:47], s[38:39], 0xd8
	s_add_u32 s30, s38, 24
	s_waitcnt lgkmcnt(0)
	v_mul_hi_u32 v3, s41, v1
	v_add_u32_e32 v3, v1, v3
	v_lshrrev_b32_e32 v3, s42, v3
	v_mul_lo_u32 v5, v3, s40
	v_mul_hi_u32 v6, s48, v3
	v_sub_u32_e32 v1, v1, v5
	v_add_u32_e32 v5, v3, v6
	v_mul_lo_u32 v6, v1, s44
	v_mul_lo_u32 v7, v1, s45
	;; [unrolled: 1-line block ×3, first 2 shown]
	v_lshrrev_b32_e32 v1, s49, v5
	v_mul_lo_u32 v5, v1, s43
	v_sub_u32_e32 v3, v3, v5
	s_addc_u32 s31, s39, 0
	s_add_i32 s37, s37, -2
	v_mul_lo_u32 v5, v3, s47
	v_mul_lo_u32 v9, v3, s50
	;; [unrolled: 1-line block ×3, first 2 shown]
	s_cmp_eq_u32 s37, 0
	v_add3_u32 v0, v6, v0, v5
	v_add3_u32 v2, v8, v2, v3
	;; [unrolled: 1-line block ×3, first 2 shown]
	s_cbranch_scc0 .LBB46_77
; %bb.78:
	s_bitcmp1_b32 s35, 0
	s_cselect_b64 s[38:39], -1, 0
	s_and_b64 vcc, exec, s[38:39]
	s_cbranch_vccnz .LBB46_80
; %bb.79:
	s_load_dwordx2 s[38:39], s[30:31], 0x18
	s_load_dword s37, s[30:31], 0x20
	s_load_dword s42, s[30:31], 0xe0
	s_load_dwordx2 s[40:41], s[30:31], 0xd8
	s_waitcnt lgkmcnt(0)
	v_mul_hi_u32 v3, s39, v1
	v_add_u32_e32 v3, v1, v3
	v_lshrrev_b32_e32 v3, s37, v3
	v_mul_lo_u32 v3, v3, s38
	v_sub_u32_e32 v3, v1, v3
	v_mad_u64_u32 v[0:1], s[30:31], v3, s40, v[0:1]
	v_mad_u64_u32 v[4:5], s[30:31], v3, s41, v[4:5]
	;; [unrolled: 1-line block ×3, first 2 shown]
.LBB46_80:
	s_cbranch_execz .LBB46_82
	s_branch .LBB46_84
.LBB46_81:
                                        ; implicit-def: $vgpr2
                                        ; implicit-def: $vgpr4
                                        ; implicit-def: $vgpr0
.LBB46_82:
	s_waitcnt lgkmcnt(0)
	v_mul_hi_u32 v0, s13, v36
	v_add_u32_e32 v0, v36, v0
	v_lshrrev_b32_e32 v1, s14, v0
	v_mul_lo_u32 v0, v1, s12
	v_sub_u32_e32 v3, v36, v0
	v_mul_lo_u32 v0, v3, s8
	v_mul_lo_u32 v2, v3, s10
	s_andn2_b64 vcc, exec, s[24:25]
	v_mul_lo_u32 v4, v3, s9
	s_cbranch_vccnz .LBB46_84
; %bb.83:
	v_mul_hi_u32 v3, s22, v1
	v_add_u32_e32 v3, v1, v3
	v_lshrrev_b32_e32 v3, s23, v3
	v_mul_lo_u32 v3, v3, s15
	v_sub_u32_e32 v3, v1, v3
	v_mad_u64_u32 v[0:1], s[30:31], v3, s11, v[0:1]
	v_mad_u64_u32 v[4:5], s[30:31], v3, s20, v[4:5]
	;; [unrolled: 1-line block ×3, first 2 shown]
.LBB46_84:
	s_waitcnt lgkmcnt(0)
	global_load_ushort v3, v4, s[2:3]
	s_waitcnt vmcnt(0)
	v_lshlrev_b32_e32 v1, 16, v3
	v_cmp_nlt_f32_e32 vcc, 0, v1
	s_and_saveexec_b64 s[30:31], vcc
	s_cbranch_execz .LBB46_86
; %bb.85:
	global_load_ushort v2, v2, s[18:19]
	s_movk_i32 s37, 0x7fff
	v_mov_b32_e32 v3, 0x7fc0
	s_waitcnt vmcnt(0)
	v_lshlrev_b32_e32 v2, 16, v2
	v_mul_f32_e32 v1, v1, v2
	v_bfe_u32 v2, v1, 16, 1
	v_add3_u32 v2, v1, v2, s37
	v_lshrrev_b32_e32 v2, 16, v2
	v_cmp_o_f32_e32 vcc, v1, v1
	v_cndmask_b32_e32 v3, v3, v2, vcc
.LBB46_86:
	s_or_b64 exec, exec, s[30:31]
	v_add_u32_e32 v36, 0x80, v36
	global_store_short v0, v3, s[0:1]
	s_or_b64 exec, exec, s[28:29]
	v_cmp_gt_i32_e32 vcc, s36, v36
	s_and_saveexec_b64 s[28:29], vcc
	s_cbranch_execz .LBB46_8
.LBB46_87:
	s_andn2_b64 vcc, exec, s[6:7]
	s_cbranch_vccnz .LBB46_94
; %bb.88:
	s_andn2_b64 vcc, exec, s[26:27]
	v_mov_b32_e32 v2, 0
	v_mov_b32_e32 v4, 0
	;; [unrolled: 1-line block ×3, first 2 shown]
	s_cbranch_vccnz .LBB46_93
; %bb.89:
	s_add_i32 s30, s35, 1
	s_and_b32 s37, s30, 30
	s_add_u32 s30, s4, 0xffffffec
	s_addc_u32 s31, s5, -1
	v_mov_b32_e32 v0, 0
	v_mov_b32_e32 v1, v36
	;; [unrolled: 1-line block ×4, first 2 shown]
.LBB46_90:                              ; =>This Inner Loop Header: Depth=1
	s_mov_b64 s[38:39], s[30:31]
	s_load_dwordx4 s[40:43], s[38:39], 0x18
	s_load_dwordx2 s[48:49], s[38:39], 0x28
	s_load_dwordx2 s[50:51], s[38:39], 0xe8
	s_load_dwordx4 s[44:47], s[38:39], 0xd8
	s_add_u32 s30, s38, 24
	s_waitcnt lgkmcnt(0)
	v_mul_hi_u32 v3, s41, v1
	v_add_u32_e32 v3, v1, v3
	v_lshrrev_b32_e32 v3, s42, v3
	v_mul_lo_u32 v5, v3, s40
	v_mul_hi_u32 v6, s48, v3
	v_sub_u32_e32 v1, v1, v5
	v_add_u32_e32 v5, v3, v6
	v_mul_lo_u32 v6, v1, s44
	v_mul_lo_u32 v7, v1, s45
	;; [unrolled: 1-line block ×3, first 2 shown]
	v_lshrrev_b32_e32 v1, s49, v5
	v_mul_lo_u32 v5, v1, s43
	v_sub_u32_e32 v3, v3, v5
	s_addc_u32 s31, s39, 0
	s_add_i32 s37, s37, -2
	v_mul_lo_u32 v5, v3, s47
	v_mul_lo_u32 v9, v3, s50
	;; [unrolled: 1-line block ×3, first 2 shown]
	s_cmp_eq_u32 s37, 0
	v_add3_u32 v0, v6, v0, v5
	v_add3_u32 v2, v8, v2, v3
	;; [unrolled: 1-line block ×3, first 2 shown]
	s_cbranch_scc0 .LBB46_90
; %bb.91:
	s_bitcmp1_b32 s35, 0
	s_cselect_b64 s[38:39], -1, 0
	s_and_b64 vcc, exec, s[38:39]
	s_cbranch_vccnz .LBB46_93
; %bb.92:
	s_load_dwordx2 s[38:39], s[30:31], 0x18
	s_load_dword s37, s[30:31], 0x20
	s_load_dword s42, s[30:31], 0xe0
	s_load_dwordx2 s[40:41], s[30:31], 0xd8
	s_waitcnt lgkmcnt(0)
	v_mul_hi_u32 v3, s39, v1
	v_add_u32_e32 v3, v1, v3
	v_lshrrev_b32_e32 v3, s37, v3
	v_mul_lo_u32 v3, v3, s38
	v_sub_u32_e32 v3, v1, v3
	v_mad_u64_u32 v[0:1], s[30:31], v3, s40, v[0:1]
	v_mad_u64_u32 v[4:5], s[30:31], v3, s41, v[4:5]
	;; [unrolled: 1-line block ×3, first 2 shown]
.LBB46_93:
	s_cbranch_execz .LBB46_95
	s_branch .LBB46_97
.LBB46_94:
                                        ; implicit-def: $vgpr2
                                        ; implicit-def: $vgpr4
                                        ; implicit-def: $vgpr0
.LBB46_95:
	s_waitcnt lgkmcnt(0)
	v_mul_hi_u32 v0, s13, v36
	v_add_u32_e32 v0, v36, v0
	v_lshrrev_b32_e32 v1, s14, v0
	v_mul_lo_u32 v0, v1, s12
	v_sub_u32_e32 v3, v36, v0
	v_mul_lo_u32 v0, v3, s8
	v_mul_lo_u32 v2, v3, s10
	s_andn2_b64 vcc, exec, s[24:25]
	v_mul_lo_u32 v4, v3, s9
	s_cbranch_vccnz .LBB46_97
; %bb.96:
	v_mul_hi_u32 v3, s22, v1
	v_add_u32_e32 v3, v1, v3
	v_lshrrev_b32_e32 v3, s23, v3
	v_mul_lo_u32 v3, v3, s15
	v_sub_u32_e32 v3, v1, v3
	v_mad_u64_u32 v[0:1], s[30:31], v3, s11, v[0:1]
	v_mad_u64_u32 v[4:5], s[30:31], v3, s20, v[4:5]
	;; [unrolled: 1-line block ×3, first 2 shown]
.LBB46_97:
	s_waitcnt lgkmcnt(0)
	global_load_ushort v3, v4, s[2:3]
	s_waitcnt vmcnt(0)
	v_lshlrev_b32_e32 v1, 16, v3
	v_cmp_nlt_f32_e32 vcc, 0, v1
	s_and_saveexec_b64 s[30:31], vcc
	s_cbranch_execz .LBB46_99
; %bb.98:
	global_load_ushort v2, v2, s[18:19]
	s_movk_i32 s37, 0x7fff
	v_mov_b32_e32 v3, 0x7fc0
	s_waitcnt vmcnt(0)
	v_lshlrev_b32_e32 v2, 16, v2
	v_mul_f32_e32 v1, v1, v2
	v_bfe_u32 v2, v1, 16, 1
	v_add3_u32 v2, v1, v2, s37
	v_lshrrev_b32_e32 v2, 16, v2
	v_cmp_o_f32_e32 vcc, v1, v1
	v_cndmask_b32_e32 v3, v3, v2, vcc
.LBB46_99:
	s_or_b64 exec, exec, s[30:31]
	v_add_u32_e32 v36, 0x80, v36
	global_store_short v0, v3, s[0:1]
	s_or_b64 exec, exec, s[28:29]
	v_cmp_gt_i32_e32 vcc, s36, v36
	s_and_saveexec_b64 s[28:29], vcc
	s_cbranch_execz .LBB46_113
.LBB46_100:
	s_andn2_b64 vcc, exec, s[6:7]
	s_cbranch_vccnz .LBB46_107
; %bb.101:
	s_andn2_b64 vcc, exec, s[26:27]
	v_mov_b32_e32 v2, 0
	v_mov_b32_e32 v4, 0
	;; [unrolled: 1-line block ×3, first 2 shown]
	s_cbranch_vccnz .LBB46_106
; %bb.102:
	s_add_i32 s26, s35, 1
	s_and_b32 s30, s26, 30
	s_add_u32 s26, s4, 0xffffffec
	s_addc_u32 s27, s5, -1
	v_mov_b32_e32 v0, 0
	v_mov_b32_e32 v1, v36
	;; [unrolled: 1-line block ×4, first 2 shown]
.LBB46_103:                             ; =>This Inner Loop Header: Depth=1
	s_mov_b64 s[44:45], s[26:27]
	s_load_dwordx4 s[36:39], s[44:45], 0x18
	s_load_dwordx2 s[46:47], s[44:45], 0x28
	s_load_dwordx2 s[48:49], s[44:45], 0xe8
	s_load_dwordx4 s[40:43], s[44:45], 0xd8
	s_add_u32 s26, s44, 24
	s_waitcnt lgkmcnt(0)
	v_mul_hi_u32 v3, s37, v1
	v_add_u32_e32 v3, v1, v3
	v_lshrrev_b32_e32 v3, s38, v3
	v_mul_lo_u32 v5, v3, s36
	v_mul_hi_u32 v6, s46, v3
	v_sub_u32_e32 v1, v1, v5
	v_add_u32_e32 v5, v3, v6
	v_mul_lo_u32 v6, v1, s40
	v_mul_lo_u32 v7, v1, s41
	;; [unrolled: 1-line block ×3, first 2 shown]
	v_lshrrev_b32_e32 v1, s47, v5
	v_mul_lo_u32 v5, v1, s39
	v_sub_u32_e32 v3, v3, v5
	s_addc_u32 s27, s45, 0
	s_add_i32 s30, s30, -2
	v_mul_lo_u32 v5, v3, s43
	v_mul_lo_u32 v9, v3, s48
	;; [unrolled: 1-line block ×3, first 2 shown]
	s_cmp_eq_u32 s30, 0
	v_add3_u32 v0, v6, v0, v5
	v_add3_u32 v2, v8, v2, v3
	;; [unrolled: 1-line block ×3, first 2 shown]
	s_cbranch_scc0 .LBB46_103
; %bb.104:
	s_bitcmp1_b32 s35, 0
	s_cselect_b64 s[30:31], -1, 0
	s_and_b64 vcc, exec, s[30:31]
	s_cbranch_vccnz .LBB46_106
; %bb.105:
	s_load_dwordx2 s[30:31], s[26:27], 0x18
	s_load_dword s35, s[26:27], 0x20
	s_load_dword s38, s[26:27], 0xe0
	s_load_dwordx2 s[36:37], s[26:27], 0xd8
	s_waitcnt lgkmcnt(0)
	v_mul_hi_u32 v3, s31, v1
	v_add_u32_e32 v3, v1, v3
	v_lshrrev_b32_e32 v3, s35, v3
	v_mul_lo_u32 v3, v3, s30
	v_sub_u32_e32 v3, v1, v3
	v_mad_u64_u32 v[0:1], s[26:27], v3, s36, v[0:1]
	v_mad_u64_u32 v[4:5], s[26:27], v3, s37, v[4:5]
	v_mad_u64_u32 v[2:3], s[26:27], v3, s38, v[2:3]
.LBB46_106:
	s_cbranch_execz .LBB46_108
	s_branch .LBB46_110
.LBB46_107:
                                        ; implicit-def: $vgpr2
                                        ; implicit-def: $vgpr4
                                        ; implicit-def: $vgpr0
.LBB46_108:
	s_waitcnt lgkmcnt(0)
	v_mul_hi_u32 v0, s13, v36
	v_add_u32_e32 v0, v36, v0
	v_lshrrev_b32_e32 v1, s14, v0
	v_mul_lo_u32 v0, v1, s12
	v_sub_u32_e32 v3, v36, v0
	v_mul_lo_u32 v0, v3, s8
	v_mul_lo_u32 v2, v3, s10
	s_andn2_b64 vcc, exec, s[24:25]
	v_mul_lo_u32 v4, v3, s9
	s_cbranch_vccnz .LBB46_110
; %bb.109:
	v_mul_hi_u32 v3, s22, v1
	v_add_u32_e32 v3, v1, v3
	v_lshrrev_b32_e32 v3, s23, v3
	v_mul_lo_u32 v3, v3, s15
	v_sub_u32_e32 v3, v1, v3
	v_mad_u64_u32 v[0:1], s[8:9], v3, s11, v[0:1]
	v_mad_u64_u32 v[4:5], s[8:9], v3, s20, v[4:5]
	;; [unrolled: 1-line block ×3, first 2 shown]
.LBB46_110:
	s_waitcnt lgkmcnt(0)
	global_load_ushort v3, v4, s[2:3]
	s_waitcnt vmcnt(0)
	v_lshlrev_b32_e32 v1, 16, v3
	v_cmp_nlt_f32_e32 vcc, 0, v1
	s_and_saveexec_b64 s[2:3], vcc
	s_cbranch_execz .LBB46_112
; %bb.111:
	global_load_ushort v2, v2, s[18:19]
	s_movk_i32 s8, 0x7fff
	v_mov_b32_e32 v3, 0x7fc0
	s_waitcnt vmcnt(0)
	v_lshlrev_b32_e32 v2, 16, v2
	v_mul_f32_e32 v1, v1, v2
	v_bfe_u32 v2, v1, 16, 1
	v_add3_u32 v2, v1, v2, s8
	v_lshrrev_b32_e32 v2, 16, v2
	v_cmp_o_f32_e32 vcc, v1, v1
	v_cndmask_b32_e32 v3, v3, v2, vcc
.LBB46_112:
	s_or_b64 exec, exec, s[2:3]
	global_store_short v0, v3, s[0:1]
.LBB46_113:
	s_or_b64 exec, exec, s[28:29]
                                        ; implicit-def: $vgpr48
                                        ; implicit-def: $vgpr36
.LBB46_114:
	s_waitcnt lgkmcnt(0)
	s_andn2_saveexec_b64 s[0:1], s[16:17]
	s_cbranch_execz .LBB46_121
; %bb.115:
	v_cndmask_b32_e64 v0, 0, 1, s[6:7]
	v_cmp_ne_u32_e64 s[0:1], 1, v0
	s_andn2_b64 vcc, exec, s[6:7]
	s_cbranch_vccnz .LBB46_122
; %bb.116:
	s_cmp_lg_u32 s33, 0
	v_mov_b32_e32 v4, 0
	v_mov_b32_e32 v6, 0
	v_mov_b32_e32 v0, 0
	s_cbranch_scc0 .LBB46_123
; %bb.117:
	s_min_u32 s6, s34, 15
	s_add_i32 s2, s6, 1
	s_and_b32 s7, s2, 30
	s_add_u32 s2, s4, 0xffffffec
	s_addc_u32 s3, s5, -1
	v_mov_b32_e32 v0, 0
	v_mov_b32_e32 v1, v36
	;; [unrolled: 1-line block ×4, first 2 shown]
.LBB46_118:                             ; =>This Inner Loop Header: Depth=1
	s_mov_b64 s[16:17], s[2:3]
	s_load_dwordx4 s[8:11], s[16:17], 0x18
	s_load_dwordx2 s[18:19], s[16:17], 0x28
	s_load_dwordx2 s[20:21], s[16:17], 0xe8
	s_load_dwordx4 s[12:15], s[16:17], 0xd8
	s_add_u32 s2, s16, 24
	s_waitcnt lgkmcnt(0)
	v_mul_hi_u32 v2, s9, v1
	v_add_u32_e32 v2, v1, v2
	v_lshrrev_b32_e32 v2, s10, v2
	v_mul_lo_u32 v3, v2, s8
	v_mul_hi_u32 v5, s18, v2
	v_sub_u32_e32 v1, v1, v3
	v_add_u32_e32 v3, v2, v5
	v_mul_lo_u32 v5, v1, s12
	v_mul_lo_u32 v7, v1, s13
	;; [unrolled: 1-line block ×3, first 2 shown]
	v_lshrrev_b32_e32 v1, s19, v3
	v_mul_lo_u32 v3, v1, s11
	v_sub_u32_e32 v2, v2, v3
	s_addc_u32 s3, s17, 0
	s_add_i32 s7, s7, -2
	v_mul_lo_u32 v3, v2, s15
	v_mul_lo_u32 v9, v2, s20
	;; [unrolled: 1-line block ×3, first 2 shown]
	s_cmp_lg_u32 s7, 0
	v_add3_u32 v0, v5, v0, v3
	v_add3_u32 v4, v8, v4, v2
	;; [unrolled: 1-line block ×3, first 2 shown]
	s_cbranch_scc1 .LBB46_118
; %bb.119:
	s_bitcmp1_b32 s6, 0
	s_cselect_b64 s[6:7], -1, 0
	s_and_b64 vcc, exec, s[6:7]
	s_cbranch_vccnz .LBB46_123
; %bb.120:
	s_load_dwordx2 s[6:7], s[2:3], 0x18
	s_load_dword s10, s[2:3], 0x20
	s_load_dword s11, s[2:3], 0xe0
	s_load_dwordx2 s[8:9], s[2:3], 0xd8
	s_waitcnt lgkmcnt(0)
	v_mul_hi_u32 v2, s7, v1
	v_add_u32_e32 v2, v1, v2
	v_lshrrev_b32_e32 v2, s10, v2
	v_mul_lo_u32 v2, v2, s6
	v_sub_u32_e32 v2, v1, v2
	v_mad_u64_u32 v[0:1], s[2:3], v2, s8, v[0:1]
	v_mad_u64_u32 v[6:7], s[2:3], v2, s9, v[6:7]
	;; [unrolled: 1-line block ×3, first 2 shown]
	s_cbranch_execz .LBB46_124
	s_branch .LBB46_126
.LBB46_121:
	s_endpgm
.LBB46_122:
                                        ; implicit-def: $vgpr4
                                        ; implicit-def: $vgpr6
                                        ; implicit-def: $vgpr0
	s_branch .LBB46_124
.LBB46_123:
	s_cbranch_execnz .LBB46_126
.LBB46_124:
	s_load_dwordx4 s[8:11], s[4:5], 0x4
	s_load_dwordx4 s[12:15], s[4:5], 0xc4
	s_cmp_lt_u32 s33, 2
	s_waitcnt lgkmcnt(0)
	v_mul_hi_u32 v0, s9, v36
	v_add_u32_e32 v0, v36, v0
	v_lshrrev_b32_e32 v1, s10, v0
	v_mul_lo_u32 v0, v1, s8
	v_sub_u32_e32 v2, v36, v0
	v_mul_lo_u32 v0, v2, s12
	v_mul_lo_u32 v4, v2, s14
	;; [unrolled: 1-line block ×3, first 2 shown]
	s_cbranch_scc1 .LBB46_126
; %bb.125:
	s_load_dwordx4 s[8:11], s[4:5], 0x10
	s_load_dwordx4 s[12:15], s[4:5], 0xd0
	s_waitcnt lgkmcnt(0)
	v_mul_hi_u32 v2, s9, v1
	v_add_u32_e32 v2, v1, v2
	v_lshrrev_b32_e32 v2, s10, v2
	v_mul_lo_u32 v2, v2, s8
	v_sub_u32_e32 v2, v1, v2
	v_mad_u64_u32 v[0:1], s[2:3], v2, s12, v[0:1]
	v_mad_u64_u32 v[6:7], s[2:3], v2, s13, v[6:7]
	;; [unrolled: 1-line block ×3, first 2 shown]
.LBB46_126:
	s_and_b64 vcc, exec, s[0:1]
	v_add_u32_e32 v1, 0x80, v36
	s_cbranch_vccnz .LBB46_132
; %bb.127:
	s_cmp_lg_u32 s33, 0
	v_mov_b32_e32 v8, 0
	v_mov_b32_e32 v10, 0
	;; [unrolled: 1-line block ×3, first 2 shown]
	s_cbranch_scc0 .LBB46_133
; %bb.128:
	s_min_u32 s6, s34, 15
	s_add_i32 s2, s6, 1
	s_and_b32 s7, s2, 30
	s_add_u32 s2, s4, 0xffffffec
	s_addc_u32 s3, s5, -1
	v_mov_b32_e32 v2, 0
	v_mov_b32_e32 v3, v1
	;; [unrolled: 1-line block ×4, first 2 shown]
.LBB46_129:                             ; =>This Inner Loop Header: Depth=1
	s_mov_b64 s[16:17], s[2:3]
	s_load_dwordx4 s[8:11], s[16:17], 0x18
	s_load_dwordx2 s[18:19], s[16:17], 0x28
	s_load_dwordx2 s[20:21], s[16:17], 0xe8
	s_load_dwordx4 s[12:15], s[16:17], 0xd8
	s_add_u32 s2, s16, 24
	s_waitcnt lgkmcnt(0)
	v_mul_hi_u32 v5, s9, v3
	v_add_u32_e32 v5, v3, v5
	v_lshrrev_b32_e32 v5, s10, v5
	v_mul_lo_u32 v7, v5, s8
	v_mul_hi_u32 v9, s18, v5
	v_sub_u32_e32 v3, v3, v7
	v_add_u32_e32 v7, v5, v9
	v_mul_lo_u32 v9, v3, s12
	v_mul_lo_u32 v11, v3, s13
	;; [unrolled: 1-line block ×3, first 2 shown]
	v_lshrrev_b32_e32 v3, s19, v7
	v_mul_lo_u32 v7, v3, s11
	v_sub_u32_e32 v5, v5, v7
	s_addc_u32 s3, s17, 0
	s_add_i32 s7, s7, -2
	v_mul_lo_u32 v7, v5, s15
	v_mul_lo_u32 v13, v5, s20
	;; [unrolled: 1-line block ×3, first 2 shown]
	s_cmp_lg_u32 s7, 0
	v_add3_u32 v2, v9, v2, v7
	v_add3_u32 v8, v12, v8, v5
	;; [unrolled: 1-line block ×3, first 2 shown]
	s_cbranch_scc1 .LBB46_129
; %bb.130:
	s_bitcmp1_b32 s6, 0
	s_cselect_b64 s[6:7], -1, 0
	s_and_b64 vcc, exec, s[6:7]
	s_cbranch_vccnz .LBB46_133
; %bb.131:
	s_load_dwordx2 s[6:7], s[2:3], 0x18
	s_load_dword s10, s[2:3], 0x20
	s_load_dword s11, s[2:3], 0xe0
	s_load_dwordx2 s[8:9], s[2:3], 0xd8
	s_waitcnt lgkmcnt(0)
	v_mul_hi_u32 v5, s7, v3
	v_add_u32_e32 v5, v3, v5
	v_lshrrev_b32_e32 v5, s10, v5
	v_mul_lo_u32 v5, v5, s6
	v_sub_u32_e32 v5, v3, v5
	v_mad_u64_u32 v[2:3], s[2:3], v5, s8, v[2:3]
	v_mad_u64_u32 v[10:11], s[2:3], v5, s9, v[10:11]
	;; [unrolled: 1-line block ×3, first 2 shown]
	s_cbranch_execz .LBB46_134
	s_branch .LBB46_136
.LBB46_132:
                                        ; implicit-def: $vgpr8
                                        ; implicit-def: $vgpr10
                                        ; implicit-def: $vgpr2
	s_branch .LBB46_134
.LBB46_133:
	s_cbranch_execnz .LBB46_136
.LBB46_134:
	s_load_dwordx4 s[8:11], s[4:5], 0x4
	s_load_dwordx4 s[12:15], s[4:5], 0xc4
	s_cmp_lt_u32 s33, 2
	s_waitcnt lgkmcnt(0)
	v_mul_hi_u32 v2, s9, v1
	v_add_u32_e32 v2, v1, v2
	v_lshrrev_b32_e32 v3, s10, v2
	v_mul_lo_u32 v2, v3, s8
	v_sub_u32_e32 v1, v1, v2
	v_mul_lo_u32 v2, v1, s12
	v_mul_lo_u32 v8, v1, s14
	;; [unrolled: 1-line block ×3, first 2 shown]
	s_cbranch_scc1 .LBB46_136
; %bb.135:
	s_load_dwordx4 s[8:11], s[4:5], 0x10
	s_load_dwordx4 s[12:15], s[4:5], 0xd0
	s_waitcnt lgkmcnt(0)
	v_mul_hi_u32 v1, s9, v3
	v_add_u32_e32 v1, v3, v1
	v_lshrrev_b32_e32 v1, s10, v1
	v_mul_lo_u32 v1, v1, s8
	v_sub_u32_e32 v1, v3, v1
	v_mad_u64_u32 v[2:3], s[2:3], v1, s12, v[2:3]
	v_mad_u64_u32 v[10:11], s[2:3], v1, s13, v[10:11]
	;; [unrolled: 1-line block ×3, first 2 shown]
.LBB46_136:
	s_and_b64 vcc, exec, s[0:1]
	v_add_u32_e32 v1, 0x100, v36
	s_cbranch_vccnz .LBB46_142
; %bb.137:
	s_cmp_lg_u32 s33, 0
	v_mov_b32_e32 v14, 0
	v_mov_b32_e32 v16, 0
	;; [unrolled: 1-line block ×3, first 2 shown]
	s_cbranch_scc0 .LBB46_143
; %bb.138:
	s_min_u32 s6, s34, 15
	s_add_i32 s2, s6, 1
	s_and_b32 s7, s2, 30
	s_add_u32 s2, s4, 0xffffffec
	s_addc_u32 s3, s5, -1
	v_mov_b32_e32 v12, 0
	v_mov_b32_e32 v3, v1
	;; [unrolled: 1-line block ×4, first 2 shown]
.LBB46_139:                             ; =>This Inner Loop Header: Depth=1
	s_mov_b64 s[16:17], s[2:3]
	s_load_dwordx4 s[8:11], s[16:17], 0x18
	s_load_dwordx2 s[18:19], s[16:17], 0x28
	s_load_dwordx2 s[20:21], s[16:17], 0xe8
	s_load_dwordx4 s[12:15], s[16:17], 0xd8
	s_add_u32 s2, s16, 24
	s_waitcnt lgkmcnt(0)
	v_mul_hi_u32 v5, s9, v3
	v_add_u32_e32 v5, v3, v5
	v_lshrrev_b32_e32 v5, s10, v5
	v_mul_lo_u32 v7, v5, s8
	v_mul_hi_u32 v9, s18, v5
	v_sub_u32_e32 v3, v3, v7
	v_add_u32_e32 v7, v5, v9
	v_mul_lo_u32 v9, v3, s12
	v_mul_lo_u32 v11, v3, s13
	;; [unrolled: 1-line block ×3, first 2 shown]
	v_lshrrev_b32_e32 v3, s19, v7
	v_mul_lo_u32 v7, v3, s11
	v_sub_u32_e32 v5, v5, v7
	s_addc_u32 s3, s17, 0
	s_add_i32 s7, s7, -2
	v_mul_lo_u32 v7, v5, s15
	v_mul_lo_u32 v15, v5, s20
	;; [unrolled: 1-line block ×3, first 2 shown]
	s_cmp_lg_u32 s7, 0
	v_add3_u32 v12, v9, v12, v7
	v_add3_u32 v14, v13, v14, v5
	v_add3_u32 v16, v11, v16, v15
	s_cbranch_scc1 .LBB46_139
; %bb.140:
	s_bitcmp1_b32 s6, 0
	s_cselect_b64 s[6:7], -1, 0
	s_and_b64 vcc, exec, s[6:7]
	s_cbranch_vccnz .LBB46_143
; %bb.141:
	s_load_dwordx2 s[6:7], s[2:3], 0x18
	s_load_dword s10, s[2:3], 0x20
	s_load_dword s11, s[2:3], 0xe0
	s_load_dwordx2 s[8:9], s[2:3], 0xd8
	s_waitcnt lgkmcnt(0)
	v_mul_hi_u32 v5, s7, v3
	v_add_u32_e32 v5, v3, v5
	v_lshrrev_b32_e32 v5, s10, v5
	v_mul_lo_u32 v5, v5, s6
	v_sub_u32_e32 v3, v3, v5
	v_mad_u64_u32 v[12:13], s[2:3], v3, s8, v[12:13]
	v_mad_u64_u32 v[16:17], s[2:3], v3, s9, v[16:17]
	;; [unrolled: 1-line block ×3, first 2 shown]
	s_cbranch_execz .LBB46_144
	s_branch .LBB46_146
.LBB46_142:
                                        ; implicit-def: $vgpr14
                                        ; implicit-def: $vgpr16
                                        ; implicit-def: $vgpr12
	s_branch .LBB46_144
.LBB46_143:
	s_cbranch_execnz .LBB46_146
.LBB46_144:
	s_load_dwordx4 s[8:11], s[4:5], 0x4
	s_load_dwordx4 s[12:15], s[4:5], 0xc4
	s_cmp_lt_u32 s33, 2
	s_waitcnt lgkmcnt(0)
	v_mul_hi_u32 v3, s9, v1
	v_add_u32_e32 v3, v1, v3
	v_lshrrev_b32_e32 v3, s10, v3
	v_mul_lo_u32 v5, v3, s8
	v_sub_u32_e32 v1, v1, v5
	v_mul_lo_u32 v12, v1, s12
	v_mul_lo_u32 v14, v1, s14
	;; [unrolled: 1-line block ×3, first 2 shown]
	s_cbranch_scc1 .LBB46_146
; %bb.145:
	s_load_dwordx4 s[8:11], s[4:5], 0x10
	s_load_dwordx4 s[12:15], s[4:5], 0xd0
	s_waitcnt lgkmcnt(0)
	v_mul_hi_u32 v1, s9, v3
	v_add_u32_e32 v1, v3, v1
	v_lshrrev_b32_e32 v1, s10, v1
	v_mul_lo_u32 v1, v1, s8
	v_sub_u32_e32 v1, v3, v1
	v_mad_u64_u32 v[12:13], s[2:3], v1, s12, v[12:13]
	v_mad_u64_u32 v[16:17], s[2:3], v1, s13, v[16:17]
	;; [unrolled: 1-line block ×3, first 2 shown]
.LBB46_146:
	s_and_b64 vcc, exec, s[0:1]
	v_add_u32_e32 v1, 0x180, v36
	s_cbranch_vccnz .LBB46_152
; %bb.147:
	s_cmp_lg_u32 s33, 0
	v_mov_b32_e32 v20, 0
	v_mov_b32_e32 v22, 0
	v_mov_b32_e32 v18, 0
	s_cbranch_scc0 .LBB46_153
; %bb.148:
	s_min_u32 s6, s34, 15
	s_add_i32 s2, s6, 1
	s_and_b32 s7, s2, 30
	s_add_u32 s2, s4, 0xffffffec
	s_addc_u32 s3, s5, -1
	v_mov_b32_e32 v18, 0
	v_mov_b32_e32 v3, v1
	;; [unrolled: 1-line block ×4, first 2 shown]
.LBB46_149:                             ; =>This Inner Loop Header: Depth=1
	s_mov_b64 s[16:17], s[2:3]
	s_load_dwordx4 s[8:11], s[16:17], 0x18
	s_load_dwordx2 s[18:19], s[16:17], 0x28
	s_load_dwordx2 s[20:21], s[16:17], 0xe8
	s_load_dwordx4 s[12:15], s[16:17], 0xd8
	s_add_u32 s2, s16, 24
	s_waitcnt lgkmcnt(0)
	v_mul_hi_u32 v5, s9, v3
	v_add_u32_e32 v5, v3, v5
	v_lshrrev_b32_e32 v5, s10, v5
	v_mul_lo_u32 v7, v5, s8
	v_mul_hi_u32 v9, s18, v5
	v_sub_u32_e32 v3, v3, v7
	v_add_u32_e32 v7, v5, v9
	v_mul_lo_u32 v9, v3, s12
	v_mul_lo_u32 v11, v3, s13
	;; [unrolled: 1-line block ×3, first 2 shown]
	v_lshrrev_b32_e32 v3, s19, v7
	v_mul_lo_u32 v7, v3, s11
	v_sub_u32_e32 v5, v5, v7
	s_addc_u32 s3, s17, 0
	s_add_i32 s7, s7, -2
	v_mul_lo_u32 v7, v5, s15
	v_mul_lo_u32 v15, v5, s20
	;; [unrolled: 1-line block ×3, first 2 shown]
	s_cmp_lg_u32 s7, 0
	v_add3_u32 v18, v9, v18, v7
	v_add3_u32 v20, v13, v20, v5
	v_add3_u32 v22, v11, v22, v15
	s_cbranch_scc1 .LBB46_149
; %bb.150:
	s_bitcmp1_b32 s6, 0
	s_cselect_b64 s[6:7], -1, 0
	s_and_b64 vcc, exec, s[6:7]
	s_cbranch_vccnz .LBB46_153
; %bb.151:
	s_load_dwordx2 s[6:7], s[2:3], 0x18
	s_load_dword s10, s[2:3], 0x20
	s_load_dword s11, s[2:3], 0xe0
	s_load_dwordx2 s[8:9], s[2:3], 0xd8
	s_waitcnt lgkmcnt(0)
	v_mul_hi_u32 v5, s7, v3
	v_add_u32_e32 v5, v3, v5
	v_lshrrev_b32_e32 v5, s10, v5
	v_mul_lo_u32 v5, v5, s6
	v_sub_u32_e32 v3, v3, v5
	v_mad_u64_u32 v[18:19], s[2:3], v3, s8, v[18:19]
	v_mad_u64_u32 v[22:23], s[2:3], v3, s9, v[22:23]
	;; [unrolled: 1-line block ×3, first 2 shown]
	s_cbranch_execz .LBB46_154
	s_branch .LBB46_156
.LBB46_152:
                                        ; implicit-def: $vgpr20
                                        ; implicit-def: $vgpr22
                                        ; implicit-def: $vgpr18
	s_branch .LBB46_154
.LBB46_153:
	s_cbranch_execnz .LBB46_156
.LBB46_154:
	s_load_dwordx4 s[8:11], s[4:5], 0x4
	s_load_dwordx4 s[12:15], s[4:5], 0xc4
	s_cmp_lt_u32 s33, 2
	s_waitcnt lgkmcnt(0)
	v_mul_hi_u32 v3, s9, v1
	v_add_u32_e32 v3, v1, v3
	v_lshrrev_b32_e32 v3, s10, v3
	v_mul_lo_u32 v5, v3, s8
	v_sub_u32_e32 v1, v1, v5
	v_mul_lo_u32 v18, v1, s12
	v_mul_lo_u32 v20, v1, s14
	;; [unrolled: 1-line block ×3, first 2 shown]
	s_cbranch_scc1 .LBB46_156
; %bb.155:
	s_load_dwordx4 s[8:11], s[4:5], 0x10
	s_load_dwordx4 s[12:15], s[4:5], 0xd0
	s_waitcnt lgkmcnt(0)
	v_mul_hi_u32 v1, s9, v3
	v_add_u32_e32 v1, v3, v1
	v_lshrrev_b32_e32 v1, s10, v1
	v_mul_lo_u32 v1, v1, s8
	v_sub_u32_e32 v1, v3, v1
	v_mad_u64_u32 v[18:19], s[2:3], v1, s12, v[18:19]
	v_mad_u64_u32 v[22:23], s[2:3], v1, s13, v[22:23]
	;; [unrolled: 1-line block ×3, first 2 shown]
.LBB46_156:
	s_and_b64 vcc, exec, s[0:1]
	v_add_u32_e32 v1, 0x200, v36
	s_cbranch_vccnz .LBB46_162
; %bb.157:
	s_cmp_lg_u32 s33, 0
	v_mov_b32_e32 v26, 0
	v_mov_b32_e32 v28, 0
	;; [unrolled: 1-line block ×3, first 2 shown]
	s_cbranch_scc0 .LBB46_163
; %bb.158:
	s_min_u32 s6, s34, 15
	s_add_i32 s2, s6, 1
	s_and_b32 s7, s2, 30
	s_add_u32 s2, s4, 0xffffffec
	s_addc_u32 s3, s5, -1
	v_mov_b32_e32 v24, 0
	v_mov_b32_e32 v3, v1
	;; [unrolled: 1-line block ×4, first 2 shown]
.LBB46_159:                             ; =>This Inner Loop Header: Depth=1
	s_mov_b64 s[16:17], s[2:3]
	s_load_dwordx4 s[8:11], s[16:17], 0x18
	s_load_dwordx2 s[18:19], s[16:17], 0x28
	s_load_dwordx2 s[20:21], s[16:17], 0xe8
	s_load_dwordx4 s[12:15], s[16:17], 0xd8
	s_add_u32 s2, s16, 24
	s_waitcnt lgkmcnt(0)
	v_mul_hi_u32 v5, s9, v3
	v_add_u32_e32 v5, v3, v5
	v_lshrrev_b32_e32 v5, s10, v5
	v_mul_lo_u32 v7, v5, s8
	v_mul_hi_u32 v9, s18, v5
	v_sub_u32_e32 v3, v3, v7
	v_add_u32_e32 v7, v5, v9
	v_mul_lo_u32 v9, v3, s12
	v_mul_lo_u32 v11, v3, s13
	;; [unrolled: 1-line block ×3, first 2 shown]
	v_lshrrev_b32_e32 v3, s19, v7
	v_mul_lo_u32 v7, v3, s11
	v_sub_u32_e32 v5, v5, v7
	s_addc_u32 s3, s17, 0
	s_add_i32 s7, s7, -2
	v_mul_lo_u32 v7, v5, s15
	v_mul_lo_u32 v15, v5, s20
	;; [unrolled: 1-line block ×3, first 2 shown]
	s_cmp_lg_u32 s7, 0
	v_add3_u32 v24, v9, v24, v7
	v_add3_u32 v26, v13, v26, v5
	;; [unrolled: 1-line block ×3, first 2 shown]
	s_cbranch_scc1 .LBB46_159
; %bb.160:
	s_bitcmp1_b32 s6, 0
	s_cselect_b64 s[6:7], -1, 0
	s_and_b64 vcc, exec, s[6:7]
	s_cbranch_vccnz .LBB46_163
; %bb.161:
	s_load_dwordx2 s[6:7], s[2:3], 0x18
	s_load_dword s10, s[2:3], 0x20
	s_load_dword s11, s[2:3], 0xe0
	s_load_dwordx2 s[8:9], s[2:3], 0xd8
	s_waitcnt lgkmcnt(0)
	v_mul_hi_u32 v5, s7, v3
	v_add_u32_e32 v5, v3, v5
	v_lshrrev_b32_e32 v5, s10, v5
	v_mul_lo_u32 v5, v5, s6
	v_sub_u32_e32 v3, v3, v5
	v_mad_u64_u32 v[24:25], s[2:3], v3, s8, v[24:25]
	v_mad_u64_u32 v[28:29], s[2:3], v3, s9, v[28:29]
	;; [unrolled: 1-line block ×3, first 2 shown]
	s_cbranch_execz .LBB46_164
	s_branch .LBB46_166
.LBB46_162:
                                        ; implicit-def: $vgpr26
                                        ; implicit-def: $vgpr28
                                        ; implicit-def: $vgpr24
	s_branch .LBB46_164
.LBB46_163:
	s_cbranch_execnz .LBB46_166
.LBB46_164:
	s_load_dwordx4 s[8:11], s[4:5], 0x4
	s_load_dwordx4 s[12:15], s[4:5], 0xc4
	s_cmp_lt_u32 s33, 2
	s_waitcnt lgkmcnt(0)
	v_mul_hi_u32 v3, s9, v1
	v_add_u32_e32 v3, v1, v3
	v_lshrrev_b32_e32 v3, s10, v3
	v_mul_lo_u32 v5, v3, s8
	v_sub_u32_e32 v1, v1, v5
	v_mul_lo_u32 v24, v1, s12
	v_mul_lo_u32 v26, v1, s14
	;; [unrolled: 1-line block ×3, first 2 shown]
	s_cbranch_scc1 .LBB46_166
; %bb.165:
	s_load_dwordx4 s[8:11], s[4:5], 0x10
	s_load_dwordx4 s[12:15], s[4:5], 0xd0
	s_waitcnt lgkmcnt(0)
	v_mul_hi_u32 v1, s9, v3
	v_add_u32_e32 v1, v3, v1
	v_lshrrev_b32_e32 v1, s10, v1
	v_mul_lo_u32 v1, v1, s8
	v_sub_u32_e32 v1, v3, v1
	v_mad_u64_u32 v[24:25], s[2:3], v1, s12, v[24:25]
	v_mad_u64_u32 v[28:29], s[2:3], v1, s13, v[28:29]
	;; [unrolled: 1-line block ×3, first 2 shown]
.LBB46_166:
	s_and_b64 vcc, exec, s[0:1]
	v_add_u32_e32 v1, 0x280, v36
	s_cbranch_vccnz .LBB46_172
; %bb.167:
	s_cmp_lg_u32 s33, 0
	v_mov_b32_e32 v32, 0
	v_mov_b32_e32 v34, 0
	;; [unrolled: 1-line block ×3, first 2 shown]
	s_cbranch_scc0 .LBB46_173
; %bb.168:
	s_min_u32 s6, s34, 15
	s_add_i32 s2, s6, 1
	s_and_b32 s7, s2, 30
	s_add_u32 s2, s4, 0xffffffec
	s_addc_u32 s3, s5, -1
	v_mov_b32_e32 v30, 0
	v_mov_b32_e32 v3, v1
	;; [unrolled: 1-line block ×4, first 2 shown]
.LBB46_169:                             ; =>This Inner Loop Header: Depth=1
	s_mov_b64 s[16:17], s[2:3]
	s_load_dwordx4 s[8:11], s[16:17], 0x18
	s_load_dwordx2 s[18:19], s[16:17], 0x28
	s_load_dwordx2 s[20:21], s[16:17], 0xe8
	s_load_dwordx4 s[12:15], s[16:17], 0xd8
	s_add_u32 s2, s16, 24
	s_waitcnt lgkmcnt(0)
	v_mul_hi_u32 v5, s9, v3
	v_add_u32_e32 v5, v3, v5
	v_lshrrev_b32_e32 v5, s10, v5
	v_mul_lo_u32 v7, v5, s8
	v_mul_hi_u32 v9, s18, v5
	v_sub_u32_e32 v3, v3, v7
	v_add_u32_e32 v7, v5, v9
	v_mul_lo_u32 v9, v3, s12
	v_mul_lo_u32 v11, v3, s13
	v_mul_lo_u32 v13, v3, s14
	v_lshrrev_b32_e32 v3, s19, v7
	v_mul_lo_u32 v7, v3, s11
	v_sub_u32_e32 v5, v5, v7
	s_addc_u32 s3, s17, 0
	s_add_i32 s7, s7, -2
	v_mul_lo_u32 v7, v5, s15
	v_mul_lo_u32 v15, v5, s20
	v_mul_lo_u32 v5, v5, s21
	s_cmp_lg_u32 s7, 0
	v_add3_u32 v30, v9, v30, v7
	v_add3_u32 v32, v13, v32, v5
	;; [unrolled: 1-line block ×3, first 2 shown]
	s_cbranch_scc1 .LBB46_169
; %bb.170:
	s_bitcmp1_b32 s6, 0
	s_cselect_b64 s[6:7], -1, 0
	s_and_b64 vcc, exec, s[6:7]
	s_cbranch_vccnz .LBB46_173
; %bb.171:
	s_load_dwordx2 s[6:7], s[2:3], 0x18
	s_load_dword s10, s[2:3], 0x20
	s_load_dword s11, s[2:3], 0xe0
	s_load_dwordx2 s[8:9], s[2:3], 0xd8
	s_waitcnt lgkmcnt(0)
	v_mul_hi_u32 v5, s7, v3
	v_add_u32_e32 v5, v3, v5
	v_lshrrev_b32_e32 v5, s10, v5
	v_mul_lo_u32 v5, v5, s6
	v_sub_u32_e32 v3, v3, v5
	v_mad_u64_u32 v[30:31], s[2:3], v3, s8, v[30:31]
	v_mad_u64_u32 v[34:35], s[2:3], v3, s9, v[34:35]
	;; [unrolled: 1-line block ×3, first 2 shown]
	s_cbranch_execz .LBB46_174
	s_branch .LBB46_176
.LBB46_172:
                                        ; implicit-def: $vgpr32
                                        ; implicit-def: $vgpr34
                                        ; implicit-def: $vgpr30
	s_branch .LBB46_174
.LBB46_173:
	s_cbranch_execnz .LBB46_176
.LBB46_174:
	s_load_dwordx4 s[8:11], s[4:5], 0x4
	s_load_dwordx4 s[12:15], s[4:5], 0xc4
	s_cmp_lt_u32 s33, 2
	s_waitcnt lgkmcnt(0)
	v_mul_hi_u32 v3, s9, v1
	v_add_u32_e32 v3, v1, v3
	v_lshrrev_b32_e32 v3, s10, v3
	v_mul_lo_u32 v5, v3, s8
	v_sub_u32_e32 v1, v1, v5
	v_mul_lo_u32 v30, v1, s12
	v_mul_lo_u32 v32, v1, s14
	;; [unrolled: 1-line block ×3, first 2 shown]
	s_cbranch_scc1 .LBB46_176
; %bb.175:
	s_load_dwordx4 s[8:11], s[4:5], 0x10
	s_load_dwordx4 s[12:15], s[4:5], 0xd0
	s_waitcnt lgkmcnt(0)
	v_mul_hi_u32 v1, s9, v3
	v_add_u32_e32 v1, v3, v1
	v_lshrrev_b32_e32 v1, s10, v1
	v_mul_lo_u32 v1, v1, s8
	v_sub_u32_e32 v1, v3, v1
	v_mad_u64_u32 v[30:31], s[2:3], v1, s12, v[30:31]
	v_mad_u64_u32 v[34:35], s[2:3], v1, s13, v[34:35]
	v_mad_u64_u32 v[32:33], s[2:3], v1, s14, v[32:33]
.LBB46_176:
	s_and_b64 vcc, exec, s[0:1]
	v_add_u32_e32 v1, 0x300, v36
	s_cbranch_vccnz .LBB46_182
; %bb.177:
	s_cmp_lg_u32 s33, 0
	v_mov_b32_e32 v38, 0
	v_mov_b32_e32 v40, 0
	;; [unrolled: 1-line block ×3, first 2 shown]
	s_cbranch_scc0 .LBB46_183
; %bb.178:
	s_min_u32 s6, s34, 15
	s_add_i32 s2, s6, 1
	s_and_b32 s7, s2, 30
	s_add_u32 s2, s4, 0xffffffec
	s_addc_u32 s3, s5, -1
	v_mov_b32_e32 v36, 0
	v_mov_b32_e32 v3, v1
	;; [unrolled: 1-line block ×4, first 2 shown]
.LBB46_179:                             ; =>This Inner Loop Header: Depth=1
	s_mov_b64 s[16:17], s[2:3]
	s_load_dwordx4 s[8:11], s[16:17], 0x18
	s_load_dwordx2 s[18:19], s[16:17], 0x28
	s_load_dwordx2 s[20:21], s[16:17], 0xe8
	s_load_dwordx4 s[12:15], s[16:17], 0xd8
	s_add_u32 s2, s16, 24
	s_waitcnt lgkmcnt(0)
	v_mul_hi_u32 v5, s9, v3
	v_add_u32_e32 v5, v3, v5
	v_lshrrev_b32_e32 v5, s10, v5
	v_mul_lo_u32 v7, v5, s8
	v_mul_hi_u32 v9, s18, v5
	v_sub_u32_e32 v3, v3, v7
	v_add_u32_e32 v7, v5, v9
	v_mul_lo_u32 v9, v3, s12
	v_mul_lo_u32 v11, v3, s13
	;; [unrolled: 1-line block ×3, first 2 shown]
	v_lshrrev_b32_e32 v3, s19, v7
	v_mul_lo_u32 v7, v3, s11
	v_sub_u32_e32 v5, v5, v7
	s_addc_u32 s3, s17, 0
	s_add_i32 s7, s7, -2
	v_mul_lo_u32 v7, v5, s15
	v_mul_lo_u32 v15, v5, s20
	;; [unrolled: 1-line block ×3, first 2 shown]
	s_cmp_lg_u32 s7, 0
	v_add3_u32 v36, v9, v36, v7
	v_add3_u32 v38, v13, v38, v5
	;; [unrolled: 1-line block ×3, first 2 shown]
	s_cbranch_scc1 .LBB46_179
; %bb.180:
	s_bitcmp1_b32 s6, 0
	s_cselect_b64 s[6:7], -1, 0
	s_and_b64 vcc, exec, s[6:7]
	s_cbranch_vccnz .LBB46_183
; %bb.181:
	s_load_dwordx2 s[6:7], s[2:3], 0x18
	s_load_dword s10, s[2:3], 0x20
	s_load_dword s11, s[2:3], 0xe0
	s_load_dwordx2 s[8:9], s[2:3], 0xd8
	s_waitcnt lgkmcnt(0)
	v_mul_hi_u32 v5, s7, v3
	v_add_u32_e32 v5, v3, v5
	v_lshrrev_b32_e32 v5, s10, v5
	v_mul_lo_u32 v5, v5, s6
	v_sub_u32_e32 v3, v3, v5
	v_mad_u64_u32 v[36:37], s[2:3], v3, s8, v[36:37]
	v_mad_u64_u32 v[40:41], s[2:3], v3, s9, v[40:41]
	;; [unrolled: 1-line block ×3, first 2 shown]
	s_cbranch_execz .LBB46_184
	s_branch .LBB46_186
.LBB46_182:
                                        ; implicit-def: $vgpr38
                                        ; implicit-def: $vgpr40
                                        ; implicit-def: $vgpr36
	s_branch .LBB46_184
.LBB46_183:
	s_cbranch_execnz .LBB46_186
.LBB46_184:
	s_load_dwordx4 s[8:11], s[4:5], 0x4
	s_load_dwordx4 s[12:15], s[4:5], 0xc4
	s_cmp_lt_u32 s33, 2
	s_waitcnt lgkmcnt(0)
	v_mul_hi_u32 v3, s9, v1
	v_add_u32_e32 v3, v1, v3
	v_lshrrev_b32_e32 v3, s10, v3
	v_mul_lo_u32 v5, v3, s8
	v_sub_u32_e32 v1, v1, v5
	v_mul_lo_u32 v36, v1, s12
	v_mul_lo_u32 v38, v1, s14
	;; [unrolled: 1-line block ×3, first 2 shown]
	s_cbranch_scc1 .LBB46_186
; %bb.185:
	s_load_dwordx4 s[8:11], s[4:5], 0x10
	s_load_dwordx4 s[12:15], s[4:5], 0xd0
	s_waitcnt lgkmcnt(0)
	v_mul_hi_u32 v1, s9, v3
	v_add_u32_e32 v1, v3, v1
	v_lshrrev_b32_e32 v1, s10, v1
	v_mul_lo_u32 v1, v1, s8
	v_sub_u32_e32 v1, v3, v1
	v_mad_u64_u32 v[36:37], s[2:3], v1, s12, v[36:37]
	v_mad_u64_u32 v[40:41], s[2:3], v1, s13, v[40:41]
	v_mad_u64_u32 v[38:39], s[2:3], v1, s14, v[38:39]
.LBB46_186:
	s_and_b64 vcc, exec, s[0:1]
	s_cbranch_vccnz .LBB46_192
; %bb.187:
	s_cmp_lg_u32 s33, 0
	v_mov_b32_e32 v44, 0
	v_mov_b32_e32 v46, 0
	;; [unrolled: 1-line block ×3, first 2 shown]
	s_cbranch_scc0 .LBB46_193
; %bb.188:
	s_min_u32 s2, s34, 15
	s_add_i32 s0, s2, 1
	s_and_b32 s3, s0, 30
	s_add_u32 s0, s4, 0xffffffec
	s_addc_u32 s1, s5, -1
	v_mov_b32_e32 v42, 0
	v_mov_b32_e32 v1, v48
	;; [unrolled: 1-line block ×4, first 2 shown]
.LBB46_189:                             ; =>This Inner Loop Header: Depth=1
	s_mov_b64 s[6:7], s[0:1]
	s_load_dwordx4 s[8:11], s[6:7], 0x18
	s_load_dwordx2 s[16:17], s[6:7], 0x28
	s_load_dwordx2 s[18:19], s[6:7], 0xe8
	s_load_dwordx4 s[12:15], s[6:7], 0xd8
	s_add_u32 s0, s6, 24
	s_waitcnt lgkmcnt(0)
	v_mul_hi_u32 v3, s9, v1
	v_add_u32_e32 v3, v1, v3
	v_lshrrev_b32_e32 v3, s10, v3
	v_mul_lo_u32 v5, v3, s8
	v_mul_hi_u32 v7, s16, v3
	v_sub_u32_e32 v1, v1, v5
	v_add_u32_e32 v5, v3, v7
	v_mul_lo_u32 v7, v1, s12
	v_mul_lo_u32 v9, v1, s13
	;; [unrolled: 1-line block ×3, first 2 shown]
	v_lshrrev_b32_e32 v1, s17, v5
	v_mul_lo_u32 v5, v1, s11
	v_sub_u32_e32 v3, v3, v5
	s_addc_u32 s1, s7, 0
	s_add_i32 s3, s3, -2
	v_mul_lo_u32 v5, v3, s15
	v_mul_lo_u32 v13, v3, s18
	;; [unrolled: 1-line block ×3, first 2 shown]
	s_cmp_lg_u32 s3, 0
	v_add3_u32 v42, v7, v42, v5
	v_add3_u32 v44, v11, v44, v3
	;; [unrolled: 1-line block ×3, first 2 shown]
	s_cbranch_scc1 .LBB46_189
; %bb.190:
	s_bitcmp1_b32 s2, 0
	s_cselect_b64 s[2:3], -1, 0
	s_and_b64 vcc, exec, s[2:3]
	s_cbranch_vccnz .LBB46_193
; %bb.191:
	s_load_dwordx2 s[2:3], s[0:1], 0x18
	s_load_dword s8, s[0:1], 0x20
	s_load_dword s9, s[0:1], 0xe0
	s_load_dwordx2 s[6:7], s[0:1], 0xd8
	s_waitcnt lgkmcnt(0)
	v_mul_hi_u32 v3, s3, v1
	v_add_u32_e32 v3, v1, v3
	v_lshrrev_b32_e32 v3, s8, v3
	v_mul_lo_u32 v3, v3, s2
	v_sub_u32_e32 v1, v1, v3
	v_mad_u64_u32 v[42:43], s[0:1], v1, s6, v[42:43]
	v_mad_u64_u32 v[46:47], s[0:1], v1, s7, v[46:47]
	;; [unrolled: 1-line block ×3, first 2 shown]
	s_cbranch_execz .LBB46_194
	s_branch .LBB46_196
.LBB46_192:
                                        ; implicit-def: $vgpr44
                                        ; implicit-def: $vgpr46
                                        ; implicit-def: $vgpr42
	s_branch .LBB46_194
.LBB46_193:
	s_cbranch_execnz .LBB46_196
.LBB46_194:
	s_load_dwordx4 s[0:3], s[4:5], 0x4
	s_load_dwordx4 s[8:11], s[4:5], 0xc4
	s_cmp_lt_u32 s33, 2
	s_waitcnt lgkmcnt(0)
	v_mul_hi_u32 v1, s1, v48
	v_add_u32_e32 v1, v48, v1
	v_lshrrev_b32_e32 v1, s2, v1
	v_mul_lo_u32 v3, v1, s0
	v_sub_u32_e32 v3, v48, v3
	v_mul_lo_u32 v42, v3, s8
	v_mul_lo_u32 v44, v3, s10
	;; [unrolled: 1-line block ×3, first 2 shown]
	s_cbranch_scc1 .LBB46_196
; %bb.195:
	s_load_dwordx4 s[0:3], s[4:5], 0x10
	s_load_dwordx4 s[8:11], s[4:5], 0xd0
	s_waitcnt lgkmcnt(0)
	v_mul_hi_u32 v3, s1, v1
	v_add_u32_e32 v3, v1, v3
	v_lshrrev_b32_e32 v3, s2, v3
	v_mul_lo_u32 v3, v3, s0
	v_sub_u32_e32 v1, v1, v3
	v_mad_u64_u32 v[42:43], s[0:1], v1, s8, v[42:43]
	v_mad_u64_u32 v[46:47], s[0:1], v1, s9, v[46:47]
	;; [unrolled: 1-line block ×3, first 2 shown]
.LBB46_196:
	s_load_dwordx4 s[0:3], s[4:5], 0x188
	s_load_dwordx2 s[6:7], s[4:5], 0x198
	s_waitcnt lgkmcnt(0)
	global_load_ushort v1, v6, s[2:3]
	s_waitcnt vmcnt(0)
	v_lshlrev_b32_e32 v3, 16, v1
	v_cmp_nlt_f32_e32 vcc, 0, v3
	s_and_saveexec_b64 s[4:5], vcc
	s_cbranch_execz .LBB46_198
; %bb.197:
	global_load_ushort v1, v4, s[6:7]
	s_movk_i32 s8, 0x7fff
	v_mov_b32_e32 v4, 0x7fc0
	s_waitcnt vmcnt(0)
	v_lshlrev_b32_e32 v1, 16, v1
	v_mul_f32_e32 v1, v3, v1
	v_bfe_u32 v3, v1, 16, 1
	v_add3_u32 v3, v1, v3, s8
	v_lshrrev_b32_e32 v3, 16, v3
	v_cmp_o_f32_e32 vcc, v1, v1
	v_cndmask_b32_e32 v1, v4, v3, vcc
.LBB46_198:
	s_or_b64 exec, exec, s[4:5]
	global_load_ushort v3, v10, s[2:3]
	s_waitcnt vmcnt(0)
	v_lshlrev_b32_e32 v4, 16, v3
	v_cmp_nlt_f32_e32 vcc, 0, v4
	s_and_saveexec_b64 s[4:5], vcc
	s_cbranch_execz .LBB46_200
; %bb.199:
	global_load_ushort v3, v8, s[6:7]
	s_movk_i32 s8, 0x7fff
	v_mov_b32_e32 v5, 0x7fc0
	s_waitcnt vmcnt(0)
	v_lshlrev_b32_e32 v3, 16, v3
	v_mul_f32_e32 v3, v4, v3
	v_bfe_u32 v4, v3, 16, 1
	v_add3_u32 v4, v3, v4, s8
	v_lshrrev_b32_e32 v4, 16, v4
	v_cmp_o_f32_e32 vcc, v3, v3
	v_cndmask_b32_e32 v3, v5, v4, vcc
.LBB46_200:
	s_or_b64 exec, exec, s[4:5]
	;; [unrolled: 20-line block ×8, first 2 shown]
	global_store_short v0, v1, s[0:1]
	global_store_short v2, v3, s[0:1]
	;; [unrolled: 1-line block ×8, first 2 shown]
	s_endpgm
	.section	.rodata,"a",@progbits
	.p2align	6, 0x0
	.amdhsa_kernel _ZN2at6native32elementwise_kernel_manual_unrollILi128ELi8EZNS0_22gpu_kernel_impl_nocastIZZZNS0_12prelu_kernelERNS_14TensorIteratorEENKUlvE_clEvENKUlvE1_clEvEUlN3c108BFloat16ES8_E_EEvRNS_18TensorIteratorBaseERKT_EUlibE_EEviT1_
		.amdhsa_group_segment_fixed_size 0
		.amdhsa_private_segment_fixed_size 0
		.amdhsa_kernarg_size 432
		.amdhsa_user_sgpr_count 6
		.amdhsa_user_sgpr_private_segment_buffer 1
		.amdhsa_user_sgpr_dispatch_ptr 0
		.amdhsa_user_sgpr_queue_ptr 0
		.amdhsa_user_sgpr_kernarg_segment_ptr 1
		.amdhsa_user_sgpr_dispatch_id 0
		.amdhsa_user_sgpr_flat_scratch_init 0
		.amdhsa_user_sgpr_kernarg_preload_length 0
		.amdhsa_user_sgpr_kernarg_preload_offset 0
		.amdhsa_user_sgpr_private_segment_size 0
		.amdhsa_uses_dynamic_stack 0
		.amdhsa_system_sgpr_private_segment_wavefront_offset 0
		.amdhsa_system_sgpr_workgroup_id_x 1
		.amdhsa_system_sgpr_workgroup_id_y 0
		.amdhsa_system_sgpr_workgroup_id_z 0
		.amdhsa_system_sgpr_workgroup_info 0
		.amdhsa_system_vgpr_workitem_id 0
		.amdhsa_next_free_vgpr 49
		.amdhsa_next_free_sgpr 52
		.amdhsa_accum_offset 52
		.amdhsa_reserve_vcc 1
		.amdhsa_reserve_flat_scratch 0
		.amdhsa_float_round_mode_32 0
		.amdhsa_float_round_mode_16_64 0
		.amdhsa_float_denorm_mode_32 3
		.amdhsa_float_denorm_mode_16_64 3
		.amdhsa_dx10_clamp 1
		.amdhsa_ieee_mode 1
		.amdhsa_fp16_overflow 0
		.amdhsa_tg_split 0
		.amdhsa_exception_fp_ieee_invalid_op 0
		.amdhsa_exception_fp_denorm_src 0
		.amdhsa_exception_fp_ieee_div_zero 0
		.amdhsa_exception_fp_ieee_overflow 0
		.amdhsa_exception_fp_ieee_underflow 0
		.amdhsa_exception_fp_ieee_inexact 0
		.amdhsa_exception_int_div_zero 0
	.end_amdhsa_kernel
	.section	.text._ZN2at6native32elementwise_kernel_manual_unrollILi128ELi8EZNS0_22gpu_kernel_impl_nocastIZZZNS0_12prelu_kernelERNS_14TensorIteratorEENKUlvE_clEvENKUlvE1_clEvEUlN3c108BFloat16ES8_E_EEvRNS_18TensorIteratorBaseERKT_EUlibE_EEviT1_,"axG",@progbits,_ZN2at6native32elementwise_kernel_manual_unrollILi128ELi8EZNS0_22gpu_kernel_impl_nocastIZZZNS0_12prelu_kernelERNS_14TensorIteratorEENKUlvE_clEvENKUlvE1_clEvEUlN3c108BFloat16ES8_E_EEvRNS_18TensorIteratorBaseERKT_EUlibE_EEviT1_,comdat
.Lfunc_end46:
	.size	_ZN2at6native32elementwise_kernel_manual_unrollILi128ELi8EZNS0_22gpu_kernel_impl_nocastIZZZNS0_12prelu_kernelERNS_14TensorIteratorEENKUlvE_clEvENKUlvE1_clEvEUlN3c108BFloat16ES8_E_EEvRNS_18TensorIteratorBaseERKT_EUlibE_EEviT1_, .Lfunc_end46-_ZN2at6native32elementwise_kernel_manual_unrollILi128ELi8EZNS0_22gpu_kernel_impl_nocastIZZZNS0_12prelu_kernelERNS_14TensorIteratorEENKUlvE_clEvENKUlvE1_clEvEUlN3c108BFloat16ES8_E_EEvRNS_18TensorIteratorBaseERKT_EUlibE_EEviT1_
                                        ; -- End function
	.section	.AMDGPU.csdata,"",@progbits
; Kernel info:
; codeLenInByte = 10236
; NumSgprs: 56
; NumVgprs: 49
; NumAgprs: 0
; TotalNumVgprs: 49
; ScratchSize: 0
; MemoryBound: 0
; FloatMode: 240
; IeeeMode: 1
; LDSByteSize: 0 bytes/workgroup (compile time only)
; SGPRBlocks: 6
; VGPRBlocks: 6
; NumSGPRsForWavesPerEU: 56
; NumVGPRsForWavesPerEU: 49
; AccumOffset: 52
; Occupancy: 8
; WaveLimiterHint : 1
; COMPUTE_PGM_RSRC2:SCRATCH_EN: 0
; COMPUTE_PGM_RSRC2:USER_SGPR: 6
; COMPUTE_PGM_RSRC2:TRAP_HANDLER: 0
; COMPUTE_PGM_RSRC2:TGID_X_EN: 1
; COMPUTE_PGM_RSRC2:TGID_Y_EN: 0
; COMPUTE_PGM_RSRC2:TGID_Z_EN: 0
; COMPUTE_PGM_RSRC2:TIDIG_COMP_CNT: 0
; COMPUTE_PGM_RSRC3_GFX90A:ACCUM_OFFSET: 12
; COMPUTE_PGM_RSRC3_GFX90A:TG_SPLIT: 0
	.section	.text._ZN2at6native32elementwise_kernel_manual_unrollILi128ELi4EZNS0_15gpu_kernel_implIZZZNS0_12prelu_kernelERNS_14TensorIteratorEENKUlvE_clEvENKUlvE1_clEvEUlN3c108BFloat16ES8_E_EEvRNS_18TensorIteratorBaseERKT_EUlibE_EEviT1_,"axG",@progbits,_ZN2at6native32elementwise_kernel_manual_unrollILi128ELi4EZNS0_15gpu_kernel_implIZZZNS0_12prelu_kernelERNS_14TensorIteratorEENKUlvE_clEvENKUlvE1_clEvEUlN3c108BFloat16ES8_E_EEvRNS_18TensorIteratorBaseERKT_EUlibE_EEviT1_,comdat
	.globl	_ZN2at6native32elementwise_kernel_manual_unrollILi128ELi4EZNS0_15gpu_kernel_implIZZZNS0_12prelu_kernelERNS_14TensorIteratorEENKUlvE_clEvENKUlvE1_clEvEUlN3c108BFloat16ES8_E_EEvRNS_18TensorIteratorBaseERKT_EUlibE_EEviT1_ ; -- Begin function _ZN2at6native32elementwise_kernel_manual_unrollILi128ELi4EZNS0_15gpu_kernel_implIZZZNS0_12prelu_kernelERNS_14TensorIteratorEENKUlvE_clEvENKUlvE1_clEvEUlN3c108BFloat16ES8_E_EEvRNS_18TensorIteratorBaseERKT_EUlibE_EEviT1_
	.p2align	8
	.type	_ZN2at6native32elementwise_kernel_manual_unrollILi128ELi4EZNS0_15gpu_kernel_implIZZZNS0_12prelu_kernelERNS_14TensorIteratorEENKUlvE_clEvENKUlvE1_clEvEUlN3c108BFloat16ES8_E_EEvRNS_18TensorIteratorBaseERKT_EUlibE_EEviT1_,@function
_ZN2at6native32elementwise_kernel_manual_unrollILi128ELi4EZNS0_15gpu_kernel_implIZZZNS0_12prelu_kernelERNS_14TensorIteratorEENKUlvE_clEvENKUlvE1_clEvEUlN3c108BFloat16ES8_E_EEvRNS_18TensorIteratorBaseERKT_EUlibE_EEviT1_: ; @_ZN2at6native32elementwise_kernel_manual_unrollILi128ELi4EZNS0_15gpu_kernel_implIZZZNS0_12prelu_kernelERNS_14TensorIteratorEENKUlvE_clEvENKUlvE1_clEvEUlN3c108BFloat16ES8_E_EEvRNS_18TensorIteratorBaseERKT_EUlibE_EEviT1_
; %bb.0:
	v_mov_b32_e32 v1, 0
	global_load_ushort v2, v1, s[4:5] offset:45
	global_load_sbyte v4, v1, s[4:5] offset:47
	s_load_dword s33, s[4:5], 0x0
	s_load_dwordx4 s[8:11], s[4:5], 0x8
	s_load_dwordx2 s[2:3], s[4:5], 0x18
	s_load_dwordx4 s[12:15], s[4:5], 0x20
	v_lshl_or_b32 v3, s6, 9, v0
	v_or_b32_e32 v0, 0x180, v3
	s_mov_b64 s[16:17], 0
	s_waitcnt lgkmcnt(0)
	v_cmp_le_i32_e32 vcc, s33, v0
	s_mov_b64 s[6:7], 0
	s_waitcnt vmcnt(1)
	v_lshrrev_b32_e32 v5, 8, v2
	s_and_saveexec_b64 s[0:1], vcc
	s_xor_b64 s[4:5], exec, s[0:1]
	s_cbranch_execz .LBB47_1552
; %bb.1:
	v_cmp_gt_i32_e32 vcc, s33, v3
	s_mov_b64 s[0:1], -1
	s_mov_b64 s[26:27], 0
	s_mov_b64 s[20:21], 0
	;; [unrolled: 1-line block ×3, first 2 shown]
	s_and_saveexec_b64 s[22:23], vcc
	s_cbranch_execz .LBB47_385
; %bb.2:
	v_mul_lo_u32 v0, v3, s13
	v_ashrrev_i32_e32 v1, 31, v0
	v_mov_b32_e32 v6, s11
	v_add_co_u32_e32 v0, vcc, s10, v0
	v_addc_co_u32_e32 v1, vcc, v6, v1, vcc
	v_mov_b32_e32 v6, 11
	v_cmp_lt_i16_sdwa s[0:1], v5, v6 src0_sel:BYTE_0 src1_sel:DWORD
	s_and_b64 vcc, exec, s[0:1]
	s_cbranch_vccnz .LBB47_9
; %bb.3:
	v_mov_b32_e32 v6, 25
	v_cmp_gt_i16_sdwa s[0:1], v5, v6 src0_sel:BYTE_0 src1_sel:DWORD
	s_and_b64 vcc, exec, s[0:1]
	s_cbranch_vccz .LBB47_18
; %bb.4:
	v_mov_b32_e32 v6, 28
	v_cmp_gt_i16_sdwa s[0:1], v5, v6 src0_sel:BYTE_0 src1_sel:DWORD
	s_and_b64 vcc, exec, s[0:1]
	s_cbranch_vccz .LBB47_30
	;; [unrolled: 5-line block ×4, first 2 shown]
; %bb.7:
	v_mov_b32_e32 v6, 46
	v_cmp_eq_u16_sdwa s[0:1], v5, v6 src0_sel:BYTE_0 src1_sel:DWORD
	s_and_b64 vcc, exec, s[0:1]
	s_cbranch_vccz .LBB47_39
; %bb.8:
	global_load_dword v6, v[0:1], off
	s_mov_b64 s[0:1], -1
	s_branch .LBB47_41
.LBB47_9:
                                        ; implicit-def: $vgpr6
	s_mov_b64 s[0:1], 0
	s_cbranch_execnz .LBB47_107
.LBB47_10:
	s_andn2_b64 vcc, exec, s[0:1]
	s_cbranch_vccnz .LBB47_154
.LBB47_11:
	v_mul_lo_u32 v0, v3, s14
	v_ashrrev_i32_e32 v1, 31, v0
	v_mov_b32_e32 v7, s3
	v_add_co_u32_e32 v0, vcc, s2, v0
	v_addc_co_u32_e32 v1, vcc, v7, v1, vcc
	v_mov_b32_e32 v7, 11
	s_waitcnt vmcnt(0)
	v_cmp_lt_i16_sdwa s[0:1], v4, v7 src0_sel:BYTE_0 src1_sel:DWORD
	s_and_b64 vcc, exec, s[0:1]
	s_cbranch_vccnz .LBB47_19
; %bb.12:
	v_mov_b32_e32 v7, 25
	v_cmp_gt_i16_sdwa s[0:1], v4, v7 src0_sel:BYTE_0 src1_sel:DWORD
	s_and_b64 vcc, exec, s[0:1]
	s_cbranch_vccz .LBB47_31
; %bb.13:
	v_mov_b32_e32 v7, 28
	v_cmp_gt_i16_sdwa s[0:1], v4, v7 src0_sel:BYTE_0 src1_sel:DWORD
	s_and_b64 vcc, exec, s[0:1]
	s_cbranch_vccz .LBB47_34
	;; [unrolled: 5-line block ×4, first 2 shown]
; %bb.16:
	v_mov_b32_e32 v7, 46
	v_cmp_eq_u16_sdwa s[0:1], v4, v7 src0_sel:BYTE_0 src1_sel:DWORD
	s_mov_b64 s[6:7], 0
	s_and_b64 vcc, exec, s[0:1]
	s_cbranch_vccz .LBB47_155
; %bb.17:
	global_load_dword v7, v[0:1], off
	s_mov_b64 s[0:1], -1
	s_mov_b64 s[18:19], 0
	s_branch .LBB47_157
.LBB47_18:
	s_mov_b64 s[0:1], 0
                                        ; implicit-def: $vgpr6
	s_cbranch_execnz .LBB47_72
	s_branch .LBB47_106
.LBB47_19:
	s_mov_b64 s[18:19], 0
                                        ; implicit-def: $vgpr7
	s_mov_b64 s[0:1], 0
	s_cbranch_execnz .LBB47_334
.LBB47_20:
	s_andn2_b64 vcc, exec, s[0:1]
	s_cbranch_vccnz .LBB47_382
.LBB47_21:
	v_lshlrev_b32_e32 v0, 16, v6
	v_cmp_nlt_f32_e32 vcc, 0, v0
	s_and_saveexec_b64 s[0:1], vcc
	s_cbranch_execz .LBB47_23
; %bb.22:
	s_waitcnt vmcnt(0)
	v_lshlrev_b32_e32 v1, 16, v7
	v_mul_f32_e32 v0, v0, v1
	v_bfe_u32 v1, v0, 16, 1
	s_movk_i32 s6, 0x7fff
	v_add3_u32 v1, v0, v1, s6
	v_lshrrev_b32_e32 v1, 16, v1
	v_mov_b32_e32 v6, 0x7fc0
	v_cmp_o_f32_e32 vcc, v0, v0
	v_cndmask_b32_e32 v6, v6, v1, vcc
.LBB47_23:
	s_or_b64 exec, exec, s[0:1]
	v_mul_lo_u32 v0, v3, s12
	v_ashrrev_i32_e32 v1, 31, v0
	s_waitcnt vmcnt(0)
	v_mov_b32_e32 v7, s9
	v_add_co_u32_e32 v0, vcc, s8, v0
	v_addc_co_u32_e32 v1, vcc, v7, v1, vcc
	v_mov_b32_e32 v7, 11
	v_cmp_lt_i16_sdwa s[0:1], v2, v7 src0_sel:BYTE_0 src1_sel:DWORD
	s_and_b64 vcc, exec, s[0:1]
	s_cbranch_vccnz .LBB47_32
; %bb.24:
	v_mov_b32_e32 v7, 25
	v_cmp_gt_i16_sdwa s[0:1], v2, v7 src0_sel:BYTE_0 src1_sel:DWORD
	s_and_b64 vcc, exec, s[0:1]
	s_cbranch_vccz .LBB47_35
; %bb.25:
	v_mov_b32_e32 v7, 28
	v_cmp_gt_i16_sdwa s[0:1], v2, v7 src0_sel:BYTE_0 src1_sel:DWORD
	s_and_b64 vcc, exec, s[0:1]
	s_cbranch_vccz .LBB47_38
	;; [unrolled: 5-line block ×4, first 2 shown]
; %bb.28:
	v_mov_b32_e32 v7, 46
	v_cmp_eq_u16_sdwa s[6:7], v2, v7 src0_sel:BYTE_0 src1_sel:DWORD
	s_mov_b64 s[24:25], 0
	s_mov_b64 s[0:1], -1
	s_and_b64 vcc, exec, s[6:7]
	s_mov_b64 s[6:7], 0
	s_cbranch_vccz .LBB47_161
; %bb.29:
	v_and_b32_e32 v7, 0xffff, v6
	global_store_dword v[0:1], v7, off
	s_mov_b64 s[6:7], -1
	s_mov_b64 s[0:1], 0
	s_branch .LBB47_161
.LBB47_30:
	s_mov_b64 s[6:7], -1
	s_mov_b64 s[0:1], 0
                                        ; implicit-def: $vgpr6
	s_branch .LBB47_53
.LBB47_31:
	s_mov_b64 s[6:7], -1
	s_mov_b64 s[18:19], 0
	s_mov_b64 s[0:1], 0
                                        ; implicit-def: $vgpr7
	s_branch .LBB47_298
.LBB47_32:
	s_mov_b64 s[24:25], -1
	s_mov_b64 s[0:1], 0
	s_mov_b64 s[6:7], 0
	s_branch .LBB47_230
.LBB47_33:
	s_mov_b64 s[6:7], -1
	s_mov_b64 s[0:1], 0
                                        ; implicit-def: $vgpr6
	s_branch .LBB47_48
.LBB47_34:
	s_mov_b64 s[6:7], -1
	s_mov_b64 s[18:19], 0
	s_mov_b64 s[0:1], 0
                                        ; implicit-def: $vgpr7
	s_branch .LBB47_279
.LBB47_35:
	s_mov_b64 s[24:25], -1
	s_mov_b64 s[0:1], 0
	s_mov_b64 s[6:7], 0
	s_branch .LBB47_188
.LBB47_36:
	s_mov_b64 s[6:7], -1
	s_branch .LBB47_40
.LBB47_37:
	s_mov_b64 s[6:7], -1
	s_mov_b64 s[18:19], 0
	s_mov_b64 s[0:1], 0
                                        ; implicit-def: $vgpr7
	s_branch .LBB47_274
.LBB47_38:
	s_mov_b64 s[24:25], -1
	s_mov_b64 s[0:1], 0
	s_mov_b64 s[6:7], 0
	s_branch .LBB47_171
.LBB47_39:
	s_mov_b64 s[20:21], -1
.LBB47_40:
	s_mov_b64 s[0:1], 0
                                        ; implicit-def: $vgpr6
.LBB47_41:
	s_and_b64 vcc, exec, s[6:7]
	s_cbranch_vccz .LBB47_47
; %bb.42:
	s_waitcnt vmcnt(0)
	v_mov_b32_e32 v6, 44
	v_cmp_eq_u16_sdwa s[6:7], v5, v6 src0_sel:BYTE_0 src1_sel:DWORD
	s_and_b64 vcc, exec, s[6:7]
	s_cbranch_vccz .LBB47_46
; %bb.43:
	global_load_ubyte v6, v[0:1], off
	s_movk_i32 s6, 0xff
	v_mov_b32_e32 v7, 0x7f800001
	v_mov_b32_e32 v8, 0x400000
	v_mov_b32_e32 v9, 0x7fc0
	s_mov_b64 s[0:1], -1
	s_mov_b64 s[20:21], 0
	s_waitcnt vmcnt(0)
	v_lshlrev_b32_e32 v10, 23, v6
	v_cmp_ne_u32_e32 vcc, s6, v6
	v_cndmask_b32_e32 v7, v7, v10, vcc
	v_cmp_ne_u32_e32 vcc, 0, v6
	v_cndmask_b32_e32 v6, v8, v7, vcc
	v_add_u32_e32 v7, 0x7fff, v6
	v_lshrrev_b32_e32 v7, 16, v7
	v_cmp_o_f32_e32 vcc, v6, v6
	v_cndmask_b32_e32 v6, v9, v7, vcc
	s_branch .LBB47_47
.LBB47_44:
	s_mov_b64 s[6:7], -1
	s_mov_b64 s[18:19], 0
	s_branch .LBB47_156
.LBB47_45:
	s_mov_b64 s[24:25], -1
	s_mov_b64 s[0:1], 0
	s_mov_b64 s[6:7], 0
	s_branch .LBB47_167
.LBB47_46:
	s_mov_b64 s[20:21], -1
                                        ; implicit-def: $vgpr6
.LBB47_47:
	s_mov_b64 s[6:7], 0
.LBB47_48:
	s_and_b64 vcc, exec, s[6:7]
	s_cbranch_vccz .LBB47_52
; %bb.49:
	s_waitcnt vmcnt(0)
	v_mov_b32_e32 v6, 29
	v_cmp_eq_u16_sdwa s[6:7], v5, v6 src0_sel:BYTE_0 src1_sel:DWORD
	s_and_b64 vcc, exec, s[6:7]
	s_cbranch_vccz .LBB47_51
; %bb.50:
	global_load_dwordx2 v[6:7], v[0:1], off
	s_movk_i32 s6, 0x7fff
	s_mov_b64 s[0:1], -1
	s_mov_b64 s[20:21], 0
	s_waitcnt vmcnt(0)
	v_ffbh_u32_e32 v8, v7
	v_min_u32_e32 v8, 32, v8
	v_lshlrev_b64 v[6:7], v8, v[6:7]
	v_min_u32_e32 v6, 1, v6
	v_or_b32_e32 v6, v7, v6
	v_cvt_f32_u32_e32 v6, v6
	v_sub_u32_e32 v7, 32, v8
	v_ldexp_f32 v6, v6, v7
	v_bfe_u32 v7, v6, 16, 1
	v_add3_u32 v6, v6, v7, s6
	v_lshrrev_b32_e32 v6, 16, v6
	s_branch .LBB47_52
.LBB47_51:
	s_mov_b64 s[20:21], -1
                                        ; implicit-def: $vgpr6
.LBB47_52:
	s_mov_b64 s[6:7], 0
.LBB47_53:
	s_and_b64 vcc, exec, s[6:7]
	s_cbranch_vccz .LBB47_71
; %bb.54:
	s_waitcnt vmcnt(0)
	v_mov_b32_e32 v6, 27
	v_cmp_lt_i16_sdwa s[0:1], v5, v6 src0_sel:BYTE_0 src1_sel:DWORD
	s_and_b64 vcc, exec, s[0:1]
	s_cbranch_vccnz .LBB47_57
; %bb.55:
	v_cmp_gt_i16_sdwa s[0:1], v5, v6 src0_sel:BYTE_0 src1_sel:DWORD
	s_and_b64 vcc, exec, s[0:1]
	s_cbranch_vccz .LBB47_58
; %bb.56:
	global_load_dword v6, v[0:1], off
	s_movk_i32 s0, 0x7fff
	s_waitcnt vmcnt(0)
	v_cvt_f32_u32_e32 v6, v6
	v_bfe_u32 v7, v6, 16, 1
	v_add3_u32 v6, v6, v7, s0
	v_lshrrev_b32_e32 v6, 16, v6
	s_mov_b64 s[0:1], 0
	s_branch .LBB47_59
.LBB47_57:
	s_mov_b64 s[0:1], -1
                                        ; implicit-def: $vgpr6
	s_branch .LBB47_62
.LBB47_58:
	s_mov_b64 s[0:1], -1
                                        ; implicit-def: $vgpr6
.LBB47_59:
	s_andn2_b64 vcc, exec, s[0:1]
	s_cbranch_vccnz .LBB47_61
; %bb.60:
	global_load_ushort v6, v[0:1], off
	s_movk_i32 s0, 0x7fff
	s_waitcnt vmcnt(0)
	v_cvt_f32_u32_e32 v6, v6
	v_bfe_u32 v7, v6, 16, 1
	v_add3_u32 v6, v6, v7, s0
	v_lshrrev_b32_e32 v6, 16, v6
.LBB47_61:
	s_mov_b64 s[0:1], 0
.LBB47_62:
	s_andn2_b64 vcc, exec, s[0:1]
	s_cbranch_vccnz .LBB47_70
; %bb.63:
	global_load_ubyte v6, v[0:1], off
	s_movk_i32 s0, 0x7f
                                        ; implicit-def: $sgpr15
	s_waitcnt vmcnt(0)
	v_cmp_lt_i16_e32 vcc, s0, v6
	s_mov_b64 s[0:1], 0
	s_and_saveexec_b64 s[6:7], vcc
	s_xor_b64 s[6:7], exec, s[6:7]
	s_cbranch_execz .LBB47_83
; %bb.64:
	s_movk_i32 s0, 0x80
	v_cmp_eq_u16_e32 vcc, s0, v6
	s_mov_b64 s[0:1], -1
                                        ; implicit-def: $sgpr15
	s_and_saveexec_b64 s[18:19], vcc
; %bb.65:
	s_mov_b32 s15, 0x7f800001
	s_xor_b64 s[0:1], exec, -1
; %bb.66:
	s_or_b64 exec, exec, s[18:19]
	s_and_b64 s[0:1], s[0:1], exec
	s_or_saveexec_b64 s[6:7], s[6:7]
	v_mov_b32_e32 v7, s15
	s_xor_b64 exec, exec, s[6:7]
	s_cbranch_execnz .LBB47_84
.LBB47_67:
	s_or_b64 exec, exec, s[6:7]
	s_and_saveexec_b64 s[6:7], s[0:1]
	s_cbranch_execz .LBB47_69
.LBB47_68:
	v_lshlrev_b32_e32 v7, 24, v6
	v_and_b32_e32 v6, 0xffff, v6
	v_and_b32_e32 v8, 7, v6
	v_ffbh_u32_e32 v10, v8
	v_min_u32_e32 v10, 32, v10
	v_subrev_u32_e32 v11, 28, v10
	v_bfe_u32 v9, v6, 3, 4
	v_lshlrev_b32_e32 v6, v11, v6
	v_sub_u32_e32 v10, 29, v10
	v_and_b32_e32 v6, 7, v6
	v_cmp_eq_u32_e32 vcc, 0, v9
	v_cndmask_b32_e32 v9, v9, v10, vcc
	v_cndmask_b32_e32 v6, v8, v6, vcc
	v_mov_b32_e32 v8, 0x3b800000
	v_lshlrev_b32_e32 v6, 20, v6
	v_and_b32_e32 v7, 0x80000000, v7
	v_lshl_add_u32 v8, v9, 23, v8
	v_or3_b32 v7, v7, v8, v6
.LBB47_69:
	s_or_b64 exec, exec, s[6:7]
	v_bfe_u32 v6, v7, 16, 1
	s_movk_i32 s0, 0x7fff
	v_add3_u32 v6, v7, v6, s0
	v_lshrrev_b32_e32 v6, 16, v6
	v_mov_b32_e32 v8, 0x7fc0
	v_cmp_o_f32_e32 vcc, v7, v7
	v_cndmask_b32_e32 v6, v8, v6, vcc
.LBB47_70:
	s_mov_b64 s[0:1], -1
.LBB47_71:
	s_branch .LBB47_106
.LBB47_72:
	s_waitcnt vmcnt(0)
	v_mov_b32_e32 v6, 22
	v_cmp_gt_i16_sdwa s[6:7], v5, v6 src0_sel:BYTE_0 src1_sel:DWORD
	s_and_b64 vcc, exec, s[6:7]
	s_cbranch_vccz .LBB47_82
; %bb.73:
	v_mov_b32_e32 v6, 24
	v_cmp_lt_i16_sdwa s[0:1], v5, v6 src0_sel:BYTE_0 src1_sel:DWORD
	s_and_b64 vcc, exec, s[0:1]
	s_cbranch_vccnz .LBB47_85
; %bb.74:
	v_cmp_gt_i16_sdwa s[0:1], v5, v6 src0_sel:BYTE_0 src1_sel:DWORD
	s_and_b64 vcc, exec, s[0:1]
	s_cbranch_vccz .LBB47_86
; %bb.75:
	global_load_ubyte v6, v[0:1], off
	s_movk_i32 s0, 0x7f
                                        ; implicit-def: $sgpr15
	s_waitcnt vmcnt(0)
	v_cmp_lt_i16_e32 vcc, s0, v6
	s_mov_b64 s[0:1], 0
	s_and_saveexec_b64 s[6:7], vcc
	s_xor_b64 s[6:7], exec, s[6:7]
	s_cbranch_execz .LBB47_98
; %bb.76:
	s_movk_i32 s0, 0x80
	v_cmp_eq_u16_e32 vcc, s0, v6
	s_mov_b64 s[0:1], -1
                                        ; implicit-def: $sgpr15
	s_and_saveexec_b64 s[18:19], vcc
; %bb.77:
	s_mov_b32 s15, 0x7f800001
	s_xor_b64 s[0:1], exec, -1
; %bb.78:
	s_or_b64 exec, exec, s[18:19]
	s_and_b64 s[0:1], s[0:1], exec
	s_or_saveexec_b64 s[6:7], s[6:7]
	v_mov_b32_e32 v7, s15
	s_xor_b64 exec, exec, s[6:7]
	s_cbranch_execnz .LBB47_99
.LBB47_79:
	s_or_b64 exec, exec, s[6:7]
	s_and_saveexec_b64 s[6:7], s[0:1]
	s_cbranch_execz .LBB47_81
.LBB47_80:
	v_lshlrev_b32_e32 v7, 24, v6
	v_and_b32_e32 v6, 0xffff, v6
	v_and_b32_e32 v8, 3, v6
	v_ffbh_u32_e32 v10, v8
	v_min_u32_e32 v10, 32, v10
	v_subrev_u32_e32 v11, 29, v10
	v_bfe_u32 v9, v6, 2, 5
	v_lshlrev_b32_e32 v6, v11, v6
	v_sub_u32_e32 v10, 30, v10
	v_and_b32_e32 v6, 3, v6
	v_cmp_eq_u32_e32 vcc, 0, v9
	v_cndmask_b32_e32 v9, v9, v10, vcc
	v_cndmask_b32_e32 v6, v8, v6, vcc
	v_mov_b32_e32 v8, 0x37800000
	v_lshlrev_b32_e32 v6, 21, v6
	v_and_b32_e32 v7, 0x80000000, v7
	v_lshl_add_u32 v8, v9, 23, v8
	v_or3_b32 v7, v7, v8, v6
.LBB47_81:
	s_or_b64 exec, exec, s[6:7]
	v_bfe_u32 v6, v7, 16, 1
	s_movk_i32 s0, 0x7fff
	v_add3_u32 v6, v7, v6, s0
	v_lshrrev_b32_e32 v6, 16, v6
	v_mov_b32_e32 v8, 0x7fc0
	v_cmp_o_f32_e32 vcc, v7, v7
	v_cndmask_b32_e32 v6, v8, v6, vcc
	s_mov_b64 s[0:1], 0
	s_branch .LBB47_87
.LBB47_82:
	s_mov_b64 s[6:7], -1
                                        ; implicit-def: $vgpr6
	s_branch .LBB47_93
.LBB47_83:
	s_or_saveexec_b64 s[6:7], s[6:7]
	v_mov_b32_e32 v7, s15
	s_xor_b64 exec, exec, s[6:7]
	s_cbranch_execz .LBB47_67
.LBB47_84:
	v_cmp_ne_u16_e32 vcc, 0, v6
	s_andn2_b64 s[0:1], s[0:1], exec
	s_and_b64 s[18:19], vcc, exec
	v_mov_b32_e32 v7, 0
	s_or_b64 s[0:1], s[0:1], s[18:19]
	s_or_b64 exec, exec, s[6:7]
	s_and_saveexec_b64 s[6:7], s[0:1]
	s_cbranch_execnz .LBB47_68
	s_branch .LBB47_69
.LBB47_85:
	s_mov_b64 s[0:1], -1
                                        ; implicit-def: $vgpr6
	s_branch .LBB47_90
.LBB47_86:
	s_mov_b64 s[0:1], -1
                                        ; implicit-def: $vgpr6
.LBB47_87:
	s_and_b64 vcc, exec, s[0:1]
	s_cbranch_vccz .LBB47_89
; %bb.88:
	global_load_ubyte v6, v[0:1], off
	s_mov_b32 s0, 0x7f800000
	s_brev_b32 s1, 1
	s_movk_i32 s6, 0x7fff
	v_mov_b32_e32 v7, 0x7fc0
	s_waitcnt vmcnt(0)
	v_lshlrev_b32_e32 v6, 24, v6
	v_and_b32_e32 v8, 0x7f000000, v6
	v_ffbh_u32_e32 v9, v8
	v_min_u32_e32 v9, 32, v9
	v_sub_u32_e64 v9, v9, 4 clamp
	v_lshlrev_b32_e32 v11, v9, v8
	v_lshlrev_b32_e32 v9, 23, v9
	v_lshrrev_b32_e32 v11, 4, v11
	v_add_u32_e32 v10, 0x1000000, v8
	v_sub_u32_e32 v9, v11, v9
	v_ashrrev_i32_e32 v10, 8, v10
	v_add_u32_e32 v9, 0x3c000000, v9
	v_and_or_b32 v9, v10, s0, v9
	v_cmp_ne_u32_e32 vcc, 0, v8
	v_cndmask_b32_e32 v8, 0, v9, vcc
	v_and_or_b32 v6, v6, s1, v8
	v_bfe_u32 v8, v8, 16, 1
	v_add3_u32 v8, v6, v8, s6
	v_lshrrev_b32_e32 v8, 16, v8
	v_cmp_o_f32_e32 vcc, v6, v6
	v_cndmask_b32_e32 v6, v7, v8, vcc
.LBB47_89:
	s_mov_b64 s[0:1], 0
.LBB47_90:
	s_andn2_b64 vcc, exec, s[0:1]
	s_cbranch_vccnz .LBB47_92
; %bb.91:
	global_load_ubyte v6, v[0:1], off
	s_movk_i32 s0, 0x7f00
	s_brev_b32 s1, 16
	s_brev_b32 s6, 1
	s_movk_i32 s7, 0x7fff
	v_mov_b32_e32 v7, 0x7fc0
	s_waitcnt vmcnt(0)
	v_lshlrev_b16_e32 v8, 8, v6
	v_lshlrev_b32_e32 v6, 25, v6
	v_lshrrev_b32_e32 v9, 4, v6
	v_and_or_b32 v10, v8, s0, 0.5
	v_or_b32_e32 v9, 0x70000000, v9
	v_add_f32_e32 v10, -0.5, v10
	v_mul_f32_e32 v9, 0x7800000, v9
	v_cmp_gt_u32_e32 vcc, s1, v6
	v_bfe_i32 v8, v8, 0, 16
	v_cndmask_b32_e32 v6, v9, v10, vcc
	v_and_or_b32 v8, v8, s6, v6
	v_bfe_u32 v6, v6, 16, 1
	v_add3_u32 v6, v8, v6, s7
	v_lshrrev_b32_e32 v6, 16, v6
	v_cmp_o_f32_e32 vcc, v8, v8
	v_cndmask_b32_e32 v6, v7, v6, vcc
.LBB47_92:
	s_mov_b64 s[6:7], 0
	s_mov_b64 s[0:1], -1
.LBB47_93:
	s_andn2_b64 vcc, exec, s[6:7]
	s_cbranch_vccnz .LBB47_106
; %bb.94:
	v_mov_b32_e32 v6, 14
	v_cmp_gt_i16_sdwa s[6:7], v5, v6 src0_sel:BYTE_0 src1_sel:DWORD
	s_and_b64 vcc, exec, s[6:7]
	s_cbranch_vccz .LBB47_97
; %bb.95:
	v_mov_b32_e32 v6, 15
	v_cmp_eq_u16_sdwa s[6:7], v5, v6 src0_sel:BYTE_0 src1_sel:DWORD
	s_and_b64 vcc, exec, s[6:7]
	s_cbranch_vccz .LBB47_100
; %bb.96:
	global_load_ushort v6, v[0:1], off
	s_mov_b64 s[0:1], -1
	s_mov_b64 s[20:21], 0
	s_branch .LBB47_101
.LBB47_97:
	s_mov_b64 s[6:7], -1
                                        ; implicit-def: $vgpr6
	s_branch .LBB47_102
.LBB47_98:
	s_or_saveexec_b64 s[6:7], s[6:7]
	v_mov_b32_e32 v7, s15
	s_xor_b64 exec, exec, s[6:7]
	s_cbranch_execz .LBB47_79
.LBB47_99:
	v_cmp_ne_u16_e32 vcc, 0, v6
	s_andn2_b64 s[0:1], s[0:1], exec
	s_and_b64 s[18:19], vcc, exec
	v_mov_b32_e32 v7, 0
	s_or_b64 s[0:1], s[0:1], s[18:19]
	s_or_b64 exec, exec, s[6:7]
	s_and_saveexec_b64 s[6:7], s[0:1]
	s_cbranch_execnz .LBB47_80
	s_branch .LBB47_81
.LBB47_100:
	s_mov_b64 s[20:21], -1
                                        ; implicit-def: $vgpr6
.LBB47_101:
	s_mov_b64 s[6:7], 0
.LBB47_102:
	s_and_b64 vcc, exec, s[6:7]
	s_cbranch_vccz .LBB47_106
; %bb.103:
	s_waitcnt vmcnt(0)
	v_mov_b32_e32 v6, 11
	v_cmp_eq_u16_sdwa s[6:7], v5, v6 src0_sel:BYTE_0 src1_sel:DWORD
	s_and_b64 vcc, exec, s[6:7]
	s_cbranch_vccz .LBB47_105
; %bb.104:
	global_load_ubyte v6, v[0:1], off
	s_mov_b64 s[0:1], -1
	s_mov_b64 s[20:21], 0
	s_waitcnt vmcnt(0)
	v_cmp_ne_u16_e32 vcc, 0, v6
	v_cndmask_b32_e64 v6, 0, 1.0, vcc
	v_lshrrev_b32_e32 v6, 16, v6
	s_branch .LBB47_106
.LBB47_105:
	s_mov_b64 s[20:21], -1
                                        ; implicit-def: $vgpr6
.LBB47_106:
	s_branch .LBB47_10
.LBB47_107:
	s_waitcnt vmcnt(0)
	v_mov_b32_e32 v6, 5
	v_cmp_lt_i16_sdwa s[0:1], v5, v6 src0_sel:BYTE_0 src1_sel:DWORD
	s_and_b64 vcc, exec, s[0:1]
	s_cbranch_vccnz .LBB47_112
; %bb.108:
	v_mov_b32_e32 v6, 8
	v_cmp_lt_i16_sdwa s[0:1], v5, v6 src0_sel:BYTE_0 src1_sel:DWORD
	s_and_b64 vcc, exec, s[0:1]
	s_cbranch_vccnz .LBB47_113
; %bb.109:
	;; [unrolled: 5-line block ×3, first 2 shown]
	v_cmp_gt_i16_sdwa s[0:1], v5, v6 src0_sel:BYTE_0 src1_sel:DWORD
	s_and_b64 vcc, exec, s[0:1]
	s_cbranch_vccz .LBB47_115
; %bb.111:
	global_load_dwordx2 v[6:7], v[0:1], off
	s_movk_i32 s0, 0x7fff
	v_mov_b32_e32 v8, 0x7fc0
	s_waitcnt vmcnt(0)
	v_cvt_f32_f64_e32 v6, v[6:7]
	v_bfe_u32 v7, v6, 16, 1
	v_add3_u32 v7, v6, v7, s0
	v_lshrrev_b32_e32 v7, 16, v7
	v_cmp_o_f32_e32 vcc, v6, v6
	v_cndmask_b32_e32 v6, v8, v7, vcc
	s_mov_b64 s[0:1], 0
	s_branch .LBB47_116
.LBB47_112:
                                        ; implicit-def: $vgpr6
	s_branch .LBB47_134
.LBB47_113:
	s_mov_b64 s[0:1], -1
                                        ; implicit-def: $vgpr6
	s_branch .LBB47_122
.LBB47_114:
	s_mov_b64 s[0:1], -1
                                        ; implicit-def: $vgpr6
	s_branch .LBB47_119
.LBB47_115:
	s_mov_b64 s[0:1], -1
                                        ; implicit-def: $vgpr6
.LBB47_116:
	s_andn2_b64 vcc, exec, s[0:1]
	s_cbranch_vccnz .LBB47_118
; %bb.117:
	global_load_dword v6, v[0:1], off
	s_movk_i32 s0, 0x7fff
	v_mov_b32_e32 v7, 0x7fc0
	s_waitcnt vmcnt(0)
	v_bfe_u32 v8, v6, 16, 1
	v_add3_u32 v8, v6, v8, s0
	v_lshrrev_b32_e32 v8, 16, v8
	v_cmp_o_f32_e32 vcc, v6, v6
	v_cndmask_b32_e32 v6, v7, v8, vcc
.LBB47_118:
	s_mov_b64 s[0:1], 0
.LBB47_119:
	s_andn2_b64 vcc, exec, s[0:1]
	s_cbranch_vccnz .LBB47_121
; %bb.120:
	global_load_dword v6, v[0:1], off
	s_movk_i32 s0, 0x7fff
	v_mov_b32_e32 v8, 0x7fc0
	s_waitcnt vmcnt(0)
	v_cvt_f32_f16_e32 v7, v6
	v_cmp_o_f16_e32 vcc, v6, v6
	v_bfe_u32 v9, v7, 16, 1
	v_add3_u32 v7, v7, v9, s0
	v_lshrrev_b32_e32 v7, 16, v7
	v_cndmask_b32_e32 v6, v8, v7, vcc
.LBB47_121:
	s_mov_b64 s[0:1], 0
.LBB47_122:
	s_andn2_b64 vcc, exec, s[0:1]
	s_cbranch_vccnz .LBB47_133
; %bb.123:
	v_mov_b32_e32 v6, 6
	v_cmp_lt_i16_sdwa s[0:1], v5, v6 src0_sel:BYTE_0 src1_sel:DWORD
	s_and_b64 vcc, exec, s[0:1]
	s_cbranch_vccnz .LBB47_126
; %bb.124:
	v_cmp_gt_i16_sdwa s[0:1], v5, v6 src0_sel:BYTE_0 src1_sel:DWORD
	s_and_b64 vcc, exec, s[0:1]
	s_cbranch_vccz .LBB47_127
; %bb.125:
	global_load_dwordx2 v[6:7], v[0:1], off
	s_movk_i32 s0, 0x7fff
	v_mov_b32_e32 v8, 0x7fc0
	s_waitcnt vmcnt(0)
	v_cvt_f32_f64_e32 v6, v[6:7]
	v_bfe_u32 v7, v6, 16, 1
	v_add3_u32 v7, v6, v7, s0
	v_lshrrev_b32_e32 v7, 16, v7
	v_cmp_o_f32_e32 vcc, v6, v6
	v_cndmask_b32_e32 v6, v8, v7, vcc
	s_mov_b64 s[0:1], 0
	s_branch .LBB47_128
.LBB47_126:
	s_mov_b64 s[0:1], -1
                                        ; implicit-def: $vgpr6
	s_branch .LBB47_131
.LBB47_127:
	s_mov_b64 s[0:1], -1
                                        ; implicit-def: $vgpr6
.LBB47_128:
	s_andn2_b64 vcc, exec, s[0:1]
	s_cbranch_vccnz .LBB47_130
; %bb.129:
	global_load_dword v6, v[0:1], off
	s_movk_i32 s0, 0x7fff
	v_mov_b32_e32 v7, 0x7fc0
	s_waitcnt vmcnt(0)
	v_bfe_u32 v8, v6, 16, 1
	v_add3_u32 v8, v6, v8, s0
	v_lshrrev_b32_e32 v8, 16, v8
	v_cmp_o_f32_e32 vcc, v6, v6
	v_cndmask_b32_e32 v6, v7, v8, vcc
.LBB47_130:
	s_mov_b64 s[0:1], 0
.LBB47_131:
	s_andn2_b64 vcc, exec, s[0:1]
	s_cbranch_vccnz .LBB47_133
; %bb.132:
	global_load_ushort v6, v[0:1], off
	s_movk_i32 s0, 0x7fff
	v_mov_b32_e32 v8, 0x7fc0
	s_waitcnt vmcnt(0)
	v_cvt_f32_f16_e32 v7, v6
	v_cmp_o_f16_e32 vcc, v6, v6
	v_bfe_u32 v9, v7, 16, 1
	v_add3_u32 v7, v7, v9, s0
	v_lshrrev_b32_e32 v7, 16, v7
	v_cndmask_b32_e32 v6, v8, v7, vcc
.LBB47_133:
	s_cbranch_execnz .LBB47_153
.LBB47_134:
	v_mov_b32_e32 v6, 2
	v_cmp_lt_i16_sdwa s[0:1], v5, v6 src0_sel:BYTE_0 src1_sel:DWORD
	s_and_b64 vcc, exec, s[0:1]
	s_cbranch_vccnz .LBB47_138
; %bb.135:
	v_mov_b32_e32 v6, 3
	v_cmp_lt_i16_sdwa s[0:1], v5, v6 src0_sel:BYTE_0 src1_sel:DWORD
	s_and_b64 vcc, exec, s[0:1]
	s_cbranch_vccnz .LBB47_139
; %bb.136:
	v_cmp_gt_i16_sdwa s[0:1], v5, v6 src0_sel:BYTE_0 src1_sel:DWORD
	s_and_b64 vcc, exec, s[0:1]
	s_cbranch_vccz .LBB47_140
; %bb.137:
	global_load_dwordx2 v[6:7], v[0:1], off
	s_movk_i32 s0, 0x7fff
	s_waitcnt vmcnt(0)
	v_xor_b32_e32 v9, v6, v7
	v_ffbh_i32_e32 v8, v7
	v_ashrrev_i32_e32 v9, 31, v9
	v_add_u32_e32 v8, -1, v8
	v_add_u32_e32 v9, 32, v9
	v_min_u32_e32 v8, v8, v9
	v_lshlrev_b64 v[6:7], v8, v[6:7]
	v_min_u32_e32 v6, 1, v6
	v_or_b32_e32 v6, v7, v6
	v_cvt_f32_i32_e32 v6, v6
	v_sub_u32_e32 v7, 32, v8
	v_ldexp_f32 v6, v6, v7
	v_bfe_u32 v7, v6, 16, 1
	v_add3_u32 v6, v6, v7, s0
	v_lshrrev_b32_e32 v6, 16, v6
	s_mov_b64 s[0:1], 0
	s_branch .LBB47_141
.LBB47_138:
	s_mov_b64 s[0:1], -1
                                        ; implicit-def: $vgpr6
	s_branch .LBB47_147
.LBB47_139:
	s_mov_b64 s[0:1], -1
                                        ; implicit-def: $vgpr6
	s_branch .LBB47_144
.LBB47_140:
	s_mov_b64 s[0:1], -1
                                        ; implicit-def: $vgpr6
.LBB47_141:
	s_andn2_b64 vcc, exec, s[0:1]
	s_cbranch_vccnz .LBB47_143
; %bb.142:
	global_load_dword v6, v[0:1], off
	s_movk_i32 s0, 0x7fff
	s_waitcnt vmcnt(0)
	v_cvt_f32_i32_e32 v6, v6
	v_bfe_u32 v7, v6, 16, 1
	v_add3_u32 v6, v6, v7, s0
	v_lshrrev_b32_e32 v6, 16, v6
.LBB47_143:
	s_mov_b64 s[0:1], 0
.LBB47_144:
	s_andn2_b64 vcc, exec, s[0:1]
	s_cbranch_vccnz .LBB47_146
; %bb.145:
	global_load_sshort v6, v[0:1], off
	s_movk_i32 s0, 0x7fff
	s_waitcnt vmcnt(0)
	v_cvt_f32_i32_e32 v6, v6
	v_bfe_u32 v7, v6, 16, 1
	v_add3_u32 v6, v6, v7, s0
	v_lshrrev_b32_e32 v6, 16, v6
.LBB47_146:
	s_mov_b64 s[0:1], 0
.LBB47_147:
	s_andn2_b64 vcc, exec, s[0:1]
	s_cbranch_vccnz .LBB47_153
; %bb.148:
	v_mov_b32_e32 v6, 0
	v_cmp_gt_i16_sdwa s[0:1], v5, v6 src0_sel:BYTE_0 src1_sel:DWORD
	s_and_b64 vcc, exec, s[0:1]
	s_cbranch_vccz .LBB47_150
; %bb.149:
	global_load_sbyte v6, v[0:1], off
	s_movk_i32 s0, 0x7fff
	s_waitcnt vmcnt(0)
	v_cvt_f32_i32_e32 v6, v6
	v_bfe_u32 v7, v6, 16, 1
	v_add3_u32 v6, v6, v7, s0
	v_lshrrev_b32_e32 v6, 16, v6
	s_mov_b64 s[0:1], 0
	s_branch .LBB47_151
.LBB47_150:
	s_mov_b64 s[0:1], -1
                                        ; implicit-def: $vgpr6
.LBB47_151:
	s_andn2_b64 vcc, exec, s[0:1]
	s_cbranch_vccnz .LBB47_153
; %bb.152:
	global_load_ubyte v0, v[0:1], off
	s_movk_i32 s0, 0x7fff
	s_waitcnt vmcnt(0)
	v_cvt_f32_ubyte0_e32 v0, v0
	v_bfe_u32 v1, v0, 16, 1
	v_add3_u32 v0, v0, v1, s0
	v_lshrrev_b32_e32 v6, 16, v0
.LBB47_153:
	s_branch .LBB47_11
.LBB47_154:
	s_mov_b64 s[0:1], 0
	s_mov_b64 s[18:19], 0
	s_branch .LBB47_383
.LBB47_155:
	s_mov_b64 s[18:19], -1
.LBB47_156:
	s_mov_b64 s[0:1], 0
                                        ; implicit-def: $vgpr7
.LBB47_157:
	s_and_b64 vcc, exec, s[6:7]
	s_cbranch_vccz .LBB47_273
; %bb.158:
	s_waitcnt vmcnt(0)
	v_mov_b32_e32 v7, 44
	v_cmp_eq_u16_sdwa s[6:7], v4, v7 src0_sel:BYTE_0 src1_sel:DWORD
	s_and_b64 vcc, exec, s[6:7]
	s_cbranch_vccz .LBB47_272
; %bb.159:
	global_load_ubyte v7, v[0:1], off
	s_movk_i32 s6, 0xff
	v_mov_b32_e32 v8, 0x7f800001
	v_mov_b32_e32 v9, 0x400000
	;; [unrolled: 1-line block ×3, first 2 shown]
	s_mov_b64 s[0:1], -1
	s_mov_b64 s[18:19], 0
	s_waitcnt vmcnt(0)
	v_lshlrev_b32_e32 v11, 23, v7
	v_cmp_ne_u32_e32 vcc, s6, v7
	v_cndmask_b32_e32 v8, v8, v11, vcc
	v_cmp_ne_u32_e32 vcc, 0, v7
	v_cndmask_b32_e32 v7, v9, v8, vcc
	v_add_u32_e32 v8, 0x7fff, v7
	v_lshrrev_b32_e32 v8, 16, v8
	v_cmp_o_f32_e32 vcc, v7, v7
	v_cndmask_b32_e32 v7, v10, v8, vcc
	s_branch .LBB47_273
.LBB47_160:
	s_mov_b64 s[24:25], -1
	s_mov_b64 s[0:1], 0
	s_mov_b64 s[6:7], 0
.LBB47_161:
	s_and_b64 vcc, exec, s[24:25]
	s_cbranch_vccz .LBB47_166
; %bb.162:
	v_mov_b32_e32 v7, 44
	v_cmp_eq_u16_sdwa s[24:25], v2, v7 src0_sel:BYTE_0 src1_sel:DWORD
	s_mov_b64 s[0:1], -1
	s_and_b64 vcc, exec, s[24:25]
	s_cbranch_vccz .LBB47_166
; %bb.163:
	v_and_b32_e32 v8, 0xffff, v6
	v_bfe_u32 v7, v8, 7, 8
	s_movk_i32 s0, 0xff
	v_cmp_ne_u32_e32 vcc, s0, v7
	v_mov_b32_e32 v9, 0xff
	s_and_saveexec_b64 s[6:7], vcc
; %bb.164:
	v_lshlrev_b32_e32 v10, 16, v8
	s_mov_b32 s0, 0x3f0000
	v_lshrrev_b32_e32 v9, 7, v8
	v_and_b32_e32 v8, 64, v8
	v_and_or_b32 v7, v10, s0, v7
	v_cmp_ne_u32_e32 vcc, 0, v8
	v_cmp_ne_u32_e64 s[0:1], 0, v7
	s_and_b64 s[0:1], vcc, s[0:1]
	v_cndmask_b32_e64 v7, 0, 1, s[0:1]
	v_add_u32_e32 v9, v9, v7
; %bb.165:
	s_or_b64 exec, exec, s[6:7]
	s_mov_b64 s[6:7], -1
	s_mov_b64 s[0:1], 0
	global_store_byte v[0:1], v9, off
.LBB47_166:
	s_mov_b64 s[24:25], 0
.LBB47_167:
	s_and_b64 vcc, exec, s[24:25]
	s_cbranch_vccz .LBB47_170
; %bb.168:
	v_mov_b32_e32 v7, 29
	v_cmp_eq_u16_sdwa s[24:25], v2, v7 src0_sel:BYTE_0 src1_sel:DWORD
	s_mov_b64 s[0:1], -1
	s_and_b64 vcc, exec, s[24:25]
	s_cbranch_vccz .LBB47_170
; %bb.169:
	v_lshlrev_b32_e32 v7, 16, v6
	v_trunc_f32_e32 v7, v7
	v_mul_f32_e32 v8, 0x2f800000, v7
	v_floor_f32_e32 v8, v8
	v_fmac_f32_e32 v7, 0xcf800000, v8
	v_cvt_u32_f32_e32 v9, v8
	v_cvt_u32_f32_e32 v8, v7
	s_mov_b64 s[6:7], -1
	s_mov_b64 s[0:1], 0
	s_mov_b64 s[24:25], 0
	global_store_dwordx2 v[0:1], v[8:9], off
	s_branch .LBB47_171
.LBB47_170:
	s_mov_b64 s[24:25], 0
.LBB47_171:
	s_and_b64 vcc, exec, s[24:25]
	s_cbranch_vccz .LBB47_187
; %bb.172:
	v_mov_b32_e32 v7, 27
	v_cmp_lt_i16_sdwa s[24:25], v2, v7 src0_sel:BYTE_0 src1_sel:DWORD
	s_mov_b64 s[6:7], -1
	s_and_b64 vcc, exec, s[24:25]
	s_cbranch_vccnz .LBB47_178
; %bb.173:
	v_cmp_gt_i16_sdwa s[24:25], v2, v7 src0_sel:BYTE_0 src1_sel:DWORD
	s_and_b64 vcc, exec, s[24:25]
	s_cbranch_vccz .LBB47_175
; %bb.174:
	v_lshlrev_b32_e32 v7, 16, v6
	v_cvt_u32_f32_e32 v7, v7
	s_mov_b64 s[6:7], 0
	global_store_dword v[0:1], v7, off
.LBB47_175:
	s_andn2_b64 vcc, exec, s[6:7]
	s_cbranch_vccnz .LBB47_177
; %bb.176:
	v_lshlrev_b32_e32 v7, 16, v6
	v_cvt_u32_f32_e32 v7, v7
	global_store_short v[0:1], v7, off
.LBB47_177:
	s_mov_b64 s[6:7], 0
.LBB47_178:
	s_andn2_b64 vcc, exec, s[6:7]
	s_cbranch_vccnz .LBB47_186
; %bb.179:
	v_lshlrev_b32_e32 v9, 16, v6
	v_and_b32_e32 v8, 0x7fffffff, v9
	s_mov_b32 s6, 0x43800000
	v_cmp_gt_u32_e32 vcc, s6, v8
	v_mov_b32_e32 v10, 0x80
	s_and_saveexec_b64 s[6:7], vcc
	s_cbranch_execz .LBB47_185
; %bb.180:
	s_mov_b32 s15, 0x3bffffff
	v_and_b32_e32 v7, 0xffff, v6
	v_cmp_lt_u32_e32 vcc, s15, v8
	s_mov_b64 s[24:25], 0
                                        ; implicit-def: $vgpr8
	s_and_saveexec_b64 s[28:29], vcc
	s_xor_b64 s[28:29], exec, s[28:29]
	s_cbranch_execz .LBB47_414
; %bb.181:
	v_bfe_u32 v8, v7, 4, 1
	s_mov_b32 s15, 0x487ffff
	v_add3_u32 v8, v9, v8, s15
	s_mov_b64 s[24:25], exec
	v_lshrrev_b32_e32 v8, 20, v8
                                        ; implicit-def: $vgpr9
	s_or_saveexec_b64 s[28:29], s[28:29]
                                        ; implicit-def: $sgpr15
	s_xor_b64 exec, exec, s[28:29]
	s_cbranch_execnz .LBB47_415
.LBB47_182:
	s_or_b64 exec, exec, s[28:29]
	v_mov_b32_e32 v10, s15
	s_and_saveexec_b64 s[28:29], s[24:25]
.LBB47_183:
	v_lshrrev_b32_e32 v7, 8, v7
	s_movk_i32 s15, 0x80
	v_and_or_b32 v10, v7, s15, v8
.LBB47_184:
	s_or_b64 exec, exec, s[28:29]
.LBB47_185:
	s_or_b64 exec, exec, s[6:7]
	global_store_byte v[0:1], v10, off
.LBB47_186:
	s_mov_b64 s[6:7], -1
.LBB47_187:
	s_mov_b64 s[24:25], 0
.LBB47_188:
	s_and_b64 vcc, exec, s[24:25]
	s_cbranch_vccz .LBB47_229
; %bb.189:
	v_mov_b32_e32 v7, 22
	v_cmp_gt_i16_sdwa s[28:29], v2, v7 src0_sel:BYTE_0 src1_sel:DWORD
	s_mov_b64 s[24:25], -1
	s_and_b64 vcc, exec, s[28:29]
	s_cbranch_vccz .LBB47_221
; %bb.190:
	v_mov_b32_e32 v7, 24
	v_cmp_lt_i16_sdwa s[24:25], v2, v7 src0_sel:BYTE_0 src1_sel:DWORD
	s_mov_b64 s[6:7], -1
	s_and_b64 vcc, exec, s[24:25]
	s_cbranch_vccnz .LBB47_210
; %bb.191:
	v_cmp_gt_i16_sdwa s[24:25], v2, v7 src0_sel:BYTE_0 src1_sel:DWORD
	s_and_b64 vcc, exec, s[24:25]
	s_cbranch_vccz .LBB47_199
; %bb.192:
	v_lshlrev_b32_e32 v9, 16, v6
	v_and_b32_e32 v8, 0x7fffffff, v9
	s_mov_b32 s6, 0x47800000
	v_cmp_gt_u32_e32 vcc, s6, v8
	v_mov_b32_e32 v10, 0x80
	s_and_saveexec_b64 s[6:7], vcc
	s_cbranch_execz .LBB47_198
; %bb.193:
	s_mov_b32 s15, 0x37ffffff
	v_and_b32_e32 v7, 0xffff, v6
	v_cmp_lt_u32_e32 vcc, s15, v8
	s_mov_b64 s[24:25], 0
                                        ; implicit-def: $vgpr8
	s_and_saveexec_b64 s[28:29], vcc
	s_xor_b64 s[28:29], exec, s[28:29]
	s_cbranch_execz .LBB47_533
; %bb.194:
	v_bfe_u32 v8, v7, 5, 1
	s_mov_b32 s15, 0x88fffff
	v_add3_u32 v8, v9, v8, s15
	s_mov_b64 s[24:25], exec
	v_lshrrev_b32_e32 v8, 21, v8
                                        ; implicit-def: $vgpr9
	s_or_saveexec_b64 s[28:29], s[28:29]
                                        ; implicit-def: $sgpr15
	s_xor_b64 exec, exec, s[28:29]
	s_cbranch_execnz .LBB47_534
.LBB47_195:
	s_or_b64 exec, exec, s[28:29]
	v_mov_b32_e32 v10, s15
	s_and_saveexec_b64 s[28:29], s[24:25]
.LBB47_196:
	v_lshrrev_b32_e32 v7, 8, v7
	s_movk_i32 s15, 0x80
	v_and_or_b32 v10, v7, s15, v8
.LBB47_197:
	s_or_b64 exec, exec, s[28:29]
.LBB47_198:
	s_or_b64 exec, exec, s[6:7]
	s_mov_b64 s[6:7], 0
	global_store_byte v[0:1], v10, off
.LBB47_199:
	s_and_b64 vcc, exec, s[6:7]
	s_cbranch_vccz .LBB47_209
; %bb.200:
	v_lshlrev_b32_e32 v9, 16, v6
	v_and_b32_e32 v10, 0x7fffffff, v9
	s_mov_b32 s6, 0x43f00000
	v_and_b32_e32 v7, 0xffff, v6
	v_cmp_gt_u32_e32 vcc, s6, v10
                                        ; implicit-def: $vgpr8
	s_and_saveexec_b64 s[6:7], vcc
	s_xor_b64 s[6:7], exec, s[6:7]
	s_cbranch_execz .LBB47_206
; %bb.201:
	s_mov_b32 s15, 0x3c7fffff
	v_cmp_lt_u32_e32 vcc, s15, v10
                                        ; implicit-def: $vgpr8
	s_and_saveexec_b64 s[24:25], vcc
	s_xor_b64 s[24:25], exec, s[24:25]
; %bb.202:
	v_bfe_u32 v8, v7, 4, 1
	s_mov_b32 s15, 0x407ffff
	v_add3_u32 v8, v9, v8, s15
	v_lshrrev_b32_e32 v9, 20, v8
	v_and_b32_e32 v8, 0xff00000, v8
	s_mov_b32 s15, 0x7f00000
	v_mov_b32_e32 v10, 0x7e
	v_cmp_ne_u32_e32 vcc, s15, v8
	v_cndmask_b32_e32 v8, v10, v9, vcc
                                        ; implicit-def: $vgpr9
; %bb.203:
	s_andn2_saveexec_b64 s[24:25], s[24:25]
; %bb.204:
	s_mov_b32 s15, 0x46800000
	v_add_f32_e64 v8, |v9|, s15
; %bb.205:
	s_or_b64 exec, exec, s[24:25]
                                        ; implicit-def: $vgpr10
.LBB47_206:
	s_andn2_saveexec_b64 s[6:7], s[6:7]
; %bb.207:
	s_mov_b32 s15, 0x7f800000
	v_mov_b32_e32 v8, 0x7e
	v_mov_b32_e32 v9, 0x7f
	v_cmp_lt_u32_e32 vcc, s15, v10
	v_cndmask_b32_e32 v8, v8, v9, vcc
; %bb.208:
	s_or_b64 exec, exec, s[6:7]
	v_lshrrev_b32_e32 v7, 8, v7
	s_movk_i32 s6, 0x80
	v_and_or_b32 v7, v7, s6, v8
	global_store_byte v[0:1], v7, off
.LBB47_209:
	s_mov_b64 s[6:7], 0
.LBB47_210:
	s_andn2_b64 vcc, exec, s[6:7]
	s_cbranch_vccnz .LBB47_220
; %bb.211:
	v_lshlrev_b32_e32 v9, 16, v6
	v_and_b32_e32 v10, 0x7fffffff, v9
	s_mov_b32 s6, 0x47800000
	v_and_b32_e32 v7, 0xffff, v6
	v_cmp_gt_u32_e32 vcc, s6, v10
                                        ; implicit-def: $vgpr8
	s_and_saveexec_b64 s[6:7], vcc
	s_xor_b64 s[6:7], exec, s[6:7]
	s_cbranch_execz .LBB47_217
; %bb.212:
	s_mov_b32 s15, 0x387fffff
	v_cmp_lt_u32_e32 vcc, s15, v10
                                        ; implicit-def: $vgpr8
	s_and_saveexec_b64 s[24:25], vcc
	s_xor_b64 s[24:25], exec, s[24:25]
; %bb.213:
	v_bfe_u32 v8, v7, 5, 1
	s_mov_b32 s15, 0x80fffff
	v_add3_u32 v8, v9, v8, s15
	v_lshrrev_b32_e32 v8, 21, v8
                                        ; implicit-def: $vgpr9
; %bb.214:
	s_andn2_saveexec_b64 s[24:25], s[24:25]
; %bb.215:
	s_mov_b32 s15, 0x43000000
	v_add_f32_e64 v8, |v9|, s15
; %bb.216:
	s_or_b64 exec, exec, s[24:25]
                                        ; implicit-def: $vgpr10
.LBB47_217:
	s_andn2_saveexec_b64 s[6:7], s[6:7]
; %bb.218:
	s_mov_b32 s15, 0x7f800000
	v_mov_b32_e32 v8, 0x7c
	v_mov_b32_e32 v9, 0x7f
	v_cmp_lt_u32_e32 vcc, s15, v10
	v_cndmask_b32_e32 v8, v8, v9, vcc
; %bb.219:
	s_or_b64 exec, exec, s[6:7]
	v_lshrrev_b32_e32 v7, 8, v7
	s_movk_i32 s6, 0x80
	v_and_or_b32 v7, v7, s6, v8
	global_store_byte v[0:1], v7, off
.LBB47_220:
	s_mov_b64 s[24:25], 0
	s_mov_b64 s[6:7], -1
.LBB47_221:
	s_andn2_b64 vcc, exec, s[24:25]
	s_cbranch_vccnz .LBB47_229
; %bb.222:
	v_mov_b32_e32 v7, 14
	v_cmp_gt_i16_sdwa s[28:29], v2, v7 src0_sel:BYTE_0 src1_sel:DWORD
	s_mov_b64 s[24:25], -1
	s_and_b64 vcc, exec, s[28:29]
	s_cbranch_vccz .LBB47_226
; %bb.223:
	v_mov_b32_e32 v7, 15
	v_cmp_eq_u16_sdwa s[24:25], v2, v7 src0_sel:BYTE_0 src1_sel:DWORD
	s_mov_b64 s[0:1], -1
	s_and_b64 vcc, exec, s[24:25]
	s_cbranch_vccz .LBB47_225
; %bb.224:
	global_store_short v[0:1], v6, off
	s_mov_b64 s[6:7], -1
	s_mov_b64 s[0:1], 0
.LBB47_225:
	s_mov_b64 s[24:25], 0
.LBB47_226:
	s_and_b64 vcc, exec, s[24:25]
	s_cbranch_vccz .LBB47_229
; %bb.227:
	v_mov_b32_e32 v7, 11
	v_cmp_eq_u16_sdwa s[24:25], v2, v7 src0_sel:BYTE_0 src1_sel:DWORD
	s_mov_b64 s[0:1], -1
	s_and_b64 vcc, exec, s[24:25]
	s_cbranch_vccz .LBB47_229
; %bb.228:
	v_and_b32_e32 v7, 0x7fff, v6
	v_cmp_ne_u16_e32 vcc, 0, v7
	v_cndmask_b32_e64 v7, 0, 1, vcc
	s_mov_b64 s[6:7], -1
	s_mov_b64 s[0:1], 0
	global_store_byte v[0:1], v7, off
.LBB47_229:
	s_mov_b64 s[24:25], 0
.LBB47_230:
	s_and_b64 vcc, exec, s[24:25]
	s_cbranch_vccz .LBB47_269
; %bb.231:
	v_mov_b32_e32 v7, 5
	v_cmp_lt_i16_sdwa s[24:25], v2, v7 src0_sel:BYTE_0 src1_sel:DWORD
	s_mov_b64 s[6:7], -1
	s_and_b64 vcc, exec, s[24:25]
	s_cbranch_vccnz .LBB47_252
; %bb.232:
	v_mov_b32_e32 v7, 8
	v_cmp_lt_i16_sdwa s[24:25], v2, v7 src0_sel:BYTE_0 src1_sel:DWORD
	s_and_b64 vcc, exec, s[24:25]
	s_cbranch_vccnz .LBB47_242
; %bb.233:
	v_mov_b32_e32 v7, 9
	v_cmp_lt_i16_sdwa s[24:25], v2, v7 src0_sel:BYTE_0 src1_sel:DWORD
	s_and_b64 vcc, exec, s[24:25]
	s_cbranch_vccnz .LBB47_239
; %bb.234:
	v_cmp_gt_i16_sdwa s[24:25], v2, v7 src0_sel:BYTE_0 src1_sel:DWORD
	s_and_b64 vcc, exec, s[24:25]
	s_cbranch_vccz .LBB47_236
; %bb.235:
	v_lshlrev_b32_e32 v7, 16, v6
	v_mov_b32_e32 v10, 0
	v_cvt_f64_f32_e32 v[8:9], v7
	v_mov_b32_e32 v11, v10
	global_store_dwordx4 v[0:1], v[8:11], off
	s_mov_b64 s[6:7], 0
.LBB47_236:
	s_andn2_b64 vcc, exec, s[6:7]
	s_cbranch_vccnz .LBB47_238
; %bb.237:
	v_lshlrev_b32_e32 v8, 16, v6
	v_mov_b32_e32 v9, 0
	global_store_dwordx2 v[0:1], v[8:9], off
.LBB47_238:
	s_mov_b64 s[6:7], 0
.LBB47_239:
	s_andn2_b64 vcc, exec, s[6:7]
	s_cbranch_vccnz .LBB47_241
; %bb.240:
	v_lshlrev_b32_e32 v7, 16, v6
	v_cvt_f16_f32_e32 v7, v7
	global_store_dword v[0:1], v7, off
.LBB47_241:
	s_mov_b64 s[6:7], 0
.LBB47_242:
	s_andn2_b64 vcc, exec, s[6:7]
	s_cbranch_vccnz .LBB47_251
; %bb.243:
	v_mov_b32_e32 v7, 6
	v_cmp_lt_i16_sdwa s[24:25], v2, v7 src0_sel:BYTE_0 src1_sel:DWORD
	s_mov_b64 s[6:7], -1
	s_and_b64 vcc, exec, s[24:25]
	s_cbranch_vccnz .LBB47_249
; %bb.244:
	v_cmp_gt_i16_sdwa s[24:25], v2, v7 src0_sel:BYTE_0 src1_sel:DWORD
	s_and_b64 vcc, exec, s[24:25]
	s_cbranch_vccz .LBB47_246
; %bb.245:
	v_lshlrev_b32_e32 v7, 16, v6
	v_cvt_f64_f32_e32 v[8:9], v7
	global_store_dwordx2 v[0:1], v[8:9], off
	s_mov_b64 s[6:7], 0
.LBB47_246:
	s_andn2_b64 vcc, exec, s[6:7]
	s_cbranch_vccnz .LBB47_248
; %bb.247:
	v_lshlrev_b32_e32 v7, 16, v6
	global_store_dword v[0:1], v7, off
.LBB47_248:
	s_mov_b64 s[6:7], 0
.LBB47_249:
	s_andn2_b64 vcc, exec, s[6:7]
	s_cbranch_vccnz .LBB47_251
; %bb.250:
	v_lshlrev_b32_e32 v7, 16, v6
	v_cvt_f16_f32_e32 v7, v7
	global_store_short v[0:1], v7, off
.LBB47_251:
	s_mov_b64 s[6:7], 0
.LBB47_252:
	s_andn2_b64 vcc, exec, s[6:7]
	s_cbranch_vccnz .LBB47_268
; %bb.253:
	v_mov_b32_e32 v7, 2
	v_cmp_lt_i16_sdwa s[24:25], v2, v7 src0_sel:BYTE_0 src1_sel:DWORD
	s_mov_b64 s[6:7], -1
	s_and_b64 vcc, exec, s[24:25]
	s_cbranch_vccnz .LBB47_263
; %bb.254:
	v_mov_b32_e32 v7, 3
	v_cmp_lt_i16_sdwa s[24:25], v2, v7 src0_sel:BYTE_0 src1_sel:DWORD
	s_and_b64 vcc, exec, s[24:25]
	s_cbranch_vccnz .LBB47_260
; %bb.255:
	v_cmp_gt_i16_sdwa s[24:25], v2, v7 src0_sel:BYTE_0 src1_sel:DWORD
	s_and_b64 vcc, exec, s[24:25]
	s_cbranch_vccz .LBB47_257
; %bb.256:
	v_lshlrev_b32_e32 v7, 16, v6
	v_trunc_f32_e32 v7, v7
	s_mov_b32 s6, 0x2f800000
	v_mul_f32_e64 v8, |v7|, s6
	v_floor_f32_e32 v8, v8
	s_mov_b32 s6, 0xcf800000
	v_cvt_u32_f32_e32 v9, v8
	v_fma_f32 v8, v8, s6, |v7|
	v_cvt_u32_f32_e32 v8, v8
	v_ashrrev_i32_e32 v7, 31, v7
	v_xor_b32_e32 v9, v9, v7
	s_mov_b64 s[6:7], 0
	v_xor_b32_e32 v8, v8, v7
	v_sub_co_u32_e32 v8, vcc, v8, v7
	v_subb_co_u32_e32 v9, vcc, v9, v7, vcc
	global_store_dwordx2 v[0:1], v[8:9], off
.LBB47_257:
	s_andn2_b64 vcc, exec, s[6:7]
	s_cbranch_vccnz .LBB47_259
; %bb.258:
	v_lshlrev_b32_e32 v7, 16, v6
	v_cvt_i32_f32_e32 v7, v7
	global_store_dword v[0:1], v7, off
.LBB47_259:
	s_mov_b64 s[6:7], 0
.LBB47_260:
	s_andn2_b64 vcc, exec, s[6:7]
	s_cbranch_vccnz .LBB47_262
; %bb.261:
	v_lshlrev_b32_e32 v7, 16, v6
	v_cvt_i32_f32_e32 v7, v7
	global_store_short v[0:1], v7, off
.LBB47_262:
	s_mov_b64 s[6:7], 0
.LBB47_263:
	s_andn2_b64 vcc, exec, s[6:7]
	s_cbranch_vccnz .LBB47_268
; %bb.264:
	v_mov_b32_e32 v7, 0
	v_cmp_gt_i16_sdwa s[24:25], v2, v7 src0_sel:BYTE_0 src1_sel:DWORD
	s_mov_b64 s[6:7], -1
	s_and_b64 vcc, exec, s[24:25]
	v_lshlrev_b32_e32 v6, 16, v6
	s_cbranch_vccz .LBB47_266
; %bb.265:
	v_cvt_i32_f32_e32 v7, v6
	s_mov_b64 s[6:7], 0
	global_store_byte v[0:1], v7, off
.LBB47_266:
	s_andn2_b64 vcc, exec, s[6:7]
	s_cbranch_vccnz .LBB47_268
; %bb.267:
	v_trunc_f32_e32 v6, v6
	s_mov_b32 s6, 0x2f800000
	v_mul_f32_e64 v7, |v6|, s6
	v_floor_f32_e32 v7, v7
	s_mov_b32 s6, 0xcf800000
	v_fma_f32 v7, v7, s6, |v6|
	v_cvt_u32_f32_e32 v7, v7
	v_ashrrev_i32_e32 v6, 31, v6
	v_xor_b32_e32 v7, v7, v6
	v_sub_u32_e32 v6, v7, v6
	global_store_byte v[0:1], v6, off
.LBB47_268:
	s_mov_b64 s[6:7], -1
.LBB47_269:
	s_andn2_b64 vcc, exec, s[6:7]
	s_cbranch_vccnz .LBB47_271
; %bb.270:
	v_add_u32_e32 v3, 0x80, v3
	s_mov_b64 s[24:25], -1
	s_branch .LBB47_384
.LBB47_271:
	s_mov_b64 s[24:25], 0
                                        ; implicit-def: $vgpr3
	s_branch .LBB47_384
.LBB47_272:
	s_mov_b64 s[18:19], -1
                                        ; implicit-def: $vgpr7
.LBB47_273:
	s_mov_b64 s[6:7], 0
.LBB47_274:
	s_and_b64 vcc, exec, s[6:7]
	s_cbranch_vccz .LBB47_278
; %bb.275:
	s_waitcnt vmcnt(0)
	v_mov_b32_e32 v7, 29
	v_cmp_eq_u16_sdwa s[6:7], v4, v7 src0_sel:BYTE_0 src1_sel:DWORD
	s_and_b64 vcc, exec, s[6:7]
	s_cbranch_vccz .LBB47_277
; %bb.276:
	global_load_dwordx2 v[8:9], v[0:1], off
	s_movk_i32 s6, 0x7fff
	s_mov_b64 s[0:1], -1
	s_mov_b64 s[18:19], 0
	s_waitcnt vmcnt(0)
	v_ffbh_u32_e32 v7, v9
	v_min_u32_e32 v7, 32, v7
	v_lshlrev_b64 v[8:9], v7, v[8:9]
	v_min_u32_e32 v8, 1, v8
	v_or_b32_e32 v8, v9, v8
	v_cvt_f32_u32_e32 v8, v8
	v_sub_u32_e32 v7, 32, v7
	v_ldexp_f32 v7, v8, v7
	v_bfe_u32 v8, v7, 16, 1
	v_add3_u32 v7, v7, v8, s6
	v_lshrrev_b32_e32 v7, 16, v7
	s_branch .LBB47_278
.LBB47_277:
	s_mov_b64 s[18:19], -1
                                        ; implicit-def: $vgpr7
.LBB47_278:
	s_mov_b64 s[6:7], 0
.LBB47_279:
	s_and_b64 vcc, exec, s[6:7]
	s_cbranch_vccz .LBB47_297
; %bb.280:
	s_waitcnt vmcnt(0)
	v_mov_b32_e32 v7, 27
	v_cmp_lt_i16_sdwa s[0:1], v4, v7 src0_sel:BYTE_0 src1_sel:DWORD
	s_and_b64 vcc, exec, s[0:1]
	s_cbranch_vccnz .LBB47_283
; %bb.281:
	v_cmp_gt_i16_sdwa s[0:1], v4, v7 src0_sel:BYTE_0 src1_sel:DWORD
	s_and_b64 vcc, exec, s[0:1]
	s_cbranch_vccz .LBB47_284
; %bb.282:
	global_load_dword v7, v[0:1], off
	s_movk_i32 s0, 0x7fff
	s_waitcnt vmcnt(0)
	v_cvt_f32_u32_e32 v7, v7
	v_bfe_u32 v8, v7, 16, 1
	v_add3_u32 v7, v7, v8, s0
	v_lshrrev_b32_e32 v7, 16, v7
	s_mov_b64 s[0:1], 0
	s_branch .LBB47_285
.LBB47_283:
	s_mov_b64 s[0:1], -1
                                        ; implicit-def: $vgpr7
	s_branch .LBB47_288
.LBB47_284:
	s_mov_b64 s[0:1], -1
                                        ; implicit-def: $vgpr7
.LBB47_285:
	s_andn2_b64 vcc, exec, s[0:1]
	s_cbranch_vccnz .LBB47_287
; %bb.286:
	global_load_ushort v7, v[0:1], off
	s_movk_i32 s0, 0x7fff
	s_waitcnt vmcnt(0)
	v_cvt_f32_u32_e32 v7, v7
	v_bfe_u32 v8, v7, 16, 1
	v_add3_u32 v7, v7, v8, s0
	v_lshrrev_b32_e32 v7, 16, v7
.LBB47_287:
	s_mov_b64 s[0:1], 0
.LBB47_288:
	s_andn2_b64 vcc, exec, s[0:1]
	s_cbranch_vccnz .LBB47_296
; %bb.289:
	global_load_ubyte v7, v[0:1], off
	s_movk_i32 s0, 0x7f
                                        ; implicit-def: $sgpr15
	s_waitcnt vmcnt(0)
	v_cmp_lt_i16_e32 vcc, s0, v7
	s_mov_b64 s[0:1], 0
	s_and_saveexec_b64 s[6:7], vcc
	s_xor_b64 s[6:7], exec, s[6:7]
	s_cbranch_execz .LBB47_310
; %bb.290:
	s_movk_i32 s0, 0x80
	v_cmp_eq_u16_e32 vcc, s0, v7
	s_mov_b64 s[0:1], -1
                                        ; implicit-def: $sgpr15
	s_and_saveexec_b64 s[24:25], vcc
; %bb.291:
	s_mov_b32 s15, 0x7f800001
	s_xor_b64 s[0:1], exec, -1
; %bb.292:
	s_or_b64 exec, exec, s[24:25]
	s_and_b64 s[0:1], s[0:1], exec
	s_or_saveexec_b64 s[6:7], s[6:7]
	v_mov_b32_e32 v8, s15
	s_xor_b64 exec, exec, s[6:7]
	s_cbranch_execnz .LBB47_311
.LBB47_293:
	s_or_b64 exec, exec, s[6:7]
	s_and_saveexec_b64 s[6:7], s[0:1]
	s_cbranch_execz .LBB47_295
.LBB47_294:
	v_lshlrev_b32_e32 v8, 24, v7
	v_and_b32_e32 v7, 0xffff, v7
	v_and_b32_e32 v9, 7, v7
	v_ffbh_u32_e32 v11, v9
	v_min_u32_e32 v11, 32, v11
	v_subrev_u32_e32 v12, 28, v11
	v_bfe_u32 v10, v7, 3, 4
	v_lshlrev_b32_e32 v7, v12, v7
	v_sub_u32_e32 v11, 29, v11
	v_and_b32_e32 v7, 7, v7
	v_cmp_eq_u32_e32 vcc, 0, v10
	v_cndmask_b32_e32 v10, v10, v11, vcc
	v_cndmask_b32_e32 v7, v9, v7, vcc
	v_mov_b32_e32 v9, 0x3b800000
	v_lshlrev_b32_e32 v7, 20, v7
	v_and_b32_e32 v8, 0x80000000, v8
	v_lshl_add_u32 v9, v10, 23, v9
	v_or3_b32 v8, v8, v9, v7
.LBB47_295:
	s_or_b64 exec, exec, s[6:7]
	v_bfe_u32 v7, v8, 16, 1
	s_movk_i32 s0, 0x7fff
	v_add3_u32 v7, v8, v7, s0
	v_lshrrev_b32_e32 v7, 16, v7
	v_mov_b32_e32 v9, 0x7fc0
	v_cmp_o_f32_e32 vcc, v8, v8
	v_cndmask_b32_e32 v7, v9, v7, vcc
.LBB47_296:
	s_mov_b64 s[0:1], -1
.LBB47_297:
	s_mov_b64 s[6:7], 0
.LBB47_298:
	s_and_b64 vcc, exec, s[6:7]
	s_cbranch_vccz .LBB47_333
; %bb.299:
	s_waitcnt vmcnt(0)
	v_mov_b32_e32 v7, 22
	v_cmp_gt_i16_sdwa s[6:7], v4, v7 src0_sel:BYTE_0 src1_sel:DWORD
	s_and_b64 vcc, exec, s[6:7]
	s_cbranch_vccz .LBB47_309
; %bb.300:
	v_mov_b32_e32 v7, 24
	v_cmp_lt_i16_sdwa s[0:1], v4, v7 src0_sel:BYTE_0 src1_sel:DWORD
	s_and_b64 vcc, exec, s[0:1]
	s_cbranch_vccnz .LBB47_312
; %bb.301:
	v_cmp_gt_i16_sdwa s[0:1], v4, v7 src0_sel:BYTE_0 src1_sel:DWORD
	s_and_b64 vcc, exec, s[0:1]
	s_cbranch_vccz .LBB47_313
; %bb.302:
	global_load_ubyte v7, v[0:1], off
	s_movk_i32 s0, 0x7f
                                        ; implicit-def: $sgpr15
	s_waitcnt vmcnt(0)
	v_cmp_lt_i16_e32 vcc, s0, v7
	s_mov_b64 s[0:1], 0
	s_and_saveexec_b64 s[6:7], vcc
	s_xor_b64 s[6:7], exec, s[6:7]
	s_cbranch_execz .LBB47_325
; %bb.303:
	s_movk_i32 s0, 0x80
	v_cmp_eq_u16_e32 vcc, s0, v7
	s_mov_b64 s[0:1], -1
                                        ; implicit-def: $sgpr15
	s_and_saveexec_b64 s[24:25], vcc
; %bb.304:
	s_mov_b32 s15, 0x7f800001
	s_xor_b64 s[0:1], exec, -1
; %bb.305:
	s_or_b64 exec, exec, s[24:25]
	s_and_b64 s[0:1], s[0:1], exec
	s_or_saveexec_b64 s[6:7], s[6:7]
	v_mov_b32_e32 v8, s15
	s_xor_b64 exec, exec, s[6:7]
	s_cbranch_execnz .LBB47_326
.LBB47_306:
	s_or_b64 exec, exec, s[6:7]
	s_and_saveexec_b64 s[6:7], s[0:1]
	s_cbranch_execz .LBB47_308
.LBB47_307:
	v_lshlrev_b32_e32 v8, 24, v7
	v_and_b32_e32 v7, 0xffff, v7
	v_and_b32_e32 v9, 3, v7
	v_ffbh_u32_e32 v11, v9
	v_min_u32_e32 v11, 32, v11
	v_subrev_u32_e32 v12, 29, v11
	v_bfe_u32 v10, v7, 2, 5
	v_lshlrev_b32_e32 v7, v12, v7
	v_sub_u32_e32 v11, 30, v11
	v_and_b32_e32 v7, 3, v7
	v_cmp_eq_u32_e32 vcc, 0, v10
	v_cndmask_b32_e32 v10, v10, v11, vcc
	v_cndmask_b32_e32 v7, v9, v7, vcc
	v_mov_b32_e32 v9, 0x37800000
	v_lshlrev_b32_e32 v7, 21, v7
	v_and_b32_e32 v8, 0x80000000, v8
	v_lshl_add_u32 v9, v10, 23, v9
	v_or3_b32 v8, v8, v9, v7
.LBB47_308:
	s_or_b64 exec, exec, s[6:7]
	v_bfe_u32 v7, v8, 16, 1
	s_movk_i32 s0, 0x7fff
	v_add3_u32 v7, v8, v7, s0
	v_lshrrev_b32_e32 v7, 16, v7
	v_mov_b32_e32 v9, 0x7fc0
	v_cmp_o_f32_e32 vcc, v8, v8
	v_cndmask_b32_e32 v7, v9, v7, vcc
	s_mov_b64 s[0:1], 0
	s_branch .LBB47_314
.LBB47_309:
	s_mov_b64 s[6:7], -1
                                        ; implicit-def: $vgpr7
	s_branch .LBB47_320
.LBB47_310:
	s_or_saveexec_b64 s[6:7], s[6:7]
	v_mov_b32_e32 v8, s15
	s_xor_b64 exec, exec, s[6:7]
	s_cbranch_execz .LBB47_293
.LBB47_311:
	v_cmp_ne_u16_e32 vcc, 0, v7
	s_andn2_b64 s[0:1], s[0:1], exec
	s_and_b64 s[24:25], vcc, exec
	v_mov_b32_e32 v8, 0
	s_or_b64 s[0:1], s[0:1], s[24:25]
	s_or_b64 exec, exec, s[6:7]
	s_and_saveexec_b64 s[6:7], s[0:1]
	s_cbranch_execnz .LBB47_294
	s_branch .LBB47_295
.LBB47_312:
	s_mov_b64 s[0:1], -1
                                        ; implicit-def: $vgpr7
	s_branch .LBB47_317
.LBB47_313:
	s_mov_b64 s[0:1], -1
                                        ; implicit-def: $vgpr7
.LBB47_314:
	s_and_b64 vcc, exec, s[0:1]
	s_cbranch_vccz .LBB47_316
; %bb.315:
	global_load_ubyte v7, v[0:1], off
	s_mov_b32 s0, 0x7f800000
	s_brev_b32 s1, 1
	s_movk_i32 s6, 0x7fff
	v_mov_b32_e32 v8, 0x7fc0
	s_waitcnt vmcnt(0)
	v_lshlrev_b32_e32 v7, 24, v7
	v_and_b32_e32 v9, 0x7f000000, v7
	v_ffbh_u32_e32 v10, v9
	v_min_u32_e32 v10, 32, v10
	v_sub_u32_e64 v10, v10, 4 clamp
	v_lshlrev_b32_e32 v12, v10, v9
	v_lshlrev_b32_e32 v10, 23, v10
	v_lshrrev_b32_e32 v12, 4, v12
	v_add_u32_e32 v11, 0x1000000, v9
	v_sub_u32_e32 v10, v12, v10
	v_ashrrev_i32_e32 v11, 8, v11
	v_add_u32_e32 v10, 0x3c000000, v10
	v_and_or_b32 v10, v11, s0, v10
	v_cmp_ne_u32_e32 vcc, 0, v9
	v_cndmask_b32_e32 v9, 0, v10, vcc
	v_and_or_b32 v7, v7, s1, v9
	v_bfe_u32 v9, v9, 16, 1
	v_add3_u32 v9, v7, v9, s6
	v_lshrrev_b32_e32 v9, 16, v9
	v_cmp_o_f32_e32 vcc, v7, v7
	v_cndmask_b32_e32 v7, v8, v9, vcc
.LBB47_316:
	s_mov_b64 s[0:1], 0
.LBB47_317:
	s_andn2_b64 vcc, exec, s[0:1]
	s_cbranch_vccnz .LBB47_319
; %bb.318:
	global_load_ubyte v7, v[0:1], off
	s_movk_i32 s0, 0x7f00
	s_brev_b32 s1, 16
	s_brev_b32 s6, 1
	s_movk_i32 s7, 0x7fff
	v_mov_b32_e32 v8, 0x7fc0
	s_waitcnt vmcnt(0)
	v_lshlrev_b16_e32 v9, 8, v7
	v_lshlrev_b32_e32 v7, 25, v7
	v_lshrrev_b32_e32 v10, 4, v7
	v_and_or_b32 v11, v9, s0, 0.5
	v_or_b32_e32 v10, 0x70000000, v10
	v_add_f32_e32 v11, -0.5, v11
	v_mul_f32_e32 v10, 0x7800000, v10
	v_cmp_gt_u32_e32 vcc, s1, v7
	v_bfe_i32 v9, v9, 0, 16
	v_cndmask_b32_e32 v7, v10, v11, vcc
	v_and_or_b32 v9, v9, s6, v7
	v_bfe_u32 v7, v7, 16, 1
	v_add3_u32 v7, v9, v7, s7
	v_lshrrev_b32_e32 v7, 16, v7
	v_cmp_o_f32_e32 vcc, v9, v9
	v_cndmask_b32_e32 v7, v8, v7, vcc
.LBB47_319:
	s_mov_b64 s[6:7], 0
	s_mov_b64 s[0:1], -1
.LBB47_320:
	s_andn2_b64 vcc, exec, s[6:7]
	s_cbranch_vccnz .LBB47_333
; %bb.321:
	v_mov_b32_e32 v7, 14
	v_cmp_gt_i16_sdwa s[6:7], v4, v7 src0_sel:BYTE_0 src1_sel:DWORD
	s_and_b64 vcc, exec, s[6:7]
	s_cbranch_vccz .LBB47_324
; %bb.322:
	v_mov_b32_e32 v7, 15
	v_cmp_eq_u16_sdwa s[6:7], v4, v7 src0_sel:BYTE_0 src1_sel:DWORD
	s_and_b64 vcc, exec, s[6:7]
	s_cbranch_vccz .LBB47_327
; %bb.323:
	global_load_ushort v7, v[0:1], off
	s_mov_b64 s[0:1], -1
	s_mov_b64 s[18:19], 0
	s_branch .LBB47_328
.LBB47_324:
	s_mov_b64 s[6:7], -1
                                        ; implicit-def: $vgpr7
	s_branch .LBB47_329
.LBB47_325:
	s_or_saveexec_b64 s[6:7], s[6:7]
	v_mov_b32_e32 v8, s15
	s_xor_b64 exec, exec, s[6:7]
	s_cbranch_execz .LBB47_306
.LBB47_326:
	v_cmp_ne_u16_e32 vcc, 0, v7
	s_andn2_b64 s[0:1], s[0:1], exec
	s_and_b64 s[24:25], vcc, exec
	v_mov_b32_e32 v8, 0
	s_or_b64 s[0:1], s[0:1], s[24:25]
	s_or_b64 exec, exec, s[6:7]
	s_and_saveexec_b64 s[6:7], s[0:1]
	s_cbranch_execnz .LBB47_307
	s_branch .LBB47_308
.LBB47_327:
	s_mov_b64 s[18:19], -1
                                        ; implicit-def: $vgpr7
.LBB47_328:
	s_mov_b64 s[6:7], 0
.LBB47_329:
	s_and_b64 vcc, exec, s[6:7]
	s_cbranch_vccz .LBB47_333
; %bb.330:
	s_waitcnt vmcnt(0)
	v_mov_b32_e32 v7, 11
	v_cmp_eq_u16_sdwa s[6:7], v4, v7 src0_sel:BYTE_0 src1_sel:DWORD
	s_and_b64 vcc, exec, s[6:7]
	s_cbranch_vccz .LBB47_332
; %bb.331:
	global_load_ubyte v7, v[0:1], off
	s_mov_b64 s[0:1], -1
	s_mov_b64 s[18:19], 0
	s_waitcnt vmcnt(0)
	v_cmp_ne_u16_e32 vcc, 0, v7
	v_cndmask_b32_e64 v7, 0, 1.0, vcc
	v_lshrrev_b32_e32 v7, 16, v7
	s_branch .LBB47_333
.LBB47_332:
	s_mov_b64 s[18:19], -1
                                        ; implicit-def: $vgpr7
.LBB47_333:
	s_branch .LBB47_20
.LBB47_334:
	s_waitcnt vmcnt(0)
	v_mov_b32_e32 v7, 5
	v_cmp_lt_i16_sdwa s[0:1], v4, v7 src0_sel:BYTE_0 src1_sel:DWORD
	s_and_b64 vcc, exec, s[0:1]
	s_cbranch_vccnz .LBB47_339
; %bb.335:
	v_mov_b32_e32 v7, 8
	v_cmp_lt_i16_sdwa s[0:1], v4, v7 src0_sel:BYTE_0 src1_sel:DWORD
	s_and_b64 vcc, exec, s[0:1]
	s_cbranch_vccnz .LBB47_340
; %bb.336:
	;; [unrolled: 5-line block ×3, first 2 shown]
	v_cmp_gt_i16_sdwa s[0:1], v4, v7 src0_sel:BYTE_0 src1_sel:DWORD
	s_and_b64 vcc, exec, s[0:1]
	s_cbranch_vccz .LBB47_342
; %bb.338:
	global_load_dwordx2 v[8:9], v[0:1], off
	s_movk_i32 s0, 0x7fff
	v_mov_b32_e32 v7, 0x7fc0
	s_waitcnt vmcnt(0)
	v_cvt_f32_f64_e32 v8, v[8:9]
	v_bfe_u32 v9, v8, 16, 1
	v_add3_u32 v9, v8, v9, s0
	v_lshrrev_b32_e32 v9, 16, v9
	v_cmp_o_f32_e32 vcc, v8, v8
	v_cndmask_b32_e32 v7, v7, v9, vcc
	s_mov_b64 s[0:1], 0
	s_branch .LBB47_343
.LBB47_339:
	s_mov_b64 s[0:1], -1
                                        ; implicit-def: $vgpr7
	s_branch .LBB47_361
.LBB47_340:
	s_mov_b64 s[0:1], -1
                                        ; implicit-def: $vgpr7
	s_branch .LBB47_349
.LBB47_341:
	s_mov_b64 s[0:1], -1
                                        ; implicit-def: $vgpr7
	s_branch .LBB47_346
.LBB47_342:
	s_mov_b64 s[0:1], -1
                                        ; implicit-def: $vgpr7
.LBB47_343:
	s_andn2_b64 vcc, exec, s[0:1]
	s_cbranch_vccnz .LBB47_345
; %bb.344:
	global_load_dword v7, v[0:1], off
	s_movk_i32 s0, 0x7fff
	v_mov_b32_e32 v8, 0x7fc0
	s_waitcnt vmcnt(0)
	v_bfe_u32 v9, v7, 16, 1
	v_add3_u32 v9, v7, v9, s0
	v_lshrrev_b32_e32 v9, 16, v9
	v_cmp_o_f32_e32 vcc, v7, v7
	v_cndmask_b32_e32 v7, v8, v9, vcc
.LBB47_345:
	s_mov_b64 s[0:1], 0
.LBB47_346:
	s_andn2_b64 vcc, exec, s[0:1]
	s_cbranch_vccnz .LBB47_348
; %bb.347:
	global_load_dword v7, v[0:1], off
	s_movk_i32 s0, 0x7fff
	v_mov_b32_e32 v9, 0x7fc0
	s_waitcnt vmcnt(0)
	v_cvt_f32_f16_e32 v8, v7
	v_cmp_o_f16_e32 vcc, v7, v7
	v_bfe_u32 v10, v8, 16, 1
	v_add3_u32 v8, v8, v10, s0
	v_lshrrev_b32_e32 v8, 16, v8
	v_cndmask_b32_e32 v7, v9, v8, vcc
.LBB47_348:
	s_mov_b64 s[0:1], 0
.LBB47_349:
	s_andn2_b64 vcc, exec, s[0:1]
	s_cbranch_vccnz .LBB47_360
; %bb.350:
	v_mov_b32_e32 v7, 6
	v_cmp_lt_i16_sdwa s[0:1], v4, v7 src0_sel:BYTE_0 src1_sel:DWORD
	s_and_b64 vcc, exec, s[0:1]
	s_cbranch_vccnz .LBB47_353
; %bb.351:
	v_cmp_gt_i16_sdwa s[0:1], v4, v7 src0_sel:BYTE_0 src1_sel:DWORD
	s_and_b64 vcc, exec, s[0:1]
	s_cbranch_vccz .LBB47_354
; %bb.352:
	global_load_dwordx2 v[8:9], v[0:1], off
	s_movk_i32 s0, 0x7fff
	v_mov_b32_e32 v7, 0x7fc0
	s_waitcnt vmcnt(0)
	v_cvt_f32_f64_e32 v8, v[8:9]
	v_bfe_u32 v9, v8, 16, 1
	v_add3_u32 v9, v8, v9, s0
	v_lshrrev_b32_e32 v9, 16, v9
	v_cmp_o_f32_e32 vcc, v8, v8
	v_cndmask_b32_e32 v7, v7, v9, vcc
	s_mov_b64 s[0:1], 0
	s_branch .LBB47_355
.LBB47_353:
	s_mov_b64 s[0:1], -1
                                        ; implicit-def: $vgpr7
	s_branch .LBB47_358
.LBB47_354:
	s_mov_b64 s[0:1], -1
                                        ; implicit-def: $vgpr7
.LBB47_355:
	s_andn2_b64 vcc, exec, s[0:1]
	s_cbranch_vccnz .LBB47_357
; %bb.356:
	global_load_dword v7, v[0:1], off
	s_movk_i32 s0, 0x7fff
	v_mov_b32_e32 v8, 0x7fc0
	s_waitcnt vmcnt(0)
	v_bfe_u32 v9, v7, 16, 1
	v_add3_u32 v9, v7, v9, s0
	v_lshrrev_b32_e32 v9, 16, v9
	v_cmp_o_f32_e32 vcc, v7, v7
	v_cndmask_b32_e32 v7, v8, v9, vcc
.LBB47_357:
	s_mov_b64 s[0:1], 0
.LBB47_358:
	s_andn2_b64 vcc, exec, s[0:1]
	s_cbranch_vccnz .LBB47_360
; %bb.359:
	global_load_ushort v7, v[0:1], off
	s_movk_i32 s0, 0x7fff
	v_mov_b32_e32 v9, 0x7fc0
	s_waitcnt vmcnt(0)
	v_cvt_f32_f16_e32 v8, v7
	v_cmp_o_f16_e32 vcc, v7, v7
	v_bfe_u32 v10, v8, 16, 1
	v_add3_u32 v8, v8, v10, s0
	v_lshrrev_b32_e32 v8, 16, v8
	v_cndmask_b32_e32 v7, v9, v8, vcc
.LBB47_360:
	s_mov_b64 s[0:1], 0
.LBB47_361:
	s_andn2_b64 vcc, exec, s[0:1]
	s_cbranch_vccnz .LBB47_381
; %bb.362:
	v_mov_b32_e32 v7, 2
	v_cmp_lt_i16_sdwa s[0:1], v4, v7 src0_sel:BYTE_0 src1_sel:DWORD
	s_and_b64 vcc, exec, s[0:1]
	s_cbranch_vccnz .LBB47_366
; %bb.363:
	v_mov_b32_e32 v7, 3
	v_cmp_lt_i16_sdwa s[0:1], v4, v7 src0_sel:BYTE_0 src1_sel:DWORD
	s_and_b64 vcc, exec, s[0:1]
	s_cbranch_vccnz .LBB47_367
; %bb.364:
	v_cmp_gt_i16_sdwa s[0:1], v4, v7 src0_sel:BYTE_0 src1_sel:DWORD
	s_and_b64 vcc, exec, s[0:1]
	s_cbranch_vccz .LBB47_368
; %bb.365:
	global_load_dwordx2 v[8:9], v[0:1], off
	s_movk_i32 s0, 0x7fff
	s_waitcnt vmcnt(0)
	v_xor_b32_e32 v10, v8, v9
	v_ffbh_i32_e32 v7, v9
	v_ashrrev_i32_e32 v10, 31, v10
	v_add_u32_e32 v7, -1, v7
	v_add_u32_e32 v10, 32, v10
	v_min_u32_e32 v7, v7, v10
	v_lshlrev_b64 v[8:9], v7, v[8:9]
	v_min_u32_e32 v8, 1, v8
	v_or_b32_e32 v8, v9, v8
	v_cvt_f32_i32_e32 v8, v8
	v_sub_u32_e32 v7, 32, v7
	v_ldexp_f32 v7, v8, v7
	v_bfe_u32 v8, v7, 16, 1
	v_add3_u32 v7, v7, v8, s0
	v_lshrrev_b32_e32 v7, 16, v7
	s_mov_b64 s[0:1], 0
	s_branch .LBB47_369
.LBB47_366:
	s_mov_b64 s[0:1], -1
                                        ; implicit-def: $vgpr7
	s_branch .LBB47_375
.LBB47_367:
	s_mov_b64 s[0:1], -1
                                        ; implicit-def: $vgpr7
	s_branch .LBB47_372
.LBB47_368:
	s_mov_b64 s[0:1], -1
                                        ; implicit-def: $vgpr7
.LBB47_369:
	s_andn2_b64 vcc, exec, s[0:1]
	s_cbranch_vccnz .LBB47_371
; %bb.370:
	global_load_dword v7, v[0:1], off
	s_movk_i32 s0, 0x7fff
	s_waitcnt vmcnt(0)
	v_cvt_f32_i32_e32 v7, v7
	v_bfe_u32 v8, v7, 16, 1
	v_add3_u32 v7, v7, v8, s0
	v_lshrrev_b32_e32 v7, 16, v7
.LBB47_371:
	s_mov_b64 s[0:1], 0
.LBB47_372:
	s_andn2_b64 vcc, exec, s[0:1]
	s_cbranch_vccnz .LBB47_374
; %bb.373:
	global_load_sshort v7, v[0:1], off
	s_movk_i32 s0, 0x7fff
	s_waitcnt vmcnt(0)
	v_cvt_f32_i32_e32 v7, v7
	v_bfe_u32 v8, v7, 16, 1
	v_add3_u32 v7, v7, v8, s0
	v_lshrrev_b32_e32 v7, 16, v7
.LBB47_374:
	s_mov_b64 s[0:1], 0
.LBB47_375:
	s_andn2_b64 vcc, exec, s[0:1]
	s_cbranch_vccnz .LBB47_381
; %bb.376:
	v_mov_b32_e32 v7, 0
	v_cmp_gt_i16_sdwa s[0:1], v4, v7 src0_sel:BYTE_0 src1_sel:DWORD
	s_and_b64 vcc, exec, s[0:1]
	s_cbranch_vccz .LBB47_378
; %bb.377:
	global_load_sbyte v7, v[0:1], off
	s_movk_i32 s0, 0x7fff
	s_waitcnt vmcnt(0)
	v_cvt_f32_i32_e32 v7, v7
	v_bfe_u32 v8, v7, 16, 1
	v_add3_u32 v7, v7, v8, s0
	v_lshrrev_b32_e32 v7, 16, v7
	s_mov_b64 s[0:1], 0
	s_branch .LBB47_379
.LBB47_378:
	s_mov_b64 s[0:1], -1
                                        ; implicit-def: $vgpr7
.LBB47_379:
	s_andn2_b64 vcc, exec, s[0:1]
	s_cbranch_vccnz .LBB47_381
; %bb.380:
	global_load_ubyte v0, v[0:1], off
	s_movk_i32 s0, 0x7fff
	s_waitcnt vmcnt(0)
	v_cvt_f32_ubyte0_e32 v0, v0
	v_bfe_u32 v1, v0, 16, 1
	v_add3_u32 v0, v0, v1, s0
	v_lshrrev_b32_e32 v7, 16, v0
.LBB47_381:
	s_branch .LBB47_21
.LBB47_382:
	s_mov_b64 s[0:1], 0
.LBB47_383:
                                        ; implicit-def: $vgpr3
	s_mov_b64 s[24:25], 0
.LBB47_384:
	s_and_b64 s[6:7], s[0:1], exec
	s_and_b64 s[18:19], s[18:19], exec
	;; [unrolled: 1-line block ×3, first 2 shown]
	s_orn2_b64 s[0:1], s[24:25], exec
.LBB47_385:
	s_or_b64 exec, exec, s[22:23]
	s_mov_b64 s[30:31], 0
	s_mov_b64 s[28:29], 0
                                        ; implicit-def: $vgpr7
                                        ; implicit-def: $vgpr0_vgpr1
                                        ; implicit-def: $vgpr6
	s_and_saveexec_b64 s[22:23], s[0:1]
	s_cbranch_execz .LBB47_394
; %bb.386:
	v_cmp_gt_i32_e32 vcc, s33, v3
	s_mov_b64 s[0:1], -1
	s_mov_b64 s[24:25], s[20:21]
	s_mov_b64 s[26:27], s[18:19]
	;; [unrolled: 1-line block ×3, first 2 shown]
	s_and_saveexec_b64 s[30:31], vcc
	s_cbranch_execz .LBB47_777
; %bb.387:
	v_mul_lo_u32 v0, v3, s13
	v_ashrrev_i32_e32 v1, 31, v0
	s_waitcnt vmcnt(0)
	v_mov_b32_e32 v6, s11
	v_add_co_u32_e32 v0, vcc, s10, v0
	v_addc_co_u32_e32 v1, vcc, v6, v1, vcc
	v_mov_b32_e32 v6, 11
	v_cmp_lt_i16_sdwa s[0:1], v5, v6 src0_sel:BYTE_0 src1_sel:DWORD
	s_and_b64 vcc, exec, s[0:1]
	s_cbranch_vccnz .LBB47_397
; %bb.388:
	v_mov_b32_e32 v6, 25
	v_cmp_gt_i16_sdwa s[0:1], v5, v6 src0_sel:BYTE_0 src1_sel:DWORD
	s_and_b64 vcc, exec, s[0:1]
	s_cbranch_vccz .LBB47_406
; %bb.389:
	v_mov_b32_e32 v6, 28
	v_cmp_gt_i16_sdwa s[0:1], v5, v6 src0_sel:BYTE_0 src1_sel:DWORD
	s_and_b64 vcc, exec, s[0:1]
	s_cbranch_vccz .LBB47_408
	;; [unrolled: 5-line block ×4, first 2 shown]
; %bb.392:
	v_mov_b32_e32 v6, 46
	v_cmp_eq_u16_sdwa s[0:1], v5, v6 src0_sel:BYTE_0 src1_sel:DWORD
	s_mov_b64 s[26:27], 0
	s_and_b64 vcc, exec, s[0:1]
	s_cbranch_vccz .LBB47_416
; %bb.393:
	global_load_dword v6, v[0:1], off
	s_mov_b64 s[0:1], -1
	s_mov_b64 s[24:25], 0
	s_branch .LBB47_417
.LBB47_394:
	s_or_b64 exec, exec, s[22:23]
	s_mov_b64 s[22:23], 0
	s_and_saveexec_b64 s[0:1], s[20:21]
	s_cbranch_execnz .LBB47_1254
.LBB47_395:
	s_or_b64 exec, exec, s[0:1]
	s_and_saveexec_b64 s[0:1], s[26:27]
	s_xor_b64 s[0:1], exec, s[0:1]
	s_cbranch_execz .LBB47_1255
.LBB47_396:
	global_load_ubyte v5, v[0:1], off
	s_or_b64 s[28:29], s[28:29], exec
	s_waitcnt vmcnt(0)
	v_cmp_ne_u16_e32 vcc, 0, v5
	v_cndmask_b32_e64 v5, 0, 1.0, vcc
	v_lshrrev_b32_e32 v6, 16, v5
	s_or_b64 exec, exec, s[0:1]
	s_and_saveexec_b64 s[0:1], s[30:31]
	s_cbranch_execz .LBB47_1301
	s_branch .LBB47_1256
.LBB47_397:
	s_mov_b64 s[0:1], 0
                                        ; implicit-def: $vgpr6
	s_mov_b64 s[24:25], s[20:21]
	s_cbranch_execnz .LBB47_483
.LBB47_398:
	s_andn2_b64 vcc, exec, s[0:1]
	s_cbranch_vccnz .LBB47_531
.LBB47_399:
	v_mul_lo_u32 v0, v3, s14
	v_ashrrev_i32_e32 v1, 31, v0
	v_mov_b32_e32 v7, s3
	v_add_co_u32_e32 v0, vcc, s2, v0
	v_addc_co_u32_e32 v1, vcc, v7, v1, vcc
	v_mov_b32_e32 v7, 11
	v_cmp_lt_i16_sdwa s[0:1], v4, v7 src0_sel:BYTE_0 src1_sel:DWORD
	s_and_b64 vcc, exec, s[0:1]
	s_cbranch_vccnz .LBB47_407
; %bb.400:
	v_mov_b32_e32 v7, 25
	v_cmp_gt_i16_sdwa s[0:1], v4, v7 src0_sel:BYTE_0 src1_sel:DWORD
	s_and_b64 vcc, exec, s[0:1]
	s_cbranch_vccz .LBB47_409
; %bb.401:
	v_mov_b32_e32 v7, 28
	v_cmp_gt_i16_sdwa s[0:1], v4, v7 src0_sel:BYTE_0 src1_sel:DWORD
	s_and_b64 vcc, exec, s[0:1]
	s_cbranch_vccz .LBB47_411
	;; [unrolled: 5-line block ×4, first 2 shown]
; %bb.404:
	v_mov_b32_e32 v7, 46
	v_cmp_eq_u16_sdwa s[0:1], v4, v7 src0_sel:BYTE_0 src1_sel:DWORD
	s_mov_b64 s[28:29], 0
	s_and_b64 vcc, exec, s[0:1]
	s_cbranch_vccz .LBB47_535
; %bb.405:
	global_load_dword v7, v[0:1], off
	s_mov_b64 s[0:1], -1
	s_mov_b64 s[26:27], 0
	s_branch .LBB47_536
.LBB47_406:
	s_mov_b64 s[26:27], -1
	s_mov_b64 s[0:1], 0
	s_mov_b64 s[24:25], s[20:21]
                                        ; implicit-def: $vgpr6
	s_branch .LBB47_447
.LBB47_407:
	s_mov_b64 s[28:29], -1
	s_mov_b64 s[0:1], 0
                                        ; implicit-def: $vgpr7
	s_mov_b64 s[26:27], s[18:19]
	s_branch .LBB47_601
.LBB47_408:
	s_mov_b64 s[26:27], -1
	s_mov_b64 s[0:1], 0
	s_mov_b64 s[24:25], s[20:21]
                                        ; implicit-def: $vgpr6
	s_branch .LBB47_428
.LBB47_409:
	s_mov_b64 s[28:29], -1
	s_mov_b64 s[0:1], 0
	s_mov_b64 s[26:27], s[18:19]
                                        ; implicit-def: $vgpr7
	s_branch .LBB47_565
.LBB47_410:
	s_mov_b64 s[26:27], -1
	s_mov_b64 s[0:1], 0
	s_mov_b64 s[24:25], s[20:21]
                                        ; implicit-def: $vgpr6
	s_branch .LBB47_423
.LBB47_411:
	s_mov_b64 s[28:29], -1
	s_mov_b64 s[0:1], 0
	s_mov_b64 s[26:27], s[18:19]
                                        ; implicit-def: $vgpr7
	s_branch .LBB47_546
.LBB47_412:
	s_mov_b64 s[26:27], -1
	s_mov_b64 s[0:1], 0
	s_mov_b64 s[24:25], s[20:21]
                                        ; implicit-def: $vgpr6
	s_branch .LBB47_417
.LBB47_413:
	s_mov_b64 s[28:29], -1
	s_mov_b64 s[0:1], 0
	s_mov_b64 s[26:27], s[18:19]
                                        ; implicit-def: $vgpr7
	s_branch .LBB47_541
.LBB47_414:
	s_or_saveexec_b64 s[28:29], s[28:29]
                                        ; implicit-def: $sgpr15
	s_xor_b64 exec, exec, s[28:29]
	s_cbranch_execz .LBB47_182
.LBB47_415:
	s_mov_b32 s15, 0x46000000
	v_add_f32_e64 v8, |v9|, s15
	v_and_b32_e32 v8, 0xff, v8
	v_cmp_ne_u32_e32 vcc, 0, v8
	s_andn2_b64 s[24:25], s[24:25], exec
	s_and_b64 s[30:31], vcc, exec
	s_mov_b32 s15, 0
	s_or_b64 s[24:25], s[24:25], s[30:31]
	s_or_b64 exec, exec, s[28:29]
	v_mov_b32_e32 v10, s15
	s_and_saveexec_b64 s[28:29], s[24:25]
	s_cbranch_execnz .LBB47_183
	s_branch .LBB47_184
.LBB47_416:
	s_mov_b64 s[24:25], -1
                                        ; implicit-def: $vgpr6
	s_mov_b64 s[0:1], 0
.LBB47_417:
	s_and_b64 vcc, exec, s[26:27]
	s_cbranch_vccz .LBB47_422
; %bb.418:
	s_waitcnt vmcnt(0)
	v_mov_b32_e32 v6, 44
	v_cmp_eq_u16_sdwa s[24:25], v5, v6 src0_sel:BYTE_0 src1_sel:DWORD
	s_and_b64 vcc, exec, s[24:25]
	s_cbranch_vccz .LBB47_421
; %bb.419:
	global_load_ubyte v6, v[0:1], off
	s_movk_i32 s15, 0xff
	v_mov_b32_e32 v7, 0x7f800001
	v_mov_b32_e32 v8, 0x400000
	;; [unrolled: 1-line block ×3, first 2 shown]
	s_mov_b64 s[0:1], -1
	s_mov_b64 s[24:25], 0
	s_waitcnt vmcnt(0)
	v_lshlrev_b32_e32 v10, 23, v6
	v_cmp_ne_u32_e32 vcc, s15, v6
	v_cndmask_b32_e32 v7, v7, v10, vcc
	v_cmp_ne_u32_e32 vcc, 0, v6
	v_cndmask_b32_e32 v6, v8, v7, vcc
	v_add_u32_e32 v7, 0x7fff, v6
	v_lshrrev_b32_e32 v7, 16, v7
	v_cmp_o_f32_e32 vcc, v6, v6
	v_cndmask_b32_e32 v6, v9, v7, vcc
	s_branch .LBB47_422
.LBB47_420:
	s_mov_b64 s[28:29], -1
	s_mov_b64 s[0:1], 0
	s_mov_b64 s[26:27], s[18:19]
                                        ; implicit-def: $vgpr7
	s_branch .LBB47_536
.LBB47_421:
	s_mov_b64 s[24:25], -1
                                        ; implicit-def: $vgpr6
.LBB47_422:
	s_mov_b64 s[26:27], 0
.LBB47_423:
	s_and_b64 vcc, exec, s[26:27]
	s_cbranch_vccz .LBB47_427
; %bb.424:
	s_waitcnt vmcnt(0)
	v_mov_b32_e32 v6, 29
	v_cmp_eq_u16_sdwa s[24:25], v5, v6 src0_sel:BYTE_0 src1_sel:DWORD
	s_and_b64 vcc, exec, s[24:25]
	s_cbranch_vccz .LBB47_426
; %bb.425:
	global_load_dwordx2 v[6:7], v[0:1], off
	s_movk_i32 s15, 0x7fff
	s_mov_b64 s[0:1], -1
	s_mov_b64 s[24:25], 0
	s_mov_b64 s[26:27], 0
	s_waitcnt vmcnt(0)
	v_ffbh_u32_e32 v8, v7
	v_min_u32_e32 v8, 32, v8
	v_lshlrev_b64 v[6:7], v8, v[6:7]
	v_min_u32_e32 v6, 1, v6
	v_or_b32_e32 v6, v7, v6
	v_cvt_f32_u32_e32 v6, v6
	v_sub_u32_e32 v7, 32, v8
	v_ldexp_f32 v6, v6, v7
	v_bfe_u32 v7, v6, 16, 1
	v_add3_u32 v6, v6, v7, s15
	v_lshrrev_b32_e32 v6, 16, v6
	s_branch .LBB47_428
.LBB47_426:
	s_mov_b64 s[24:25], -1
                                        ; implicit-def: $vgpr6
.LBB47_427:
	s_mov_b64 s[26:27], 0
.LBB47_428:
	s_and_b64 vcc, exec, s[26:27]
	s_cbranch_vccz .LBB47_446
; %bb.429:
	s_waitcnt vmcnt(0)
	v_mov_b32_e32 v6, 27
	v_cmp_lt_i16_sdwa s[0:1], v5, v6 src0_sel:BYTE_0 src1_sel:DWORD
	s_and_b64 vcc, exec, s[0:1]
	s_cbranch_vccnz .LBB47_432
; %bb.430:
	v_cmp_gt_i16_sdwa s[0:1], v5, v6 src0_sel:BYTE_0 src1_sel:DWORD
	s_and_b64 vcc, exec, s[0:1]
	s_cbranch_vccz .LBB47_433
; %bb.431:
	global_load_dword v6, v[0:1], off
	s_movk_i32 s0, 0x7fff
	s_waitcnt vmcnt(0)
	v_cvt_f32_u32_e32 v6, v6
	v_bfe_u32 v7, v6, 16, 1
	v_add3_u32 v6, v6, v7, s0
	v_lshrrev_b32_e32 v6, 16, v6
	s_mov_b64 s[0:1], 0
	s_branch .LBB47_434
.LBB47_432:
	s_mov_b64 s[0:1], -1
                                        ; implicit-def: $vgpr6
	s_branch .LBB47_437
.LBB47_433:
	s_mov_b64 s[0:1], -1
                                        ; implicit-def: $vgpr6
.LBB47_434:
	s_andn2_b64 vcc, exec, s[0:1]
	s_cbranch_vccnz .LBB47_436
; %bb.435:
	global_load_ushort v6, v[0:1], off
	s_movk_i32 s0, 0x7fff
	s_waitcnt vmcnt(0)
	v_cvt_f32_u32_e32 v6, v6
	v_bfe_u32 v7, v6, 16, 1
	v_add3_u32 v6, v6, v7, s0
	v_lshrrev_b32_e32 v6, 16, v6
.LBB47_436:
	s_mov_b64 s[0:1], 0
.LBB47_437:
	s_andn2_b64 vcc, exec, s[0:1]
	s_cbranch_vccnz .LBB47_445
; %bb.438:
	global_load_ubyte v6, v[0:1], off
	s_movk_i32 s0, 0x7f
                                        ; implicit-def: $sgpr15
	s_waitcnt vmcnt(0)
	v_cmp_lt_i16_e32 vcc, s0, v6
	s_mov_b64 s[0:1], 0
	s_and_saveexec_b64 s[26:27], vcc
	s_xor_b64 s[26:27], exec, s[26:27]
	s_cbranch_execz .LBB47_459
; %bb.439:
	s_movk_i32 s0, 0x80
	v_cmp_eq_u16_e32 vcc, s0, v6
	s_mov_b64 s[0:1], -1
                                        ; implicit-def: $sgpr15
	s_and_saveexec_b64 s[28:29], vcc
; %bb.440:
	s_mov_b32 s15, 0x7f800001
	s_xor_b64 s[0:1], exec, -1
; %bb.441:
	s_or_b64 exec, exec, s[28:29]
	s_and_b64 s[0:1], s[0:1], exec
	s_or_saveexec_b64 s[26:27], s[26:27]
	v_mov_b32_e32 v7, s15
	s_xor_b64 exec, exec, s[26:27]
	s_cbranch_execnz .LBB47_460
.LBB47_442:
	s_or_b64 exec, exec, s[26:27]
	s_and_saveexec_b64 s[26:27], s[0:1]
	s_cbranch_execz .LBB47_444
.LBB47_443:
	v_lshlrev_b32_e32 v7, 24, v6
	v_and_b32_e32 v6, 0xffff, v6
	v_and_b32_e32 v8, 7, v6
	v_ffbh_u32_e32 v10, v8
	v_min_u32_e32 v10, 32, v10
	v_subrev_u32_e32 v11, 28, v10
	v_bfe_u32 v9, v6, 3, 4
	v_lshlrev_b32_e32 v6, v11, v6
	v_sub_u32_e32 v10, 29, v10
	v_and_b32_e32 v6, 7, v6
	v_cmp_eq_u32_e32 vcc, 0, v9
	v_cndmask_b32_e32 v9, v9, v10, vcc
	v_cndmask_b32_e32 v6, v8, v6, vcc
	v_mov_b32_e32 v8, 0x3b800000
	v_lshlrev_b32_e32 v6, 20, v6
	v_and_b32_e32 v7, 0x80000000, v7
	v_lshl_add_u32 v8, v9, 23, v8
	v_or3_b32 v7, v7, v8, v6
.LBB47_444:
	s_or_b64 exec, exec, s[26:27]
	v_bfe_u32 v6, v7, 16, 1
	s_movk_i32 s0, 0x7fff
	v_add3_u32 v6, v7, v6, s0
	v_lshrrev_b32_e32 v6, 16, v6
	v_mov_b32_e32 v8, 0x7fc0
	v_cmp_o_f32_e32 vcc, v7, v7
	v_cndmask_b32_e32 v6, v8, v6, vcc
.LBB47_445:
	s_mov_b64 s[0:1], -1
.LBB47_446:
	s_mov_b64 s[26:27], 0
.LBB47_447:
	s_and_b64 vcc, exec, s[26:27]
	s_cbranch_vccz .LBB47_482
; %bb.448:
	s_waitcnt vmcnt(0)
	v_mov_b32_e32 v6, 22
	v_cmp_gt_i16_sdwa s[26:27], v5, v6 src0_sel:BYTE_0 src1_sel:DWORD
	s_and_b64 vcc, exec, s[26:27]
	s_cbranch_vccz .LBB47_458
; %bb.449:
	v_mov_b32_e32 v6, 24
	v_cmp_lt_i16_sdwa s[0:1], v5, v6 src0_sel:BYTE_0 src1_sel:DWORD
	s_and_b64 vcc, exec, s[0:1]
	s_cbranch_vccnz .LBB47_461
; %bb.450:
	v_cmp_gt_i16_sdwa s[0:1], v5, v6 src0_sel:BYTE_0 src1_sel:DWORD
	s_and_b64 vcc, exec, s[0:1]
	s_cbranch_vccz .LBB47_462
; %bb.451:
	global_load_ubyte v6, v[0:1], off
	s_movk_i32 s0, 0x7f
                                        ; implicit-def: $sgpr15
	s_waitcnt vmcnt(0)
	v_cmp_lt_i16_e32 vcc, s0, v6
	s_mov_b64 s[0:1], 0
	s_and_saveexec_b64 s[26:27], vcc
	s_xor_b64 s[26:27], exec, s[26:27]
	s_cbranch_execz .LBB47_474
; %bb.452:
	s_movk_i32 s0, 0x80
	v_cmp_eq_u16_e32 vcc, s0, v6
	s_mov_b64 s[0:1], -1
                                        ; implicit-def: $sgpr15
	s_and_saveexec_b64 s[28:29], vcc
; %bb.453:
	s_mov_b32 s15, 0x7f800001
	s_xor_b64 s[0:1], exec, -1
; %bb.454:
	s_or_b64 exec, exec, s[28:29]
	s_and_b64 s[0:1], s[0:1], exec
	s_or_saveexec_b64 s[26:27], s[26:27]
	v_mov_b32_e32 v7, s15
	s_xor_b64 exec, exec, s[26:27]
	s_cbranch_execnz .LBB47_475
.LBB47_455:
	s_or_b64 exec, exec, s[26:27]
	s_and_saveexec_b64 s[26:27], s[0:1]
	s_cbranch_execz .LBB47_457
.LBB47_456:
	v_lshlrev_b32_e32 v7, 24, v6
	v_and_b32_e32 v6, 0xffff, v6
	v_and_b32_e32 v8, 3, v6
	v_ffbh_u32_e32 v10, v8
	v_min_u32_e32 v10, 32, v10
	v_subrev_u32_e32 v11, 29, v10
	v_bfe_u32 v9, v6, 2, 5
	v_lshlrev_b32_e32 v6, v11, v6
	v_sub_u32_e32 v10, 30, v10
	v_and_b32_e32 v6, 3, v6
	v_cmp_eq_u32_e32 vcc, 0, v9
	v_cndmask_b32_e32 v9, v9, v10, vcc
	v_cndmask_b32_e32 v6, v8, v6, vcc
	v_mov_b32_e32 v8, 0x37800000
	v_lshlrev_b32_e32 v6, 21, v6
	v_and_b32_e32 v7, 0x80000000, v7
	v_lshl_add_u32 v8, v9, 23, v8
	v_or3_b32 v7, v7, v8, v6
.LBB47_457:
	s_or_b64 exec, exec, s[26:27]
	v_bfe_u32 v6, v7, 16, 1
	s_movk_i32 s0, 0x7fff
	v_add3_u32 v6, v7, v6, s0
	v_lshrrev_b32_e32 v6, 16, v6
	v_mov_b32_e32 v8, 0x7fc0
	v_cmp_o_f32_e32 vcc, v7, v7
	v_cndmask_b32_e32 v6, v8, v6, vcc
	s_mov_b64 s[0:1], 0
	s_branch .LBB47_463
.LBB47_458:
	s_mov_b64 s[26:27], -1
                                        ; implicit-def: $vgpr6
	s_branch .LBB47_469
.LBB47_459:
	s_or_saveexec_b64 s[26:27], s[26:27]
	v_mov_b32_e32 v7, s15
	s_xor_b64 exec, exec, s[26:27]
	s_cbranch_execz .LBB47_442
.LBB47_460:
	v_cmp_ne_u16_e32 vcc, 0, v6
	s_andn2_b64 s[0:1], s[0:1], exec
	s_and_b64 s[28:29], vcc, exec
	v_mov_b32_e32 v7, 0
	s_or_b64 s[0:1], s[0:1], s[28:29]
	s_or_b64 exec, exec, s[26:27]
	s_and_saveexec_b64 s[26:27], s[0:1]
	s_cbranch_execnz .LBB47_443
	s_branch .LBB47_444
.LBB47_461:
	s_mov_b64 s[0:1], -1
                                        ; implicit-def: $vgpr6
	s_branch .LBB47_466
.LBB47_462:
	s_mov_b64 s[0:1], -1
                                        ; implicit-def: $vgpr6
.LBB47_463:
	s_and_b64 vcc, exec, s[0:1]
	s_cbranch_vccz .LBB47_465
; %bb.464:
	global_load_ubyte v6, v[0:1], off
	s_mov_b32 s0, 0x7f800000
	s_brev_b32 s1, 1
	s_movk_i32 s15, 0x7fff
	v_mov_b32_e32 v7, 0x7fc0
	s_waitcnt vmcnt(0)
	v_lshlrev_b32_e32 v6, 24, v6
	v_and_b32_e32 v8, 0x7f000000, v6
	v_ffbh_u32_e32 v9, v8
	v_min_u32_e32 v9, 32, v9
	v_sub_u32_e64 v9, v9, 4 clamp
	v_lshlrev_b32_e32 v11, v9, v8
	v_lshlrev_b32_e32 v9, 23, v9
	v_lshrrev_b32_e32 v11, 4, v11
	v_add_u32_e32 v10, 0x1000000, v8
	v_sub_u32_e32 v9, v11, v9
	v_ashrrev_i32_e32 v10, 8, v10
	v_add_u32_e32 v9, 0x3c000000, v9
	v_and_or_b32 v9, v10, s0, v9
	v_cmp_ne_u32_e32 vcc, 0, v8
	v_cndmask_b32_e32 v8, 0, v9, vcc
	v_and_or_b32 v6, v6, s1, v8
	v_bfe_u32 v8, v8, 16, 1
	v_add3_u32 v8, v6, v8, s15
	v_lshrrev_b32_e32 v8, 16, v8
	v_cmp_o_f32_e32 vcc, v6, v6
	v_cndmask_b32_e32 v6, v7, v8, vcc
.LBB47_465:
	s_mov_b64 s[0:1], 0
.LBB47_466:
	s_andn2_b64 vcc, exec, s[0:1]
	s_cbranch_vccnz .LBB47_468
; %bb.467:
	global_load_ubyte v6, v[0:1], off
	s_movk_i32 s0, 0x7f00
	s_brev_b32 s1, 16
	s_brev_b32 s15, 1
	s_movk_i32 s26, 0x7fff
	v_mov_b32_e32 v7, 0x7fc0
	s_waitcnt vmcnt(0)
	v_lshlrev_b16_e32 v8, 8, v6
	v_lshlrev_b32_e32 v6, 25, v6
	v_lshrrev_b32_e32 v9, 4, v6
	v_and_or_b32 v10, v8, s0, 0.5
	v_or_b32_e32 v9, 0x70000000, v9
	v_add_f32_e32 v10, -0.5, v10
	v_mul_f32_e32 v9, 0x7800000, v9
	v_cmp_gt_u32_e32 vcc, s1, v6
	v_bfe_i32 v8, v8, 0, 16
	v_cndmask_b32_e32 v6, v9, v10, vcc
	v_and_or_b32 v8, v8, s15, v6
	v_bfe_u32 v6, v6, 16, 1
	v_add3_u32 v6, v8, v6, s26
	v_lshrrev_b32_e32 v6, 16, v6
	v_cmp_o_f32_e32 vcc, v8, v8
	v_cndmask_b32_e32 v6, v7, v6, vcc
.LBB47_468:
	s_mov_b64 s[26:27], 0
	s_mov_b64 s[0:1], -1
.LBB47_469:
	s_andn2_b64 vcc, exec, s[26:27]
	s_cbranch_vccnz .LBB47_482
; %bb.470:
	v_mov_b32_e32 v6, 14
	v_cmp_gt_i16_sdwa s[26:27], v5, v6 src0_sel:BYTE_0 src1_sel:DWORD
	s_and_b64 vcc, exec, s[26:27]
	s_cbranch_vccz .LBB47_473
; %bb.471:
	v_mov_b32_e32 v6, 15
	v_cmp_eq_u16_sdwa s[24:25], v5, v6 src0_sel:BYTE_0 src1_sel:DWORD
	s_and_b64 vcc, exec, s[24:25]
	s_cbranch_vccz .LBB47_476
; %bb.472:
	global_load_ushort v6, v[0:1], off
	s_mov_b64 s[0:1], -1
	s_mov_b64 s[24:25], 0
	s_branch .LBB47_477
.LBB47_473:
	s_mov_b64 s[26:27], -1
                                        ; implicit-def: $vgpr6
	s_branch .LBB47_478
.LBB47_474:
	s_or_saveexec_b64 s[26:27], s[26:27]
	v_mov_b32_e32 v7, s15
	s_xor_b64 exec, exec, s[26:27]
	s_cbranch_execz .LBB47_455
.LBB47_475:
	v_cmp_ne_u16_e32 vcc, 0, v6
	s_andn2_b64 s[0:1], s[0:1], exec
	s_and_b64 s[28:29], vcc, exec
	v_mov_b32_e32 v7, 0
	s_or_b64 s[0:1], s[0:1], s[28:29]
	s_or_b64 exec, exec, s[26:27]
	s_and_saveexec_b64 s[26:27], s[0:1]
	s_cbranch_execnz .LBB47_456
	s_branch .LBB47_457
.LBB47_476:
	s_mov_b64 s[24:25], -1
                                        ; implicit-def: $vgpr6
.LBB47_477:
	s_mov_b64 s[26:27], 0
.LBB47_478:
	s_and_b64 vcc, exec, s[26:27]
	s_cbranch_vccz .LBB47_482
; %bb.479:
	s_waitcnt vmcnt(0)
	v_mov_b32_e32 v6, 11
	v_cmp_eq_u16_sdwa s[24:25], v5, v6 src0_sel:BYTE_0 src1_sel:DWORD
	s_and_b64 vcc, exec, s[24:25]
	s_cbranch_vccz .LBB47_481
; %bb.480:
	global_load_ubyte v6, v[0:1], off
	s_mov_b64 s[0:1], -1
	s_mov_b64 s[24:25], 0
	s_waitcnt vmcnt(0)
	v_cmp_ne_u16_e32 vcc, 0, v6
	v_cndmask_b32_e64 v6, 0, 1.0, vcc
	v_lshrrev_b32_e32 v6, 16, v6
	s_branch .LBB47_482
.LBB47_481:
	s_mov_b64 s[24:25], -1
                                        ; implicit-def: $vgpr6
.LBB47_482:
	s_branch .LBB47_398
.LBB47_483:
	s_waitcnt vmcnt(0)
	v_mov_b32_e32 v6, 5
	v_cmp_lt_i16_sdwa s[0:1], v5, v6 src0_sel:BYTE_0 src1_sel:DWORD
	s_and_b64 vcc, exec, s[0:1]
	s_cbranch_vccnz .LBB47_488
; %bb.484:
	v_mov_b32_e32 v6, 8
	v_cmp_lt_i16_sdwa s[0:1], v5, v6 src0_sel:BYTE_0 src1_sel:DWORD
	s_and_b64 vcc, exec, s[0:1]
	s_cbranch_vccnz .LBB47_489
; %bb.485:
	;; [unrolled: 5-line block ×3, first 2 shown]
	v_cmp_gt_i16_sdwa s[0:1], v5, v6 src0_sel:BYTE_0 src1_sel:DWORD
	s_and_b64 vcc, exec, s[0:1]
	s_cbranch_vccz .LBB47_491
; %bb.487:
	global_load_dwordx2 v[6:7], v[0:1], off
	s_movk_i32 s0, 0x7fff
	v_mov_b32_e32 v8, 0x7fc0
	s_waitcnt vmcnt(0)
	v_cvt_f32_f64_e32 v6, v[6:7]
	v_bfe_u32 v7, v6, 16, 1
	v_add3_u32 v7, v6, v7, s0
	v_lshrrev_b32_e32 v7, 16, v7
	v_cmp_o_f32_e32 vcc, v6, v6
	v_cndmask_b32_e32 v6, v8, v7, vcc
	s_mov_b64 s[0:1], 0
	s_branch .LBB47_492
.LBB47_488:
	s_mov_b64 s[0:1], -1
                                        ; implicit-def: $vgpr6
	s_branch .LBB47_510
.LBB47_489:
	s_mov_b64 s[0:1], -1
                                        ; implicit-def: $vgpr6
	s_branch .LBB47_498
.LBB47_490:
	s_mov_b64 s[0:1], -1
                                        ; implicit-def: $vgpr6
	s_branch .LBB47_495
.LBB47_491:
	s_mov_b64 s[0:1], -1
                                        ; implicit-def: $vgpr6
.LBB47_492:
	s_andn2_b64 vcc, exec, s[0:1]
	s_cbranch_vccnz .LBB47_494
; %bb.493:
	global_load_dword v6, v[0:1], off
	s_movk_i32 s0, 0x7fff
	v_mov_b32_e32 v7, 0x7fc0
	s_waitcnt vmcnt(0)
	v_bfe_u32 v8, v6, 16, 1
	v_add3_u32 v8, v6, v8, s0
	v_lshrrev_b32_e32 v8, 16, v8
	v_cmp_o_f32_e32 vcc, v6, v6
	v_cndmask_b32_e32 v6, v7, v8, vcc
.LBB47_494:
	s_mov_b64 s[0:1], 0
.LBB47_495:
	s_andn2_b64 vcc, exec, s[0:1]
	s_cbranch_vccnz .LBB47_497
; %bb.496:
	global_load_dword v6, v[0:1], off
	s_movk_i32 s0, 0x7fff
	v_mov_b32_e32 v8, 0x7fc0
	s_waitcnt vmcnt(0)
	v_cvt_f32_f16_e32 v7, v6
	v_cmp_o_f16_e32 vcc, v6, v6
	v_bfe_u32 v9, v7, 16, 1
	v_add3_u32 v7, v7, v9, s0
	v_lshrrev_b32_e32 v7, 16, v7
	v_cndmask_b32_e32 v6, v8, v7, vcc
.LBB47_497:
	s_mov_b64 s[0:1], 0
.LBB47_498:
	s_andn2_b64 vcc, exec, s[0:1]
	s_cbranch_vccnz .LBB47_509
; %bb.499:
	v_mov_b32_e32 v6, 6
	v_cmp_lt_i16_sdwa s[0:1], v5, v6 src0_sel:BYTE_0 src1_sel:DWORD
	s_and_b64 vcc, exec, s[0:1]
	s_cbranch_vccnz .LBB47_502
; %bb.500:
	v_cmp_gt_i16_sdwa s[0:1], v5, v6 src0_sel:BYTE_0 src1_sel:DWORD
	s_and_b64 vcc, exec, s[0:1]
	s_cbranch_vccz .LBB47_503
; %bb.501:
	global_load_dwordx2 v[6:7], v[0:1], off
	s_movk_i32 s0, 0x7fff
	v_mov_b32_e32 v8, 0x7fc0
	s_waitcnt vmcnt(0)
	v_cvt_f32_f64_e32 v6, v[6:7]
	v_bfe_u32 v7, v6, 16, 1
	v_add3_u32 v7, v6, v7, s0
	v_lshrrev_b32_e32 v7, 16, v7
	v_cmp_o_f32_e32 vcc, v6, v6
	v_cndmask_b32_e32 v6, v8, v7, vcc
	s_mov_b64 s[0:1], 0
	s_branch .LBB47_504
.LBB47_502:
	s_mov_b64 s[0:1], -1
                                        ; implicit-def: $vgpr6
	s_branch .LBB47_507
.LBB47_503:
	s_mov_b64 s[0:1], -1
                                        ; implicit-def: $vgpr6
.LBB47_504:
	s_andn2_b64 vcc, exec, s[0:1]
	s_cbranch_vccnz .LBB47_506
; %bb.505:
	global_load_dword v6, v[0:1], off
	s_movk_i32 s0, 0x7fff
	v_mov_b32_e32 v7, 0x7fc0
	s_waitcnt vmcnt(0)
	v_bfe_u32 v8, v6, 16, 1
	v_add3_u32 v8, v6, v8, s0
	v_lshrrev_b32_e32 v8, 16, v8
	v_cmp_o_f32_e32 vcc, v6, v6
	v_cndmask_b32_e32 v6, v7, v8, vcc
.LBB47_506:
	s_mov_b64 s[0:1], 0
.LBB47_507:
	s_andn2_b64 vcc, exec, s[0:1]
	s_cbranch_vccnz .LBB47_509
; %bb.508:
	global_load_ushort v6, v[0:1], off
	s_movk_i32 s0, 0x7fff
	v_mov_b32_e32 v8, 0x7fc0
	s_waitcnt vmcnt(0)
	v_cvt_f32_f16_e32 v7, v6
	v_cmp_o_f16_e32 vcc, v6, v6
	v_bfe_u32 v9, v7, 16, 1
	v_add3_u32 v7, v7, v9, s0
	v_lshrrev_b32_e32 v7, 16, v7
	v_cndmask_b32_e32 v6, v8, v7, vcc
.LBB47_509:
	s_mov_b64 s[0:1], 0
.LBB47_510:
	s_andn2_b64 vcc, exec, s[0:1]
	s_cbranch_vccnz .LBB47_530
; %bb.511:
	v_mov_b32_e32 v6, 2
	v_cmp_lt_i16_sdwa s[0:1], v5, v6 src0_sel:BYTE_0 src1_sel:DWORD
	s_and_b64 vcc, exec, s[0:1]
	s_cbranch_vccnz .LBB47_515
; %bb.512:
	v_mov_b32_e32 v6, 3
	v_cmp_lt_i16_sdwa s[0:1], v5, v6 src0_sel:BYTE_0 src1_sel:DWORD
	s_and_b64 vcc, exec, s[0:1]
	s_cbranch_vccnz .LBB47_516
; %bb.513:
	v_cmp_gt_i16_sdwa s[0:1], v5, v6 src0_sel:BYTE_0 src1_sel:DWORD
	s_and_b64 vcc, exec, s[0:1]
	s_cbranch_vccz .LBB47_517
; %bb.514:
	global_load_dwordx2 v[6:7], v[0:1], off
	s_movk_i32 s0, 0x7fff
	s_waitcnt vmcnt(0)
	v_xor_b32_e32 v9, v6, v7
	v_ffbh_i32_e32 v8, v7
	v_ashrrev_i32_e32 v9, 31, v9
	v_add_u32_e32 v8, -1, v8
	v_add_u32_e32 v9, 32, v9
	v_min_u32_e32 v8, v8, v9
	v_lshlrev_b64 v[6:7], v8, v[6:7]
	v_min_u32_e32 v6, 1, v6
	v_or_b32_e32 v6, v7, v6
	v_cvt_f32_i32_e32 v6, v6
	v_sub_u32_e32 v7, 32, v8
	v_ldexp_f32 v6, v6, v7
	v_bfe_u32 v7, v6, 16, 1
	v_add3_u32 v6, v6, v7, s0
	v_lshrrev_b32_e32 v6, 16, v6
	s_mov_b64 s[0:1], 0
	s_branch .LBB47_518
.LBB47_515:
	s_mov_b64 s[0:1], -1
                                        ; implicit-def: $vgpr6
	s_branch .LBB47_524
.LBB47_516:
	s_mov_b64 s[0:1], -1
                                        ; implicit-def: $vgpr6
	s_branch .LBB47_521
.LBB47_517:
	s_mov_b64 s[0:1], -1
                                        ; implicit-def: $vgpr6
.LBB47_518:
	s_andn2_b64 vcc, exec, s[0:1]
	s_cbranch_vccnz .LBB47_520
; %bb.519:
	global_load_dword v6, v[0:1], off
	s_movk_i32 s0, 0x7fff
	s_waitcnt vmcnt(0)
	v_cvt_f32_i32_e32 v6, v6
	v_bfe_u32 v7, v6, 16, 1
	v_add3_u32 v6, v6, v7, s0
	v_lshrrev_b32_e32 v6, 16, v6
.LBB47_520:
	s_mov_b64 s[0:1], 0
.LBB47_521:
	s_andn2_b64 vcc, exec, s[0:1]
	s_cbranch_vccnz .LBB47_523
; %bb.522:
	global_load_sshort v6, v[0:1], off
	s_movk_i32 s0, 0x7fff
	s_waitcnt vmcnt(0)
	v_cvt_f32_i32_e32 v6, v6
	v_bfe_u32 v7, v6, 16, 1
	v_add3_u32 v6, v6, v7, s0
	v_lshrrev_b32_e32 v6, 16, v6
.LBB47_523:
	s_mov_b64 s[0:1], 0
.LBB47_524:
	s_andn2_b64 vcc, exec, s[0:1]
	s_cbranch_vccnz .LBB47_530
; %bb.525:
	v_mov_b32_e32 v6, 0
	v_cmp_gt_i16_sdwa s[0:1], v5, v6 src0_sel:BYTE_0 src1_sel:DWORD
	s_and_b64 vcc, exec, s[0:1]
	s_cbranch_vccz .LBB47_527
; %bb.526:
	global_load_sbyte v6, v[0:1], off
	s_movk_i32 s0, 0x7fff
	s_waitcnt vmcnt(0)
	v_cvt_f32_i32_e32 v6, v6
	v_bfe_u32 v7, v6, 16, 1
	v_add3_u32 v6, v6, v7, s0
	v_lshrrev_b32_e32 v6, 16, v6
	s_mov_b64 s[0:1], 0
	s_branch .LBB47_528
.LBB47_527:
	s_mov_b64 s[0:1], -1
                                        ; implicit-def: $vgpr6
.LBB47_528:
	s_andn2_b64 vcc, exec, s[0:1]
	s_cbranch_vccnz .LBB47_530
; %bb.529:
	global_load_ubyte v0, v[0:1], off
	s_movk_i32 s0, 0x7fff
	s_waitcnt vmcnt(0)
	v_cvt_f32_ubyte0_e32 v0, v0
	v_bfe_u32 v1, v0, 16, 1
	v_add3_u32 v0, v0, v1, s0
	v_lshrrev_b32_e32 v6, 16, v0
.LBB47_530:
	s_branch .LBB47_399
.LBB47_531:
	s_mov_b64 s[34:35], 0
	s_mov_b64 s[0:1], s[6:7]
	;; [unrolled: 1-line block ×3, first 2 shown]
.LBB47_532:
                                        ; implicit-def: $vgpr3
	s_branch .LBB47_776
.LBB47_533:
	s_or_saveexec_b64 s[28:29], s[28:29]
                                        ; implicit-def: $sgpr15
	s_xor_b64 exec, exec, s[28:29]
	s_cbranch_execz .LBB47_195
.LBB47_534:
	s_mov_b32 s15, 0x42800000
	v_add_f32_e64 v8, |v9|, s15
	v_and_b32_e32 v8, 0xff, v8
	v_cmp_ne_u32_e32 vcc, 0, v8
	s_andn2_b64 s[24:25], s[24:25], exec
	s_and_b64 s[30:31], vcc, exec
	s_mov_b32 s15, 0
	s_or_b64 s[24:25], s[24:25], s[30:31]
	s_or_b64 exec, exec, s[28:29]
	v_mov_b32_e32 v10, s15
	s_and_saveexec_b64 s[28:29], s[24:25]
	s_cbranch_execnz .LBB47_196
	s_branch .LBB47_197
.LBB47_535:
	s_mov_b64 s[26:27], -1
                                        ; implicit-def: $vgpr7
	s_mov_b64 s[0:1], 0
.LBB47_536:
	s_and_b64 vcc, exec, s[28:29]
	s_cbranch_vccz .LBB47_540
; %bb.537:
	s_waitcnt vmcnt(0)
	v_mov_b32_e32 v7, 44
	v_cmp_eq_u16_sdwa s[26:27], v4, v7 src0_sel:BYTE_0 src1_sel:DWORD
	s_and_b64 vcc, exec, s[26:27]
	s_cbranch_vccz .LBB47_539
; %bb.538:
	global_load_ubyte v7, v[0:1], off
	s_movk_i32 s15, 0xff
	v_mov_b32_e32 v8, 0x7f800001
	v_mov_b32_e32 v9, 0x400000
	;; [unrolled: 1-line block ×3, first 2 shown]
	s_mov_b64 s[0:1], -1
	s_mov_b64 s[26:27], 0
	s_waitcnt vmcnt(0)
	v_lshlrev_b32_e32 v11, 23, v7
	v_cmp_ne_u32_e32 vcc, s15, v7
	v_cndmask_b32_e32 v8, v8, v11, vcc
	v_cmp_ne_u32_e32 vcc, 0, v7
	v_cndmask_b32_e32 v7, v9, v8, vcc
	v_add_u32_e32 v8, 0x7fff, v7
	v_lshrrev_b32_e32 v8, 16, v8
	v_cmp_o_f32_e32 vcc, v7, v7
	v_cndmask_b32_e32 v7, v10, v8, vcc
	s_branch .LBB47_540
.LBB47_539:
	s_mov_b64 s[26:27], -1
                                        ; implicit-def: $vgpr7
.LBB47_540:
	s_mov_b64 s[28:29], 0
.LBB47_541:
	s_and_b64 vcc, exec, s[28:29]
	s_cbranch_vccz .LBB47_545
; %bb.542:
	s_waitcnt vmcnt(0)
	v_mov_b32_e32 v7, 29
	v_cmp_eq_u16_sdwa s[26:27], v4, v7 src0_sel:BYTE_0 src1_sel:DWORD
	s_and_b64 vcc, exec, s[26:27]
	s_cbranch_vccz .LBB47_544
; %bb.543:
	global_load_dwordx2 v[8:9], v[0:1], off
	s_movk_i32 s15, 0x7fff
	s_mov_b64 s[0:1], -1
	s_mov_b64 s[26:27], 0
	s_mov_b64 s[28:29], 0
	s_waitcnt vmcnt(0)
	v_ffbh_u32_e32 v7, v9
	v_min_u32_e32 v7, 32, v7
	v_lshlrev_b64 v[8:9], v7, v[8:9]
	v_min_u32_e32 v8, 1, v8
	v_or_b32_e32 v8, v9, v8
	v_cvt_f32_u32_e32 v8, v8
	v_sub_u32_e32 v7, 32, v7
	v_ldexp_f32 v7, v8, v7
	v_bfe_u32 v8, v7, 16, 1
	v_add3_u32 v7, v7, v8, s15
	v_lshrrev_b32_e32 v7, 16, v7
	s_branch .LBB47_546
.LBB47_544:
	s_mov_b64 s[26:27], -1
                                        ; implicit-def: $vgpr7
.LBB47_545:
	s_mov_b64 s[28:29], 0
.LBB47_546:
	s_and_b64 vcc, exec, s[28:29]
	s_cbranch_vccz .LBB47_564
; %bb.547:
	s_waitcnt vmcnt(0)
	v_mov_b32_e32 v7, 27
	v_cmp_lt_i16_sdwa s[0:1], v4, v7 src0_sel:BYTE_0 src1_sel:DWORD
	s_and_b64 vcc, exec, s[0:1]
	s_cbranch_vccnz .LBB47_550
; %bb.548:
	v_cmp_gt_i16_sdwa s[0:1], v4, v7 src0_sel:BYTE_0 src1_sel:DWORD
	s_and_b64 vcc, exec, s[0:1]
	s_cbranch_vccz .LBB47_551
; %bb.549:
	global_load_dword v7, v[0:1], off
	s_movk_i32 s0, 0x7fff
	s_waitcnt vmcnt(0)
	v_cvt_f32_u32_e32 v7, v7
	v_bfe_u32 v8, v7, 16, 1
	v_add3_u32 v7, v7, v8, s0
	v_lshrrev_b32_e32 v7, 16, v7
	s_mov_b64 s[0:1], 0
	s_branch .LBB47_552
.LBB47_550:
	s_mov_b64 s[0:1], -1
                                        ; implicit-def: $vgpr7
	s_branch .LBB47_555
.LBB47_551:
	s_mov_b64 s[0:1], -1
                                        ; implicit-def: $vgpr7
.LBB47_552:
	s_andn2_b64 vcc, exec, s[0:1]
	s_cbranch_vccnz .LBB47_554
; %bb.553:
	global_load_ushort v7, v[0:1], off
	s_movk_i32 s0, 0x7fff
	s_waitcnt vmcnt(0)
	v_cvt_f32_u32_e32 v7, v7
	v_bfe_u32 v8, v7, 16, 1
	v_add3_u32 v7, v7, v8, s0
	v_lshrrev_b32_e32 v7, 16, v7
.LBB47_554:
	s_mov_b64 s[0:1], 0
.LBB47_555:
	s_andn2_b64 vcc, exec, s[0:1]
	s_cbranch_vccnz .LBB47_563
; %bb.556:
	global_load_ubyte v7, v[0:1], off
	s_movk_i32 s0, 0x7f
                                        ; implicit-def: $sgpr15
	s_waitcnt vmcnt(0)
	v_cmp_lt_i16_e32 vcc, s0, v7
	s_mov_b64 s[0:1], 0
	s_and_saveexec_b64 s[28:29], vcc
	s_xor_b64 s[28:29], exec, s[28:29]
	s_cbranch_execz .LBB47_577
; %bb.557:
	s_movk_i32 s0, 0x80
	v_cmp_eq_u16_e32 vcc, s0, v7
	s_mov_b64 s[0:1], -1
                                        ; implicit-def: $sgpr15
	s_and_saveexec_b64 s[34:35], vcc
; %bb.558:
	s_mov_b32 s15, 0x7f800001
	s_xor_b64 s[0:1], exec, -1
; %bb.559:
	s_or_b64 exec, exec, s[34:35]
	s_and_b64 s[0:1], s[0:1], exec
	s_or_saveexec_b64 s[28:29], s[28:29]
	v_mov_b32_e32 v8, s15
	s_xor_b64 exec, exec, s[28:29]
	s_cbranch_execnz .LBB47_578
.LBB47_560:
	s_or_b64 exec, exec, s[28:29]
	s_and_saveexec_b64 s[28:29], s[0:1]
	s_cbranch_execz .LBB47_562
.LBB47_561:
	v_lshlrev_b32_e32 v8, 24, v7
	v_and_b32_e32 v7, 0xffff, v7
	v_and_b32_e32 v9, 7, v7
	v_ffbh_u32_e32 v11, v9
	v_min_u32_e32 v11, 32, v11
	v_subrev_u32_e32 v12, 28, v11
	v_bfe_u32 v10, v7, 3, 4
	v_lshlrev_b32_e32 v7, v12, v7
	v_sub_u32_e32 v11, 29, v11
	v_and_b32_e32 v7, 7, v7
	v_cmp_eq_u32_e32 vcc, 0, v10
	v_cndmask_b32_e32 v10, v10, v11, vcc
	v_cndmask_b32_e32 v7, v9, v7, vcc
	v_mov_b32_e32 v9, 0x3b800000
	v_lshlrev_b32_e32 v7, 20, v7
	v_and_b32_e32 v8, 0x80000000, v8
	v_lshl_add_u32 v9, v10, 23, v9
	v_or3_b32 v8, v8, v9, v7
.LBB47_562:
	s_or_b64 exec, exec, s[28:29]
	v_bfe_u32 v7, v8, 16, 1
	s_movk_i32 s0, 0x7fff
	v_add3_u32 v7, v8, v7, s0
	v_lshrrev_b32_e32 v7, 16, v7
	v_mov_b32_e32 v9, 0x7fc0
	v_cmp_o_f32_e32 vcc, v8, v8
	v_cndmask_b32_e32 v7, v9, v7, vcc
.LBB47_563:
	s_mov_b64 s[0:1], -1
.LBB47_564:
	s_mov_b64 s[28:29], 0
.LBB47_565:
	s_and_b64 vcc, exec, s[28:29]
	s_cbranch_vccz .LBB47_600
; %bb.566:
	s_waitcnt vmcnt(0)
	v_mov_b32_e32 v7, 22
	v_cmp_gt_i16_sdwa s[28:29], v4, v7 src0_sel:BYTE_0 src1_sel:DWORD
	s_and_b64 vcc, exec, s[28:29]
	s_cbranch_vccz .LBB47_576
; %bb.567:
	v_mov_b32_e32 v7, 24
	v_cmp_lt_i16_sdwa s[0:1], v4, v7 src0_sel:BYTE_0 src1_sel:DWORD
	s_and_b64 vcc, exec, s[0:1]
	s_cbranch_vccnz .LBB47_579
; %bb.568:
	v_cmp_gt_i16_sdwa s[0:1], v4, v7 src0_sel:BYTE_0 src1_sel:DWORD
	s_and_b64 vcc, exec, s[0:1]
	s_cbranch_vccz .LBB47_580
; %bb.569:
	global_load_ubyte v7, v[0:1], off
	s_movk_i32 s0, 0x7f
                                        ; implicit-def: $sgpr15
	s_waitcnt vmcnt(0)
	v_cmp_lt_i16_e32 vcc, s0, v7
	s_mov_b64 s[0:1], 0
	s_and_saveexec_b64 s[28:29], vcc
	s_xor_b64 s[28:29], exec, s[28:29]
	s_cbranch_execz .LBB47_592
; %bb.570:
	s_movk_i32 s0, 0x80
	v_cmp_eq_u16_e32 vcc, s0, v7
	s_mov_b64 s[0:1], -1
                                        ; implicit-def: $sgpr15
	s_and_saveexec_b64 s[34:35], vcc
; %bb.571:
	s_mov_b32 s15, 0x7f800001
	s_xor_b64 s[0:1], exec, -1
; %bb.572:
	s_or_b64 exec, exec, s[34:35]
	s_and_b64 s[0:1], s[0:1], exec
	s_or_saveexec_b64 s[28:29], s[28:29]
	v_mov_b32_e32 v8, s15
	s_xor_b64 exec, exec, s[28:29]
	s_cbranch_execnz .LBB47_593
.LBB47_573:
	s_or_b64 exec, exec, s[28:29]
	s_and_saveexec_b64 s[28:29], s[0:1]
	s_cbranch_execz .LBB47_575
.LBB47_574:
	v_lshlrev_b32_e32 v8, 24, v7
	v_and_b32_e32 v7, 0xffff, v7
	v_and_b32_e32 v9, 3, v7
	v_ffbh_u32_e32 v11, v9
	v_min_u32_e32 v11, 32, v11
	v_subrev_u32_e32 v12, 29, v11
	v_bfe_u32 v10, v7, 2, 5
	v_lshlrev_b32_e32 v7, v12, v7
	v_sub_u32_e32 v11, 30, v11
	v_and_b32_e32 v7, 3, v7
	v_cmp_eq_u32_e32 vcc, 0, v10
	v_cndmask_b32_e32 v10, v10, v11, vcc
	v_cndmask_b32_e32 v7, v9, v7, vcc
	v_mov_b32_e32 v9, 0x37800000
	v_lshlrev_b32_e32 v7, 21, v7
	v_and_b32_e32 v8, 0x80000000, v8
	v_lshl_add_u32 v9, v10, 23, v9
	v_or3_b32 v8, v8, v9, v7
.LBB47_575:
	s_or_b64 exec, exec, s[28:29]
	v_bfe_u32 v7, v8, 16, 1
	s_movk_i32 s0, 0x7fff
	v_add3_u32 v7, v8, v7, s0
	v_lshrrev_b32_e32 v7, 16, v7
	v_mov_b32_e32 v9, 0x7fc0
	v_cmp_o_f32_e32 vcc, v8, v8
	v_cndmask_b32_e32 v7, v9, v7, vcc
	s_mov_b64 s[0:1], 0
	s_branch .LBB47_581
.LBB47_576:
	s_mov_b64 s[28:29], -1
                                        ; implicit-def: $vgpr7
	s_branch .LBB47_587
.LBB47_577:
	s_or_saveexec_b64 s[28:29], s[28:29]
	v_mov_b32_e32 v8, s15
	s_xor_b64 exec, exec, s[28:29]
	s_cbranch_execz .LBB47_560
.LBB47_578:
	v_cmp_ne_u16_e32 vcc, 0, v7
	s_andn2_b64 s[0:1], s[0:1], exec
	s_and_b64 s[34:35], vcc, exec
	v_mov_b32_e32 v8, 0
	s_or_b64 s[0:1], s[0:1], s[34:35]
	s_or_b64 exec, exec, s[28:29]
	s_and_saveexec_b64 s[28:29], s[0:1]
	s_cbranch_execnz .LBB47_561
	s_branch .LBB47_562
.LBB47_579:
	s_mov_b64 s[0:1], -1
                                        ; implicit-def: $vgpr7
	s_branch .LBB47_584
.LBB47_580:
	s_mov_b64 s[0:1], -1
                                        ; implicit-def: $vgpr7
.LBB47_581:
	s_and_b64 vcc, exec, s[0:1]
	s_cbranch_vccz .LBB47_583
; %bb.582:
	global_load_ubyte v7, v[0:1], off
	s_mov_b32 s0, 0x7f800000
	s_brev_b32 s1, 1
	s_movk_i32 s15, 0x7fff
	v_mov_b32_e32 v8, 0x7fc0
	s_waitcnt vmcnt(0)
	v_lshlrev_b32_e32 v7, 24, v7
	v_and_b32_e32 v9, 0x7f000000, v7
	v_ffbh_u32_e32 v10, v9
	v_min_u32_e32 v10, 32, v10
	v_sub_u32_e64 v10, v10, 4 clamp
	v_lshlrev_b32_e32 v12, v10, v9
	v_lshlrev_b32_e32 v10, 23, v10
	v_lshrrev_b32_e32 v12, 4, v12
	v_add_u32_e32 v11, 0x1000000, v9
	v_sub_u32_e32 v10, v12, v10
	v_ashrrev_i32_e32 v11, 8, v11
	v_add_u32_e32 v10, 0x3c000000, v10
	v_and_or_b32 v10, v11, s0, v10
	v_cmp_ne_u32_e32 vcc, 0, v9
	v_cndmask_b32_e32 v9, 0, v10, vcc
	v_and_or_b32 v7, v7, s1, v9
	v_bfe_u32 v9, v9, 16, 1
	v_add3_u32 v9, v7, v9, s15
	v_lshrrev_b32_e32 v9, 16, v9
	v_cmp_o_f32_e32 vcc, v7, v7
	v_cndmask_b32_e32 v7, v8, v9, vcc
.LBB47_583:
	s_mov_b64 s[0:1], 0
.LBB47_584:
	s_andn2_b64 vcc, exec, s[0:1]
	s_cbranch_vccnz .LBB47_586
; %bb.585:
	global_load_ubyte v7, v[0:1], off
	s_movk_i32 s0, 0x7f00
	s_brev_b32 s1, 16
	s_brev_b32 s15, 1
	s_movk_i32 s28, 0x7fff
	v_mov_b32_e32 v8, 0x7fc0
	s_waitcnt vmcnt(0)
	v_lshlrev_b16_e32 v9, 8, v7
	v_lshlrev_b32_e32 v7, 25, v7
	v_lshrrev_b32_e32 v10, 4, v7
	v_and_or_b32 v11, v9, s0, 0.5
	v_or_b32_e32 v10, 0x70000000, v10
	v_add_f32_e32 v11, -0.5, v11
	v_mul_f32_e32 v10, 0x7800000, v10
	v_cmp_gt_u32_e32 vcc, s1, v7
	v_bfe_i32 v9, v9, 0, 16
	v_cndmask_b32_e32 v7, v10, v11, vcc
	v_and_or_b32 v9, v9, s15, v7
	v_bfe_u32 v7, v7, 16, 1
	v_add3_u32 v7, v9, v7, s28
	v_lshrrev_b32_e32 v7, 16, v7
	v_cmp_o_f32_e32 vcc, v9, v9
	v_cndmask_b32_e32 v7, v8, v7, vcc
.LBB47_586:
	s_mov_b64 s[28:29], 0
	s_mov_b64 s[0:1], -1
.LBB47_587:
	s_andn2_b64 vcc, exec, s[28:29]
	s_cbranch_vccnz .LBB47_600
; %bb.588:
	v_mov_b32_e32 v7, 14
	v_cmp_gt_i16_sdwa s[28:29], v4, v7 src0_sel:BYTE_0 src1_sel:DWORD
	s_and_b64 vcc, exec, s[28:29]
	s_cbranch_vccz .LBB47_591
; %bb.589:
	v_mov_b32_e32 v7, 15
	v_cmp_eq_u16_sdwa s[26:27], v4, v7 src0_sel:BYTE_0 src1_sel:DWORD
	s_and_b64 vcc, exec, s[26:27]
	s_cbranch_vccz .LBB47_594
; %bb.590:
	global_load_ushort v7, v[0:1], off
	s_mov_b64 s[0:1], -1
	s_mov_b64 s[26:27], 0
	s_branch .LBB47_595
.LBB47_591:
	s_mov_b64 s[28:29], -1
                                        ; implicit-def: $vgpr7
	s_branch .LBB47_596
.LBB47_592:
	s_or_saveexec_b64 s[28:29], s[28:29]
	v_mov_b32_e32 v8, s15
	s_xor_b64 exec, exec, s[28:29]
	s_cbranch_execz .LBB47_573
.LBB47_593:
	v_cmp_ne_u16_e32 vcc, 0, v7
	s_andn2_b64 s[0:1], s[0:1], exec
	s_and_b64 s[34:35], vcc, exec
	v_mov_b32_e32 v8, 0
	s_or_b64 s[0:1], s[0:1], s[34:35]
	s_or_b64 exec, exec, s[28:29]
	s_and_saveexec_b64 s[28:29], s[0:1]
	s_cbranch_execnz .LBB47_574
	s_branch .LBB47_575
.LBB47_594:
	s_mov_b64 s[26:27], -1
                                        ; implicit-def: $vgpr7
.LBB47_595:
	s_mov_b64 s[28:29], 0
.LBB47_596:
	s_and_b64 vcc, exec, s[28:29]
	s_cbranch_vccz .LBB47_600
; %bb.597:
	s_waitcnt vmcnt(0)
	v_mov_b32_e32 v7, 11
	v_cmp_eq_u16_sdwa s[26:27], v4, v7 src0_sel:BYTE_0 src1_sel:DWORD
	s_and_b64 vcc, exec, s[26:27]
	s_cbranch_vccz .LBB47_599
; %bb.598:
	global_load_ubyte v7, v[0:1], off
	s_mov_b64 s[0:1], -1
	s_mov_b64 s[26:27], 0
	s_waitcnt vmcnt(0)
	v_cmp_ne_u16_e32 vcc, 0, v7
	v_cndmask_b32_e64 v7, 0, 1.0, vcc
	v_lshrrev_b32_e32 v7, 16, v7
	s_branch .LBB47_600
.LBB47_599:
	s_mov_b64 s[26:27], -1
                                        ; implicit-def: $vgpr7
.LBB47_600:
	s_mov_b64 s[28:29], 0
.LBB47_601:
	s_and_b64 vcc, exec, s[28:29]
	s_cbranch_vccz .LBB47_650
; %bb.602:
	s_waitcnt vmcnt(0)
	v_mov_b32_e32 v7, 5
	v_cmp_lt_i16_sdwa s[0:1], v4, v7 src0_sel:BYTE_0 src1_sel:DWORD
	s_and_b64 vcc, exec, s[0:1]
	s_cbranch_vccnz .LBB47_607
; %bb.603:
	v_mov_b32_e32 v7, 8
	v_cmp_lt_i16_sdwa s[0:1], v4, v7 src0_sel:BYTE_0 src1_sel:DWORD
	s_and_b64 vcc, exec, s[0:1]
	s_cbranch_vccnz .LBB47_608
; %bb.604:
	;; [unrolled: 5-line block ×3, first 2 shown]
	v_cmp_gt_i16_sdwa s[0:1], v4, v7 src0_sel:BYTE_0 src1_sel:DWORD
	s_and_b64 vcc, exec, s[0:1]
	s_cbranch_vccz .LBB47_610
; %bb.606:
	global_load_dwordx2 v[8:9], v[0:1], off
	s_movk_i32 s0, 0x7fff
	v_mov_b32_e32 v7, 0x7fc0
	s_waitcnt vmcnt(0)
	v_cvt_f32_f64_e32 v8, v[8:9]
	v_bfe_u32 v9, v8, 16, 1
	v_add3_u32 v9, v8, v9, s0
	v_lshrrev_b32_e32 v9, 16, v9
	v_cmp_o_f32_e32 vcc, v8, v8
	v_cndmask_b32_e32 v7, v7, v9, vcc
	s_mov_b64 s[0:1], 0
	s_branch .LBB47_611
.LBB47_607:
	s_mov_b64 s[0:1], -1
                                        ; implicit-def: $vgpr7
	s_branch .LBB47_629
.LBB47_608:
	s_mov_b64 s[0:1], -1
                                        ; implicit-def: $vgpr7
	s_branch .LBB47_617
.LBB47_609:
	s_mov_b64 s[0:1], -1
                                        ; implicit-def: $vgpr7
	s_branch .LBB47_614
.LBB47_610:
	s_mov_b64 s[0:1], -1
                                        ; implicit-def: $vgpr7
.LBB47_611:
	s_andn2_b64 vcc, exec, s[0:1]
	s_cbranch_vccnz .LBB47_613
; %bb.612:
	global_load_dword v7, v[0:1], off
	s_movk_i32 s0, 0x7fff
	v_mov_b32_e32 v8, 0x7fc0
	s_waitcnt vmcnt(0)
	v_bfe_u32 v9, v7, 16, 1
	v_add3_u32 v9, v7, v9, s0
	v_lshrrev_b32_e32 v9, 16, v9
	v_cmp_o_f32_e32 vcc, v7, v7
	v_cndmask_b32_e32 v7, v8, v9, vcc
.LBB47_613:
	s_mov_b64 s[0:1], 0
.LBB47_614:
	s_andn2_b64 vcc, exec, s[0:1]
	s_cbranch_vccnz .LBB47_616
; %bb.615:
	global_load_dword v7, v[0:1], off
	s_movk_i32 s0, 0x7fff
	v_mov_b32_e32 v9, 0x7fc0
	s_waitcnt vmcnt(0)
	v_cvt_f32_f16_e32 v8, v7
	v_cmp_o_f16_e32 vcc, v7, v7
	v_bfe_u32 v10, v8, 16, 1
	v_add3_u32 v8, v8, v10, s0
	v_lshrrev_b32_e32 v8, 16, v8
	v_cndmask_b32_e32 v7, v9, v8, vcc
.LBB47_616:
	s_mov_b64 s[0:1], 0
.LBB47_617:
	s_andn2_b64 vcc, exec, s[0:1]
	s_cbranch_vccnz .LBB47_628
; %bb.618:
	v_mov_b32_e32 v7, 6
	v_cmp_lt_i16_sdwa s[0:1], v4, v7 src0_sel:BYTE_0 src1_sel:DWORD
	s_and_b64 vcc, exec, s[0:1]
	s_cbranch_vccnz .LBB47_621
; %bb.619:
	v_cmp_gt_i16_sdwa s[0:1], v4, v7 src0_sel:BYTE_0 src1_sel:DWORD
	s_and_b64 vcc, exec, s[0:1]
	s_cbranch_vccz .LBB47_622
; %bb.620:
	global_load_dwordx2 v[8:9], v[0:1], off
	s_movk_i32 s0, 0x7fff
	v_mov_b32_e32 v7, 0x7fc0
	s_waitcnt vmcnt(0)
	v_cvt_f32_f64_e32 v8, v[8:9]
	v_bfe_u32 v9, v8, 16, 1
	v_add3_u32 v9, v8, v9, s0
	v_lshrrev_b32_e32 v9, 16, v9
	v_cmp_o_f32_e32 vcc, v8, v8
	v_cndmask_b32_e32 v7, v7, v9, vcc
	s_mov_b64 s[0:1], 0
	s_branch .LBB47_623
.LBB47_621:
	s_mov_b64 s[0:1], -1
                                        ; implicit-def: $vgpr7
	s_branch .LBB47_626
.LBB47_622:
	s_mov_b64 s[0:1], -1
                                        ; implicit-def: $vgpr7
.LBB47_623:
	s_andn2_b64 vcc, exec, s[0:1]
	s_cbranch_vccnz .LBB47_625
; %bb.624:
	global_load_dword v7, v[0:1], off
	s_movk_i32 s0, 0x7fff
	v_mov_b32_e32 v8, 0x7fc0
	s_waitcnt vmcnt(0)
	v_bfe_u32 v9, v7, 16, 1
	v_add3_u32 v9, v7, v9, s0
	v_lshrrev_b32_e32 v9, 16, v9
	v_cmp_o_f32_e32 vcc, v7, v7
	v_cndmask_b32_e32 v7, v8, v9, vcc
.LBB47_625:
	s_mov_b64 s[0:1], 0
.LBB47_626:
	s_andn2_b64 vcc, exec, s[0:1]
	s_cbranch_vccnz .LBB47_628
; %bb.627:
	global_load_ushort v7, v[0:1], off
	s_movk_i32 s0, 0x7fff
	v_mov_b32_e32 v9, 0x7fc0
	s_waitcnt vmcnt(0)
	v_cvt_f32_f16_e32 v8, v7
	v_cmp_o_f16_e32 vcc, v7, v7
	v_bfe_u32 v10, v8, 16, 1
	v_add3_u32 v8, v8, v10, s0
	v_lshrrev_b32_e32 v8, 16, v8
	v_cndmask_b32_e32 v7, v9, v8, vcc
.LBB47_628:
	s_mov_b64 s[0:1], 0
.LBB47_629:
	s_andn2_b64 vcc, exec, s[0:1]
	s_cbranch_vccnz .LBB47_649
; %bb.630:
	v_mov_b32_e32 v7, 2
	v_cmp_lt_i16_sdwa s[0:1], v4, v7 src0_sel:BYTE_0 src1_sel:DWORD
	s_and_b64 vcc, exec, s[0:1]
	s_cbranch_vccnz .LBB47_634
; %bb.631:
	v_mov_b32_e32 v7, 3
	v_cmp_lt_i16_sdwa s[0:1], v4, v7 src0_sel:BYTE_0 src1_sel:DWORD
	s_and_b64 vcc, exec, s[0:1]
	s_cbranch_vccnz .LBB47_635
; %bb.632:
	v_cmp_gt_i16_sdwa s[0:1], v4, v7 src0_sel:BYTE_0 src1_sel:DWORD
	s_and_b64 vcc, exec, s[0:1]
	s_cbranch_vccz .LBB47_636
; %bb.633:
	global_load_dwordx2 v[8:9], v[0:1], off
	s_movk_i32 s0, 0x7fff
	s_waitcnt vmcnt(0)
	v_xor_b32_e32 v10, v8, v9
	v_ffbh_i32_e32 v7, v9
	v_ashrrev_i32_e32 v10, 31, v10
	v_add_u32_e32 v7, -1, v7
	v_add_u32_e32 v10, 32, v10
	v_min_u32_e32 v7, v7, v10
	v_lshlrev_b64 v[8:9], v7, v[8:9]
	v_min_u32_e32 v8, 1, v8
	v_or_b32_e32 v8, v9, v8
	v_cvt_f32_i32_e32 v8, v8
	v_sub_u32_e32 v7, 32, v7
	v_ldexp_f32 v7, v8, v7
	v_bfe_u32 v8, v7, 16, 1
	v_add3_u32 v7, v7, v8, s0
	v_lshrrev_b32_e32 v7, 16, v7
	s_mov_b64 s[0:1], 0
	s_branch .LBB47_637
.LBB47_634:
	s_mov_b64 s[0:1], -1
                                        ; implicit-def: $vgpr7
	s_branch .LBB47_643
.LBB47_635:
	s_mov_b64 s[0:1], -1
                                        ; implicit-def: $vgpr7
	s_branch .LBB47_640
.LBB47_636:
	s_mov_b64 s[0:1], -1
                                        ; implicit-def: $vgpr7
.LBB47_637:
	s_andn2_b64 vcc, exec, s[0:1]
	s_cbranch_vccnz .LBB47_639
; %bb.638:
	global_load_dword v7, v[0:1], off
	s_movk_i32 s0, 0x7fff
	s_waitcnt vmcnt(0)
	v_cvt_f32_i32_e32 v7, v7
	v_bfe_u32 v8, v7, 16, 1
	v_add3_u32 v7, v7, v8, s0
	v_lshrrev_b32_e32 v7, 16, v7
.LBB47_639:
	s_mov_b64 s[0:1], 0
.LBB47_640:
	s_andn2_b64 vcc, exec, s[0:1]
	s_cbranch_vccnz .LBB47_642
; %bb.641:
	global_load_sshort v7, v[0:1], off
	s_movk_i32 s0, 0x7fff
	s_waitcnt vmcnt(0)
	v_cvt_f32_i32_e32 v7, v7
	v_bfe_u32 v8, v7, 16, 1
	v_add3_u32 v7, v7, v8, s0
	v_lshrrev_b32_e32 v7, 16, v7
.LBB47_642:
	s_mov_b64 s[0:1], 0
.LBB47_643:
	s_andn2_b64 vcc, exec, s[0:1]
	s_cbranch_vccnz .LBB47_649
; %bb.644:
	v_mov_b32_e32 v7, 0
	v_cmp_gt_i16_sdwa s[0:1], v4, v7 src0_sel:BYTE_0 src1_sel:DWORD
	s_and_b64 vcc, exec, s[0:1]
	s_cbranch_vccz .LBB47_646
; %bb.645:
	global_load_sbyte v7, v[0:1], off
	s_movk_i32 s0, 0x7fff
	s_waitcnt vmcnt(0)
	v_cvt_f32_i32_e32 v7, v7
	v_bfe_u32 v8, v7, 16, 1
	v_add3_u32 v7, v7, v8, s0
	v_lshrrev_b32_e32 v7, 16, v7
	s_mov_b64 s[0:1], 0
	s_branch .LBB47_647
.LBB47_646:
	s_mov_b64 s[0:1], -1
                                        ; implicit-def: $vgpr7
.LBB47_647:
	s_andn2_b64 vcc, exec, s[0:1]
	s_cbranch_vccnz .LBB47_649
; %bb.648:
	global_load_ubyte v0, v[0:1], off
	s_movk_i32 s0, 0x7fff
	s_waitcnt vmcnt(0)
	v_cvt_f32_ubyte0_e32 v0, v0
	v_bfe_u32 v1, v0, 16, 1
	v_add3_u32 v0, v0, v1, s0
	v_lshrrev_b32_e32 v7, 16, v0
.LBB47_649:
	s_mov_b64 s[0:1], -1
.LBB47_650:
	s_andn2_b64 vcc, exec, s[0:1]
	s_cbranch_vccnz .LBB47_660
; %bb.651:
	s_waitcnt vmcnt(0)
	v_lshlrev_b32_e32 v0, 16, v6
	v_cmp_nlt_f32_e32 vcc, 0, v0
	s_and_saveexec_b64 s[0:1], vcc
; %bb.652:
	v_lshlrev_b32_e32 v1, 16, v7
	v_mul_f32_e32 v0, v0, v1
	v_bfe_u32 v1, v0, 16, 1
	s_movk_i32 s15, 0x7fff
	v_add3_u32 v1, v0, v1, s15
	v_lshrrev_b32_e32 v1, 16, v1
	v_mov_b32_e32 v6, 0x7fc0
	v_cmp_o_f32_e32 vcc, v0, v0
	v_cndmask_b32_e32 v6, v6, v1, vcc
; %bb.653:
	s_or_b64 exec, exec, s[0:1]
	v_mul_lo_u32 v0, v3, s12
	v_ashrrev_i32_e32 v1, 31, v0
	v_mov_b32_e32 v7, s9
	v_add_co_u32_e32 v0, vcc, s8, v0
	v_addc_co_u32_e32 v1, vcc, v7, v1, vcc
	v_mov_b32_e32 v7, 11
	v_cmp_lt_i16_sdwa s[0:1], v2, v7 src0_sel:BYTE_0 src1_sel:DWORD
	s_and_b64 vcc, exec, s[0:1]
	s_cbranch_vccnz .LBB47_661
; %bb.654:
	v_mov_b32_e32 v7, 25
	v_cmp_gt_i16_sdwa s[0:1], v2, v7 src0_sel:BYTE_0 src1_sel:DWORD
	s_and_b64 vcc, exec, s[0:1]
	s_cbranch_vccz .LBB47_662
; %bb.655:
	v_mov_b32_e32 v7, 28
	v_cmp_gt_i16_sdwa s[0:1], v2, v7 src0_sel:BYTE_0 src1_sel:DWORD
	s_and_b64 vcc, exec, s[0:1]
	s_cbranch_vccz .LBB47_663
	;; [unrolled: 5-line block ×4, first 2 shown]
; %bb.658:
	v_mov_b32_e32 v7, 46
	v_cmp_eq_u16_sdwa s[28:29], v2, v7 src0_sel:BYTE_0 src1_sel:DWORD
	s_mov_b64 s[34:35], 0
	s_mov_b64 s[0:1], -1
	s_and_b64 vcc, exec, s[28:29]
	s_mov_b64 s[28:29], 0
	s_cbranch_vccz .LBB47_666
; %bb.659:
	v_and_b32_e32 v7, 0xffff, v6
	global_store_dword v[0:1], v7, off
	s_mov_b64 s[28:29], -1
	s_mov_b64 s[0:1], 0
	s_branch .LBB47_666
.LBB47_660:
	s_mov_b64 s[34:35], 0
                                        ; implicit-def: $vgpr3
	s_mov_b64 s[0:1], s[6:7]
	s_branch .LBB47_776
.LBB47_661:
	s_mov_b64 s[34:35], -1
	s_mov_b64 s[28:29], 0
	s_mov_b64 s[0:1], s[6:7]
	s_branch .LBB47_735
.LBB47_662:
	s_mov_b64 s[34:35], -1
	s_mov_b64 s[28:29], 0
	s_mov_b64 s[0:1], s[6:7]
	s_branch .LBB47_693
.LBB47_663:
	s_mov_b64 s[34:35], -1
	s_mov_b64 s[28:29], 0
	s_mov_b64 s[0:1], s[6:7]
	s_branch .LBB47_676
.LBB47_664:
	s_mov_b64 s[34:35], -1
	s_mov_b64 s[28:29], 0
	s_mov_b64 s[0:1], s[6:7]
	s_branch .LBB47_672
.LBB47_665:
	s_mov_b64 s[34:35], -1
	s_mov_b64 s[28:29], 0
	s_mov_b64 s[0:1], s[6:7]
.LBB47_666:
	s_and_b64 vcc, exec, s[34:35]
	s_cbranch_vccz .LBB47_671
; %bb.667:
	v_mov_b32_e32 v7, 44
	v_cmp_eq_u16_sdwa s[34:35], v2, v7 src0_sel:BYTE_0 src1_sel:DWORD
	s_mov_b64 s[0:1], -1
	s_and_b64 vcc, exec, s[34:35]
	s_cbranch_vccz .LBB47_671
; %bb.668:
	v_and_b32_e32 v8, 0xffff, v6
	v_bfe_u32 v7, v8, 7, 8
	s_movk_i32 s0, 0xff
	v_cmp_ne_u32_e32 vcc, s0, v7
	v_mov_b32_e32 v9, 0xff
	s_and_saveexec_b64 s[28:29], vcc
; %bb.669:
	v_lshlrev_b32_e32 v10, 16, v8
	s_mov_b32 s0, 0x3f0000
	v_lshrrev_b32_e32 v9, 7, v8
	v_and_b32_e32 v8, 64, v8
	v_and_or_b32 v7, v10, s0, v7
	v_cmp_ne_u32_e32 vcc, 0, v8
	v_cmp_ne_u32_e64 s[0:1], 0, v7
	s_and_b64 s[0:1], vcc, s[0:1]
	v_cndmask_b32_e64 v7, 0, 1, s[0:1]
	v_add_u32_e32 v9, v9, v7
; %bb.670:
	s_or_b64 exec, exec, s[28:29]
	s_mov_b64 s[28:29], -1
	s_mov_b64 s[0:1], 0
	global_store_byte v[0:1], v9, off
.LBB47_671:
	s_mov_b64 s[34:35], 0
.LBB47_672:
	s_and_b64 vcc, exec, s[34:35]
	s_cbranch_vccz .LBB47_675
; %bb.673:
	v_mov_b32_e32 v7, 29
	v_cmp_eq_u16_sdwa s[34:35], v2, v7 src0_sel:BYTE_0 src1_sel:DWORD
	s_mov_b64 s[0:1], -1
	s_and_b64 vcc, exec, s[34:35]
	s_cbranch_vccz .LBB47_675
; %bb.674:
	v_lshlrev_b32_e32 v7, 16, v6
	v_trunc_f32_e32 v7, v7
	v_mul_f32_e32 v8, 0x2f800000, v7
	v_floor_f32_e32 v8, v8
	v_fmac_f32_e32 v7, 0xcf800000, v8
	v_cvt_u32_f32_e32 v9, v8
	v_cvt_u32_f32_e32 v8, v7
	s_mov_b64 s[28:29], -1
	s_mov_b64 s[0:1], 0
	s_mov_b64 s[34:35], 0
	global_store_dwordx2 v[0:1], v[8:9], off
	s_branch .LBB47_676
.LBB47_675:
	s_mov_b64 s[34:35], 0
.LBB47_676:
	s_and_b64 vcc, exec, s[34:35]
	s_cbranch_vccz .LBB47_692
; %bb.677:
	v_mov_b32_e32 v7, 27
	v_cmp_lt_i16_sdwa s[34:35], v2, v7 src0_sel:BYTE_0 src1_sel:DWORD
	s_mov_b64 s[28:29], -1
	s_and_b64 vcc, exec, s[34:35]
	s_cbranch_vccnz .LBB47_683
; %bb.678:
	v_cmp_gt_i16_sdwa s[34:35], v2, v7 src0_sel:BYTE_0 src1_sel:DWORD
	s_and_b64 vcc, exec, s[34:35]
	s_cbranch_vccz .LBB47_680
; %bb.679:
	v_lshlrev_b32_e32 v7, 16, v6
	v_cvt_u32_f32_e32 v7, v7
	s_mov_b64 s[28:29], 0
	global_store_dword v[0:1], v7, off
.LBB47_680:
	s_andn2_b64 vcc, exec, s[28:29]
	s_cbranch_vccnz .LBB47_682
; %bb.681:
	v_lshlrev_b32_e32 v7, 16, v6
	v_cvt_u32_f32_e32 v7, v7
	global_store_short v[0:1], v7, off
.LBB47_682:
	s_mov_b64 s[28:29], 0
.LBB47_683:
	s_andn2_b64 vcc, exec, s[28:29]
	s_cbranch_vccnz .LBB47_691
; %bb.684:
	v_lshlrev_b32_e32 v9, 16, v6
	v_and_b32_e32 v8, 0x7fffffff, v9
	s_mov_b32 s15, 0x43800000
	v_cmp_gt_u32_e32 vcc, s15, v8
	v_mov_b32_e32 v10, 0x80
	s_and_saveexec_b64 s[28:29], vcc
	s_cbranch_execz .LBB47_690
; %bb.685:
	s_mov_b32 s15, 0x3bffffff
	v_and_b32_e32 v7, 0xffff, v6
	v_cmp_lt_u32_e32 vcc, s15, v8
	s_mov_b64 s[34:35], 0
                                        ; implicit-def: $vgpr8
	s_and_saveexec_b64 s[36:37], vcc
	s_xor_b64 s[36:37], exec, s[36:37]
	s_cbranch_execz .LBB47_792
; %bb.686:
	v_bfe_u32 v8, v7, 4, 1
	s_mov_b32 s15, 0x487ffff
	v_add3_u32 v8, v9, v8, s15
	s_mov_b64 s[34:35], exec
	v_lshrrev_b32_e32 v8, 20, v8
                                        ; implicit-def: $vgpr9
	s_or_saveexec_b64 s[36:37], s[36:37]
                                        ; implicit-def: $sgpr15
	s_xor_b64 exec, exec, s[36:37]
	s_cbranch_execnz .LBB47_793
.LBB47_687:
	s_or_b64 exec, exec, s[36:37]
	v_mov_b32_e32 v10, s15
	s_and_saveexec_b64 s[36:37], s[34:35]
.LBB47_688:
	v_lshrrev_b32_e32 v7, 8, v7
	s_movk_i32 s15, 0x80
	v_and_or_b32 v10, v7, s15, v8
.LBB47_689:
	s_or_b64 exec, exec, s[36:37]
.LBB47_690:
	s_or_b64 exec, exec, s[28:29]
	global_store_byte v[0:1], v10, off
.LBB47_691:
	s_mov_b64 s[28:29], -1
.LBB47_692:
	s_mov_b64 s[34:35], 0
.LBB47_693:
	s_and_b64 vcc, exec, s[34:35]
	s_cbranch_vccz .LBB47_734
; %bb.694:
	v_mov_b32_e32 v7, 22
	v_cmp_gt_i16_sdwa s[36:37], v2, v7 src0_sel:BYTE_0 src1_sel:DWORD
	s_mov_b64 s[34:35], -1
	s_and_b64 vcc, exec, s[36:37]
	s_cbranch_vccz .LBB47_726
; %bb.695:
	v_mov_b32_e32 v7, 24
	v_cmp_lt_i16_sdwa s[34:35], v2, v7 src0_sel:BYTE_0 src1_sel:DWORD
	s_mov_b64 s[28:29], -1
	s_and_b64 vcc, exec, s[34:35]
	s_cbranch_vccnz .LBB47_715
; %bb.696:
	v_cmp_gt_i16_sdwa s[34:35], v2, v7 src0_sel:BYTE_0 src1_sel:DWORD
	s_and_b64 vcc, exec, s[34:35]
	s_cbranch_vccz .LBB47_704
; %bb.697:
	v_lshlrev_b32_e32 v9, 16, v6
	v_and_b32_e32 v8, 0x7fffffff, v9
	s_mov_b32 s15, 0x47800000
	v_cmp_gt_u32_e32 vcc, s15, v8
	v_mov_b32_e32 v10, 0x80
	s_and_saveexec_b64 s[28:29], vcc
	s_cbranch_execz .LBB47_703
; %bb.698:
	s_mov_b32 s15, 0x37ffffff
	v_and_b32_e32 v7, 0xffff, v6
	v_cmp_lt_u32_e32 vcc, s15, v8
	s_mov_b64 s[34:35], 0
                                        ; implicit-def: $vgpr8
	s_and_saveexec_b64 s[36:37], vcc
	s_xor_b64 s[36:37], exec, s[36:37]
	s_cbranch_execz .LBB47_924
; %bb.699:
	v_bfe_u32 v8, v7, 5, 1
	s_mov_b32 s15, 0x88fffff
	v_add3_u32 v8, v9, v8, s15
	s_mov_b64 s[34:35], exec
	v_lshrrev_b32_e32 v8, 21, v8
                                        ; implicit-def: $vgpr9
	s_or_saveexec_b64 s[36:37], s[36:37]
                                        ; implicit-def: $sgpr15
	s_xor_b64 exec, exec, s[36:37]
	s_cbranch_execnz .LBB47_925
.LBB47_700:
	s_or_b64 exec, exec, s[36:37]
	v_mov_b32_e32 v10, s15
	s_and_saveexec_b64 s[36:37], s[34:35]
.LBB47_701:
	v_lshrrev_b32_e32 v7, 8, v7
	s_movk_i32 s15, 0x80
	v_and_or_b32 v10, v7, s15, v8
.LBB47_702:
	s_or_b64 exec, exec, s[36:37]
.LBB47_703:
	s_or_b64 exec, exec, s[28:29]
	s_mov_b64 s[28:29], 0
	global_store_byte v[0:1], v10, off
.LBB47_704:
	s_and_b64 vcc, exec, s[28:29]
	s_cbranch_vccz .LBB47_714
; %bb.705:
	v_lshlrev_b32_e32 v9, 16, v6
	v_and_b32_e32 v10, 0x7fffffff, v9
	s_mov_b32 s15, 0x43f00000
	v_and_b32_e32 v7, 0xffff, v6
	v_cmp_gt_u32_e32 vcc, s15, v10
                                        ; implicit-def: $vgpr8
	s_and_saveexec_b64 s[28:29], vcc
	s_xor_b64 s[28:29], exec, s[28:29]
	s_cbranch_execz .LBB47_711
; %bb.706:
	s_mov_b32 s15, 0x3c7fffff
	v_cmp_lt_u32_e32 vcc, s15, v10
                                        ; implicit-def: $vgpr8
	s_and_saveexec_b64 s[34:35], vcc
	s_xor_b64 s[34:35], exec, s[34:35]
; %bb.707:
	v_bfe_u32 v8, v7, 4, 1
	s_mov_b32 s15, 0x407ffff
	v_add3_u32 v8, v9, v8, s15
	v_lshrrev_b32_e32 v9, 20, v8
	v_and_b32_e32 v8, 0xff00000, v8
	s_mov_b32 s15, 0x7f00000
	v_mov_b32_e32 v10, 0x7e
	v_cmp_ne_u32_e32 vcc, s15, v8
	v_cndmask_b32_e32 v8, v10, v9, vcc
                                        ; implicit-def: $vgpr9
; %bb.708:
	s_andn2_saveexec_b64 s[34:35], s[34:35]
; %bb.709:
	s_mov_b32 s15, 0x46800000
	v_add_f32_e64 v8, |v9|, s15
; %bb.710:
	s_or_b64 exec, exec, s[34:35]
                                        ; implicit-def: $vgpr10
.LBB47_711:
	s_andn2_saveexec_b64 s[28:29], s[28:29]
; %bb.712:
	s_mov_b32 s15, 0x7f800000
	v_mov_b32_e32 v8, 0x7e
	v_mov_b32_e32 v9, 0x7f
	v_cmp_lt_u32_e32 vcc, s15, v10
	v_cndmask_b32_e32 v8, v8, v9, vcc
; %bb.713:
	s_or_b64 exec, exec, s[28:29]
	v_lshrrev_b32_e32 v7, 8, v7
	s_movk_i32 s15, 0x80
	v_and_or_b32 v7, v7, s15, v8
	global_store_byte v[0:1], v7, off
.LBB47_714:
	s_mov_b64 s[28:29], 0
.LBB47_715:
	s_andn2_b64 vcc, exec, s[28:29]
	s_cbranch_vccnz .LBB47_725
; %bb.716:
	v_lshlrev_b32_e32 v9, 16, v6
	v_and_b32_e32 v10, 0x7fffffff, v9
	s_mov_b32 s15, 0x47800000
	v_and_b32_e32 v7, 0xffff, v6
	v_cmp_gt_u32_e32 vcc, s15, v10
                                        ; implicit-def: $vgpr8
	s_and_saveexec_b64 s[28:29], vcc
	s_xor_b64 s[28:29], exec, s[28:29]
	s_cbranch_execz .LBB47_722
; %bb.717:
	s_mov_b32 s15, 0x387fffff
	v_cmp_lt_u32_e32 vcc, s15, v10
                                        ; implicit-def: $vgpr8
	s_and_saveexec_b64 s[34:35], vcc
	s_xor_b64 s[34:35], exec, s[34:35]
; %bb.718:
	v_bfe_u32 v8, v7, 5, 1
	s_mov_b32 s15, 0x80fffff
	v_add3_u32 v8, v9, v8, s15
	v_lshrrev_b32_e32 v8, 21, v8
                                        ; implicit-def: $vgpr9
; %bb.719:
	s_andn2_saveexec_b64 s[34:35], s[34:35]
; %bb.720:
	s_mov_b32 s15, 0x43000000
	v_add_f32_e64 v8, |v9|, s15
; %bb.721:
	s_or_b64 exec, exec, s[34:35]
                                        ; implicit-def: $vgpr10
.LBB47_722:
	s_andn2_saveexec_b64 s[28:29], s[28:29]
; %bb.723:
	s_mov_b32 s15, 0x7f800000
	v_mov_b32_e32 v8, 0x7c
	v_mov_b32_e32 v9, 0x7f
	v_cmp_lt_u32_e32 vcc, s15, v10
	v_cndmask_b32_e32 v8, v8, v9, vcc
; %bb.724:
	s_or_b64 exec, exec, s[28:29]
	v_lshrrev_b32_e32 v7, 8, v7
	s_movk_i32 s15, 0x80
	v_and_or_b32 v7, v7, s15, v8
	global_store_byte v[0:1], v7, off
.LBB47_725:
	s_mov_b64 s[34:35], 0
	s_mov_b64 s[28:29], -1
.LBB47_726:
	s_andn2_b64 vcc, exec, s[34:35]
	s_cbranch_vccnz .LBB47_734
; %bb.727:
	v_mov_b32_e32 v7, 14
	v_cmp_gt_i16_sdwa s[36:37], v2, v7 src0_sel:BYTE_0 src1_sel:DWORD
	s_mov_b64 s[34:35], -1
	s_and_b64 vcc, exec, s[36:37]
	s_cbranch_vccz .LBB47_731
; %bb.728:
	v_mov_b32_e32 v7, 15
	v_cmp_eq_u16_sdwa s[34:35], v2, v7 src0_sel:BYTE_0 src1_sel:DWORD
	s_mov_b64 s[0:1], -1
	s_and_b64 vcc, exec, s[34:35]
	s_cbranch_vccz .LBB47_730
; %bb.729:
	global_store_short v[0:1], v6, off
	s_mov_b64 s[28:29], -1
	s_mov_b64 s[0:1], 0
.LBB47_730:
	s_mov_b64 s[34:35], 0
.LBB47_731:
	s_and_b64 vcc, exec, s[34:35]
	s_cbranch_vccz .LBB47_734
; %bb.732:
	v_mov_b32_e32 v7, 11
	v_cmp_eq_u16_sdwa s[34:35], v2, v7 src0_sel:BYTE_0 src1_sel:DWORD
	s_mov_b64 s[0:1], -1
	s_and_b64 vcc, exec, s[34:35]
	s_cbranch_vccz .LBB47_734
; %bb.733:
	v_and_b32_e32 v7, 0x7fff, v6
	v_cmp_ne_u16_e32 vcc, 0, v7
	v_cndmask_b32_e64 v7, 0, 1, vcc
	s_mov_b64 s[28:29], -1
	s_mov_b64 s[0:1], 0
	global_store_byte v[0:1], v7, off
.LBB47_734:
	s_mov_b64 s[34:35], 0
.LBB47_735:
	s_and_b64 vcc, exec, s[34:35]
	s_cbranch_vccz .LBB47_774
; %bb.736:
	v_mov_b32_e32 v7, 5
	v_cmp_lt_i16_sdwa s[34:35], v2, v7 src0_sel:BYTE_0 src1_sel:DWORD
	s_mov_b64 s[28:29], -1
	s_and_b64 vcc, exec, s[34:35]
	s_cbranch_vccnz .LBB47_757
; %bb.737:
	v_mov_b32_e32 v7, 8
	v_cmp_lt_i16_sdwa s[34:35], v2, v7 src0_sel:BYTE_0 src1_sel:DWORD
	s_and_b64 vcc, exec, s[34:35]
	s_cbranch_vccnz .LBB47_747
; %bb.738:
	v_mov_b32_e32 v7, 9
	v_cmp_lt_i16_sdwa s[34:35], v2, v7 src0_sel:BYTE_0 src1_sel:DWORD
	s_and_b64 vcc, exec, s[34:35]
	s_cbranch_vccnz .LBB47_744
; %bb.739:
	v_cmp_gt_i16_sdwa s[34:35], v2, v7 src0_sel:BYTE_0 src1_sel:DWORD
	s_and_b64 vcc, exec, s[34:35]
	s_cbranch_vccz .LBB47_741
; %bb.740:
	v_lshlrev_b32_e32 v7, 16, v6
	v_mov_b32_e32 v10, 0
	v_cvt_f64_f32_e32 v[8:9], v7
	v_mov_b32_e32 v11, v10
	s_mov_b64 s[28:29], 0
	global_store_dwordx4 v[0:1], v[8:11], off
.LBB47_741:
	s_andn2_b64 vcc, exec, s[28:29]
	s_cbranch_vccnz .LBB47_743
; %bb.742:
	v_lshlrev_b32_e32 v8, 16, v6
	v_mov_b32_e32 v9, 0
	global_store_dwordx2 v[0:1], v[8:9], off
.LBB47_743:
	s_mov_b64 s[28:29], 0
.LBB47_744:
	s_andn2_b64 vcc, exec, s[28:29]
	s_cbranch_vccnz .LBB47_746
; %bb.745:
	v_lshlrev_b32_e32 v7, 16, v6
	v_cvt_f16_f32_e32 v7, v7
	global_store_dword v[0:1], v7, off
.LBB47_746:
	s_mov_b64 s[28:29], 0
.LBB47_747:
	s_andn2_b64 vcc, exec, s[28:29]
	s_cbranch_vccnz .LBB47_756
; %bb.748:
	v_mov_b32_e32 v7, 6
	v_cmp_lt_i16_sdwa s[34:35], v2, v7 src0_sel:BYTE_0 src1_sel:DWORD
	s_mov_b64 s[28:29], -1
	s_and_b64 vcc, exec, s[34:35]
	s_cbranch_vccnz .LBB47_754
; %bb.749:
	v_cmp_gt_i16_sdwa s[34:35], v2, v7 src0_sel:BYTE_0 src1_sel:DWORD
	s_and_b64 vcc, exec, s[34:35]
	s_cbranch_vccz .LBB47_751
; %bb.750:
	v_lshlrev_b32_e32 v7, 16, v6
	v_cvt_f64_f32_e32 v[8:9], v7
	s_mov_b64 s[28:29], 0
	global_store_dwordx2 v[0:1], v[8:9], off
.LBB47_751:
	s_andn2_b64 vcc, exec, s[28:29]
	s_cbranch_vccnz .LBB47_753
; %bb.752:
	v_lshlrev_b32_e32 v7, 16, v6
	global_store_dword v[0:1], v7, off
.LBB47_753:
	s_mov_b64 s[28:29], 0
.LBB47_754:
	s_andn2_b64 vcc, exec, s[28:29]
	s_cbranch_vccnz .LBB47_756
; %bb.755:
	v_lshlrev_b32_e32 v7, 16, v6
	v_cvt_f16_f32_e32 v7, v7
	global_store_short v[0:1], v7, off
.LBB47_756:
	s_mov_b64 s[28:29], 0
.LBB47_757:
	s_andn2_b64 vcc, exec, s[28:29]
	s_cbranch_vccnz .LBB47_773
; %bb.758:
	v_mov_b32_e32 v7, 2
	v_cmp_lt_i16_sdwa s[34:35], v2, v7 src0_sel:BYTE_0 src1_sel:DWORD
	s_mov_b64 s[28:29], -1
	s_and_b64 vcc, exec, s[34:35]
	s_cbranch_vccnz .LBB47_768
; %bb.759:
	v_mov_b32_e32 v7, 3
	v_cmp_lt_i16_sdwa s[34:35], v2, v7 src0_sel:BYTE_0 src1_sel:DWORD
	s_and_b64 vcc, exec, s[34:35]
	s_cbranch_vccnz .LBB47_765
; %bb.760:
	v_cmp_gt_i16_sdwa s[34:35], v2, v7 src0_sel:BYTE_0 src1_sel:DWORD
	s_and_b64 vcc, exec, s[34:35]
	s_cbranch_vccz .LBB47_762
; %bb.761:
	v_lshlrev_b32_e32 v7, 16, v6
	v_trunc_f32_e32 v7, v7
	s_mov_b32 s15, 0x2f800000
	v_mul_f32_e64 v8, |v7|, s15
	v_floor_f32_e32 v8, v8
	s_mov_b32 s15, 0xcf800000
	v_cvt_u32_f32_e32 v9, v8
	v_fma_f32 v8, v8, s15, |v7|
	v_cvt_u32_f32_e32 v8, v8
	v_ashrrev_i32_e32 v7, 31, v7
	v_xor_b32_e32 v9, v9, v7
	s_mov_b64 s[28:29], 0
	v_xor_b32_e32 v8, v8, v7
	v_sub_co_u32_e32 v8, vcc, v8, v7
	v_subb_co_u32_e32 v9, vcc, v9, v7, vcc
	global_store_dwordx2 v[0:1], v[8:9], off
.LBB47_762:
	s_andn2_b64 vcc, exec, s[28:29]
	s_cbranch_vccnz .LBB47_764
; %bb.763:
	v_lshlrev_b32_e32 v7, 16, v6
	v_cvt_i32_f32_e32 v7, v7
	global_store_dword v[0:1], v7, off
.LBB47_764:
	s_mov_b64 s[28:29], 0
.LBB47_765:
	s_andn2_b64 vcc, exec, s[28:29]
	s_cbranch_vccnz .LBB47_767
; %bb.766:
	v_lshlrev_b32_e32 v7, 16, v6
	v_cvt_i32_f32_e32 v7, v7
	global_store_short v[0:1], v7, off
.LBB47_767:
	s_mov_b64 s[28:29], 0
.LBB47_768:
	s_andn2_b64 vcc, exec, s[28:29]
	s_cbranch_vccnz .LBB47_773
; %bb.769:
	v_mov_b32_e32 v7, 0
	v_cmp_gt_i16_sdwa s[34:35], v2, v7 src0_sel:BYTE_0 src1_sel:DWORD
	s_mov_b64 s[28:29], -1
	s_and_b64 vcc, exec, s[34:35]
	v_lshlrev_b32_e32 v6, 16, v6
	s_cbranch_vccz .LBB47_771
; %bb.770:
	v_cvt_i32_f32_e32 v7, v6
	s_mov_b64 s[28:29], 0
	global_store_byte v[0:1], v7, off
.LBB47_771:
	s_andn2_b64 vcc, exec, s[28:29]
	s_cbranch_vccnz .LBB47_773
; %bb.772:
	v_trunc_f32_e32 v6, v6
	s_mov_b32 s15, 0x2f800000
	v_mul_f32_e64 v7, |v6|, s15
	v_floor_f32_e32 v7, v7
	s_mov_b32 s15, 0xcf800000
	v_fma_f32 v7, v7, s15, |v6|
	v_cvt_u32_f32_e32 v7, v7
	v_ashrrev_i32_e32 v6, 31, v6
	v_xor_b32_e32 v7, v7, v6
	v_sub_u32_e32 v6, v7, v6
	global_store_byte v[0:1], v6, off
.LBB47_773:
	s_mov_b64 s[28:29], -1
.LBB47_774:
	s_andn2_b64 vcc, exec, s[28:29]
	s_cbranch_vccnz .LBB47_787
; %bb.775:
	v_add_u32_e32 v3, 0x80, v3
	s_mov_b64 s[34:35], -1
.LBB47_776:
	s_andn2_b64 s[28:29], s[6:7], exec
	s_and_b64 s[0:1], s[0:1], exec
	s_or_b64 s[28:29], s[28:29], s[0:1]
	s_andn2_b64 s[0:1], s[18:19], exec
	s_and_b64 s[26:27], s[26:27], exec
	s_or_b64 s[26:27], s[0:1], s[26:27]
	;; [unrolled: 3-line block ×3, first 2 shown]
	s_orn2_b64 s[0:1], s[34:35], exec
.LBB47_777:
	s_or_b64 exec, exec, s[30:31]
	s_mov_b64 s[34:35], 0
	s_mov_b64 s[36:37], 0
	s_mov_b64 s[38:39], 0
                                        ; implicit-def: $vgpr7
                                        ; implicit-def: $vgpr0_vgpr1
                                        ; implicit-def: $vgpr6
	s_and_saveexec_b64 s[30:31], s[0:1]
	s_cbranch_execz .LBB47_1253
; %bb.778:
	v_cmp_gt_i32_e32 vcc, s33, v3
	s_mov_b64 s[46:47], -1
	s_mov_b64 s[0:1], s[24:25]
	s_mov_b64 s[38:39], s[26:27]
	;; [unrolled: 1-line block ×3, first 2 shown]
	s_and_saveexec_b64 s[34:35], vcc
	s_cbranch_execz .LBB47_1168
; %bb.779:
	v_mul_lo_u32 v0, v3, s13
	v_ashrrev_i32_e32 v1, 31, v0
	s_waitcnt vmcnt(0)
	v_mov_b32_e32 v6, s11
	v_add_co_u32_e32 v0, vcc, s10, v0
	v_addc_co_u32_e32 v1, vcc, v6, v1, vcc
	v_mov_b32_e32 v6, 11
	v_cmp_lt_i16_sdwa s[0:1], v5, v6 src0_sel:BYTE_0 src1_sel:DWORD
	s_and_b64 vcc, exec, s[0:1]
	s_cbranch_vccnz .LBB47_786
; %bb.780:
	v_mov_b32_e32 v6, 25
	v_cmp_gt_i16_sdwa s[0:1], v5, v6 src0_sel:BYTE_0 src1_sel:DWORD
	s_and_b64 vcc, exec, s[0:1]
	s_cbranch_vccz .LBB47_788
; %bb.781:
	v_mov_b32_e32 v6, 28
	v_cmp_gt_i16_sdwa s[0:1], v5, v6 src0_sel:BYTE_0 src1_sel:DWORD
	s_and_b64 vcc, exec, s[0:1]
	s_cbranch_vccz .LBB47_789
	;; [unrolled: 5-line block ×4, first 2 shown]
; %bb.784:
	v_mov_b32_e32 v6, 46
	v_cmp_eq_u16_sdwa s[0:1], v5, v6 src0_sel:BYTE_0 src1_sel:DWORD
	s_mov_b64 s[38:39], 0
	s_and_b64 vcc, exec, s[0:1]
	s_cbranch_vccz .LBB47_794
; %bb.785:
	global_load_dword v6, v[0:1], off
	s_mov_b64 s[0:1], -1
	s_branch .LBB47_795
.LBB47_786:
	s_mov_b64 s[38:39], -1
	s_mov_b64 s[0:1], 0
                                        ; implicit-def: $vgpr6
	s_mov_b64 s[36:37], s[24:25]
	s_branch .LBB47_860
.LBB47_787:
	s_mov_b64 s[34:35], 0
	s_branch .LBB47_532
.LBB47_788:
	s_mov_b64 s[38:39], -1
	s_mov_b64 s[0:1], 0
	s_mov_b64 s[36:37], s[24:25]
                                        ; implicit-def: $vgpr6
	s_branch .LBB47_824
.LBB47_789:
	s_mov_b64 s[38:39], -1
	s_mov_b64 s[0:1], 0
	s_mov_b64 s[36:37], s[24:25]
                                        ; implicit-def: $vgpr6
	s_branch .LBB47_805
.LBB47_790:
	s_mov_b64 s[38:39], -1
	s_mov_b64 s[0:1], 0
	s_mov_b64 s[36:37], s[24:25]
                                        ; implicit-def: $vgpr6
	s_branch .LBB47_800
.LBB47_791:
	s_mov_b64 s[38:39], -1
	s_mov_b64 s[0:1], 0
	s_mov_b64 s[36:37], s[24:25]
                                        ; implicit-def: $vgpr6
	s_branch .LBB47_795
.LBB47_792:
	s_or_saveexec_b64 s[36:37], s[36:37]
                                        ; implicit-def: $sgpr15
	s_xor_b64 exec, exec, s[36:37]
	s_cbranch_execz .LBB47_687
.LBB47_793:
	s_mov_b32 s15, 0x46000000
	v_add_f32_e64 v8, |v9|, s15
	v_and_b32_e32 v8, 0xff, v8
	v_cmp_ne_u32_e32 vcc, 0, v8
	s_andn2_b64 s[34:35], s[34:35], exec
	s_and_b64 s[38:39], vcc, exec
	s_mov_b32 s15, 0
	s_or_b64 s[34:35], s[34:35], s[38:39]
	s_or_b64 exec, exec, s[36:37]
	v_mov_b32_e32 v10, s15
	s_and_saveexec_b64 s[36:37], s[34:35]
	s_cbranch_execnz .LBB47_688
	s_branch .LBB47_689
.LBB47_794:
	s_mov_b64 s[36:37], -1
                                        ; implicit-def: $vgpr6
	s_mov_b64 s[0:1], 0
.LBB47_795:
	s_and_b64 vcc, exec, s[38:39]
	s_cbranch_vccz .LBB47_799
; %bb.796:
	s_waitcnt vmcnt(0)
	v_mov_b32_e32 v6, 44
	v_cmp_eq_u16_sdwa s[36:37], v5, v6 src0_sel:BYTE_0 src1_sel:DWORD
	s_and_b64 vcc, exec, s[36:37]
	s_cbranch_vccz .LBB47_798
; %bb.797:
	global_load_ubyte v6, v[0:1], off
	s_movk_i32 s15, 0xff
	v_mov_b32_e32 v7, 0x7f800001
	v_mov_b32_e32 v8, 0x400000
	;; [unrolled: 1-line block ×3, first 2 shown]
	s_mov_b64 s[0:1], -1
	s_mov_b64 s[36:37], 0
	s_waitcnt vmcnt(0)
	v_lshlrev_b32_e32 v10, 23, v6
	v_cmp_ne_u32_e32 vcc, s15, v6
	v_cndmask_b32_e32 v7, v7, v10, vcc
	v_cmp_ne_u32_e32 vcc, 0, v6
	v_cndmask_b32_e32 v6, v8, v7, vcc
	v_add_u32_e32 v7, 0x7fff, v6
	v_lshrrev_b32_e32 v7, 16, v7
	v_cmp_o_f32_e32 vcc, v6, v6
	v_cndmask_b32_e32 v6, v9, v7, vcc
	s_branch .LBB47_799
.LBB47_798:
	s_mov_b64 s[36:37], -1
                                        ; implicit-def: $vgpr6
.LBB47_799:
	s_mov_b64 s[38:39], 0
.LBB47_800:
	s_and_b64 vcc, exec, s[38:39]
	s_cbranch_vccz .LBB47_804
; %bb.801:
	s_waitcnt vmcnt(0)
	v_mov_b32_e32 v6, 29
	v_cmp_eq_u16_sdwa s[36:37], v5, v6 src0_sel:BYTE_0 src1_sel:DWORD
	s_and_b64 vcc, exec, s[36:37]
	s_cbranch_vccz .LBB47_803
; %bb.802:
	global_load_dwordx2 v[6:7], v[0:1], off
	s_movk_i32 s15, 0x7fff
	s_mov_b64 s[0:1], -1
	s_mov_b64 s[36:37], 0
	s_mov_b64 s[38:39], 0
	s_waitcnt vmcnt(0)
	v_ffbh_u32_e32 v8, v7
	v_min_u32_e32 v8, 32, v8
	v_lshlrev_b64 v[6:7], v8, v[6:7]
	v_min_u32_e32 v6, 1, v6
	v_or_b32_e32 v6, v7, v6
	v_cvt_f32_u32_e32 v6, v6
	v_sub_u32_e32 v7, 32, v8
	v_ldexp_f32 v6, v6, v7
	v_bfe_u32 v7, v6, 16, 1
	v_add3_u32 v6, v6, v7, s15
	v_lshrrev_b32_e32 v6, 16, v6
	s_branch .LBB47_805
.LBB47_803:
	s_mov_b64 s[36:37], -1
                                        ; implicit-def: $vgpr6
.LBB47_804:
	s_mov_b64 s[38:39], 0
.LBB47_805:
	s_and_b64 vcc, exec, s[38:39]
	s_cbranch_vccz .LBB47_823
; %bb.806:
	s_waitcnt vmcnt(0)
	v_mov_b32_e32 v6, 27
	v_cmp_lt_i16_sdwa s[0:1], v5, v6 src0_sel:BYTE_0 src1_sel:DWORD
	s_and_b64 vcc, exec, s[0:1]
	s_cbranch_vccnz .LBB47_809
; %bb.807:
	v_cmp_gt_i16_sdwa s[0:1], v5, v6 src0_sel:BYTE_0 src1_sel:DWORD
	s_and_b64 vcc, exec, s[0:1]
	s_cbranch_vccz .LBB47_810
; %bb.808:
	global_load_dword v6, v[0:1], off
	s_movk_i32 s0, 0x7fff
	s_waitcnt vmcnt(0)
	v_cvt_f32_u32_e32 v6, v6
	v_bfe_u32 v7, v6, 16, 1
	v_add3_u32 v6, v6, v7, s0
	v_lshrrev_b32_e32 v6, 16, v6
	s_mov_b64 s[0:1], 0
	s_branch .LBB47_811
.LBB47_809:
	s_mov_b64 s[0:1], -1
                                        ; implicit-def: $vgpr6
	s_branch .LBB47_814
.LBB47_810:
	s_mov_b64 s[0:1], -1
                                        ; implicit-def: $vgpr6
.LBB47_811:
	s_andn2_b64 vcc, exec, s[0:1]
	s_cbranch_vccnz .LBB47_813
; %bb.812:
	global_load_ushort v6, v[0:1], off
	s_movk_i32 s0, 0x7fff
	s_waitcnt vmcnt(0)
	v_cvt_f32_u32_e32 v6, v6
	v_bfe_u32 v7, v6, 16, 1
	v_add3_u32 v6, v6, v7, s0
	v_lshrrev_b32_e32 v6, 16, v6
.LBB47_813:
	s_mov_b64 s[0:1], 0
.LBB47_814:
	s_andn2_b64 vcc, exec, s[0:1]
	s_cbranch_vccnz .LBB47_822
; %bb.815:
	global_load_ubyte v6, v[0:1], off
	s_movk_i32 s0, 0x7f
                                        ; implicit-def: $sgpr15
	s_waitcnt vmcnt(0)
	v_cmp_lt_i16_e32 vcc, s0, v6
	s_mov_b64 s[0:1], 0
	s_and_saveexec_b64 s[38:39], vcc
	s_xor_b64 s[38:39], exec, s[38:39]
	s_cbranch_execz .LBB47_836
; %bb.816:
	s_movk_i32 s0, 0x80
	v_cmp_eq_u16_e32 vcc, s0, v6
	s_mov_b64 s[0:1], -1
                                        ; implicit-def: $sgpr15
	s_and_saveexec_b64 s[40:41], vcc
; %bb.817:
	s_mov_b32 s15, 0x7f800001
	s_xor_b64 s[0:1], exec, -1
; %bb.818:
	s_or_b64 exec, exec, s[40:41]
	s_and_b64 s[0:1], s[0:1], exec
	s_or_saveexec_b64 s[38:39], s[38:39]
	v_mov_b32_e32 v7, s15
	s_xor_b64 exec, exec, s[38:39]
	s_cbranch_execnz .LBB47_837
.LBB47_819:
	s_or_b64 exec, exec, s[38:39]
	s_and_saveexec_b64 s[38:39], s[0:1]
	s_cbranch_execz .LBB47_821
.LBB47_820:
	v_lshlrev_b32_e32 v7, 24, v6
	v_and_b32_e32 v6, 0xffff, v6
	v_and_b32_e32 v8, 7, v6
	v_ffbh_u32_e32 v10, v8
	v_min_u32_e32 v10, 32, v10
	v_subrev_u32_e32 v11, 28, v10
	v_bfe_u32 v9, v6, 3, 4
	v_lshlrev_b32_e32 v6, v11, v6
	v_sub_u32_e32 v10, 29, v10
	v_and_b32_e32 v6, 7, v6
	v_cmp_eq_u32_e32 vcc, 0, v9
	v_cndmask_b32_e32 v9, v9, v10, vcc
	v_cndmask_b32_e32 v6, v8, v6, vcc
	v_mov_b32_e32 v8, 0x3b800000
	v_lshlrev_b32_e32 v6, 20, v6
	v_and_b32_e32 v7, 0x80000000, v7
	v_lshl_add_u32 v8, v9, 23, v8
	v_or3_b32 v7, v7, v8, v6
.LBB47_821:
	s_or_b64 exec, exec, s[38:39]
	v_bfe_u32 v6, v7, 16, 1
	s_movk_i32 s0, 0x7fff
	v_add3_u32 v6, v7, v6, s0
	v_lshrrev_b32_e32 v6, 16, v6
	v_mov_b32_e32 v8, 0x7fc0
	v_cmp_o_f32_e32 vcc, v7, v7
	v_cndmask_b32_e32 v6, v8, v6, vcc
.LBB47_822:
	s_mov_b64 s[0:1], -1
.LBB47_823:
	s_mov_b64 s[38:39], 0
.LBB47_824:
	s_and_b64 vcc, exec, s[38:39]
	s_cbranch_vccz .LBB47_859
; %bb.825:
	s_waitcnt vmcnt(0)
	v_mov_b32_e32 v6, 22
	v_cmp_gt_i16_sdwa s[38:39], v5, v6 src0_sel:BYTE_0 src1_sel:DWORD
	s_and_b64 vcc, exec, s[38:39]
	s_cbranch_vccz .LBB47_835
; %bb.826:
	v_mov_b32_e32 v6, 24
	v_cmp_lt_i16_sdwa s[0:1], v5, v6 src0_sel:BYTE_0 src1_sel:DWORD
	s_and_b64 vcc, exec, s[0:1]
	s_cbranch_vccnz .LBB47_838
; %bb.827:
	v_cmp_gt_i16_sdwa s[0:1], v5, v6 src0_sel:BYTE_0 src1_sel:DWORD
	s_and_b64 vcc, exec, s[0:1]
	s_cbranch_vccz .LBB47_839
; %bb.828:
	global_load_ubyte v6, v[0:1], off
	s_movk_i32 s0, 0x7f
                                        ; implicit-def: $sgpr15
	s_waitcnt vmcnt(0)
	v_cmp_lt_i16_e32 vcc, s0, v6
	s_mov_b64 s[0:1], 0
	s_and_saveexec_b64 s[38:39], vcc
	s_xor_b64 s[38:39], exec, s[38:39]
	s_cbranch_execz .LBB47_851
; %bb.829:
	s_movk_i32 s0, 0x80
	v_cmp_eq_u16_e32 vcc, s0, v6
	s_mov_b64 s[0:1], -1
                                        ; implicit-def: $sgpr15
	s_and_saveexec_b64 s[40:41], vcc
; %bb.830:
	s_mov_b32 s15, 0x7f800001
	s_xor_b64 s[0:1], exec, -1
; %bb.831:
	s_or_b64 exec, exec, s[40:41]
	s_and_b64 s[0:1], s[0:1], exec
	s_or_saveexec_b64 s[38:39], s[38:39]
	v_mov_b32_e32 v7, s15
	s_xor_b64 exec, exec, s[38:39]
	s_cbranch_execnz .LBB47_852
.LBB47_832:
	s_or_b64 exec, exec, s[38:39]
	s_and_saveexec_b64 s[38:39], s[0:1]
	s_cbranch_execz .LBB47_834
.LBB47_833:
	v_lshlrev_b32_e32 v7, 24, v6
	v_and_b32_e32 v6, 0xffff, v6
	v_and_b32_e32 v8, 3, v6
	v_ffbh_u32_e32 v10, v8
	v_min_u32_e32 v10, 32, v10
	v_subrev_u32_e32 v11, 29, v10
	v_bfe_u32 v9, v6, 2, 5
	v_lshlrev_b32_e32 v6, v11, v6
	v_sub_u32_e32 v10, 30, v10
	v_and_b32_e32 v6, 3, v6
	v_cmp_eq_u32_e32 vcc, 0, v9
	v_cndmask_b32_e32 v9, v9, v10, vcc
	v_cndmask_b32_e32 v6, v8, v6, vcc
	v_mov_b32_e32 v8, 0x37800000
	v_lshlrev_b32_e32 v6, 21, v6
	v_and_b32_e32 v7, 0x80000000, v7
	v_lshl_add_u32 v8, v9, 23, v8
	v_or3_b32 v7, v7, v8, v6
.LBB47_834:
	s_or_b64 exec, exec, s[38:39]
	v_bfe_u32 v6, v7, 16, 1
	s_movk_i32 s0, 0x7fff
	v_add3_u32 v6, v7, v6, s0
	v_lshrrev_b32_e32 v6, 16, v6
	v_mov_b32_e32 v8, 0x7fc0
	v_cmp_o_f32_e32 vcc, v7, v7
	v_cndmask_b32_e32 v6, v8, v6, vcc
	s_mov_b64 s[0:1], 0
	s_branch .LBB47_840
.LBB47_835:
	s_mov_b64 s[38:39], -1
                                        ; implicit-def: $vgpr6
	s_branch .LBB47_846
.LBB47_836:
	s_or_saveexec_b64 s[38:39], s[38:39]
	v_mov_b32_e32 v7, s15
	s_xor_b64 exec, exec, s[38:39]
	s_cbranch_execz .LBB47_819
.LBB47_837:
	v_cmp_ne_u16_e32 vcc, 0, v6
	s_andn2_b64 s[0:1], s[0:1], exec
	s_and_b64 s[40:41], vcc, exec
	v_mov_b32_e32 v7, 0
	s_or_b64 s[0:1], s[0:1], s[40:41]
	s_or_b64 exec, exec, s[38:39]
	s_and_saveexec_b64 s[38:39], s[0:1]
	s_cbranch_execnz .LBB47_820
	s_branch .LBB47_821
.LBB47_838:
	s_mov_b64 s[0:1], -1
                                        ; implicit-def: $vgpr6
	s_branch .LBB47_843
.LBB47_839:
	s_mov_b64 s[0:1], -1
                                        ; implicit-def: $vgpr6
.LBB47_840:
	s_and_b64 vcc, exec, s[0:1]
	s_cbranch_vccz .LBB47_842
; %bb.841:
	global_load_ubyte v6, v[0:1], off
	s_mov_b32 s0, 0x7f800000
	s_brev_b32 s1, 1
	s_movk_i32 s15, 0x7fff
	v_mov_b32_e32 v7, 0x7fc0
	s_waitcnt vmcnt(0)
	v_lshlrev_b32_e32 v6, 24, v6
	v_and_b32_e32 v8, 0x7f000000, v6
	v_ffbh_u32_e32 v9, v8
	v_min_u32_e32 v9, 32, v9
	v_sub_u32_e64 v9, v9, 4 clamp
	v_lshlrev_b32_e32 v11, v9, v8
	v_lshlrev_b32_e32 v9, 23, v9
	v_lshrrev_b32_e32 v11, 4, v11
	v_add_u32_e32 v10, 0x1000000, v8
	v_sub_u32_e32 v9, v11, v9
	v_ashrrev_i32_e32 v10, 8, v10
	v_add_u32_e32 v9, 0x3c000000, v9
	v_and_or_b32 v9, v10, s0, v9
	v_cmp_ne_u32_e32 vcc, 0, v8
	v_cndmask_b32_e32 v8, 0, v9, vcc
	v_and_or_b32 v6, v6, s1, v8
	v_bfe_u32 v8, v8, 16, 1
	v_add3_u32 v8, v6, v8, s15
	v_lshrrev_b32_e32 v8, 16, v8
	v_cmp_o_f32_e32 vcc, v6, v6
	v_cndmask_b32_e32 v6, v7, v8, vcc
.LBB47_842:
	s_mov_b64 s[0:1], 0
.LBB47_843:
	s_andn2_b64 vcc, exec, s[0:1]
	s_cbranch_vccnz .LBB47_845
; %bb.844:
	global_load_ubyte v6, v[0:1], off
	s_movk_i32 s0, 0x7f00
	s_brev_b32 s1, 16
	s_brev_b32 s15, 1
	s_movk_i32 s38, 0x7fff
	v_mov_b32_e32 v7, 0x7fc0
	s_waitcnt vmcnt(0)
	v_lshlrev_b16_e32 v8, 8, v6
	v_lshlrev_b32_e32 v6, 25, v6
	v_lshrrev_b32_e32 v9, 4, v6
	v_and_or_b32 v10, v8, s0, 0.5
	v_or_b32_e32 v9, 0x70000000, v9
	v_add_f32_e32 v10, -0.5, v10
	v_mul_f32_e32 v9, 0x7800000, v9
	v_cmp_gt_u32_e32 vcc, s1, v6
	v_bfe_i32 v8, v8, 0, 16
	v_cndmask_b32_e32 v6, v9, v10, vcc
	v_and_or_b32 v8, v8, s15, v6
	v_bfe_u32 v6, v6, 16, 1
	v_add3_u32 v6, v8, v6, s38
	v_lshrrev_b32_e32 v6, 16, v6
	v_cmp_o_f32_e32 vcc, v8, v8
	v_cndmask_b32_e32 v6, v7, v6, vcc
.LBB47_845:
	s_mov_b64 s[38:39], 0
	s_mov_b64 s[0:1], -1
.LBB47_846:
	s_andn2_b64 vcc, exec, s[38:39]
	s_cbranch_vccnz .LBB47_859
; %bb.847:
	v_mov_b32_e32 v6, 14
	v_cmp_gt_i16_sdwa s[38:39], v5, v6 src0_sel:BYTE_0 src1_sel:DWORD
	s_and_b64 vcc, exec, s[38:39]
	s_cbranch_vccz .LBB47_850
; %bb.848:
	v_mov_b32_e32 v6, 15
	v_cmp_eq_u16_sdwa s[36:37], v5, v6 src0_sel:BYTE_0 src1_sel:DWORD
	s_and_b64 vcc, exec, s[36:37]
	s_cbranch_vccz .LBB47_853
; %bb.849:
	global_load_ushort v6, v[0:1], off
	s_mov_b64 s[0:1], -1
	s_mov_b64 s[36:37], 0
	s_branch .LBB47_854
.LBB47_850:
	s_mov_b64 s[38:39], -1
                                        ; implicit-def: $vgpr6
	s_branch .LBB47_855
.LBB47_851:
	s_or_saveexec_b64 s[38:39], s[38:39]
	v_mov_b32_e32 v7, s15
	s_xor_b64 exec, exec, s[38:39]
	s_cbranch_execz .LBB47_832
.LBB47_852:
	v_cmp_ne_u16_e32 vcc, 0, v6
	s_andn2_b64 s[0:1], s[0:1], exec
	s_and_b64 s[40:41], vcc, exec
	v_mov_b32_e32 v7, 0
	s_or_b64 s[0:1], s[0:1], s[40:41]
	s_or_b64 exec, exec, s[38:39]
	s_and_saveexec_b64 s[38:39], s[0:1]
	s_cbranch_execnz .LBB47_833
	s_branch .LBB47_834
.LBB47_853:
	s_mov_b64 s[36:37], -1
                                        ; implicit-def: $vgpr6
.LBB47_854:
	s_mov_b64 s[38:39], 0
.LBB47_855:
	s_and_b64 vcc, exec, s[38:39]
	s_cbranch_vccz .LBB47_859
; %bb.856:
	s_waitcnt vmcnt(0)
	v_mov_b32_e32 v6, 11
	v_cmp_eq_u16_sdwa s[36:37], v5, v6 src0_sel:BYTE_0 src1_sel:DWORD
	s_and_b64 vcc, exec, s[36:37]
	s_cbranch_vccz .LBB47_858
; %bb.857:
	global_load_ubyte v6, v[0:1], off
	s_mov_b64 s[0:1], -1
	s_mov_b64 s[36:37], 0
	s_waitcnt vmcnt(0)
	v_cmp_ne_u16_e32 vcc, 0, v6
	v_cndmask_b32_e64 v6, 0, 1.0, vcc
	v_lshrrev_b32_e32 v6, 16, v6
	s_branch .LBB47_859
.LBB47_858:
	s_mov_b64 s[36:37], -1
                                        ; implicit-def: $vgpr6
.LBB47_859:
	s_mov_b64 s[38:39], 0
.LBB47_860:
	s_and_b64 vcc, exec, s[38:39]
	s_cbranch_vccz .LBB47_909
; %bb.861:
	s_waitcnt vmcnt(0)
	v_mov_b32_e32 v6, 5
	v_cmp_lt_i16_sdwa s[0:1], v5, v6 src0_sel:BYTE_0 src1_sel:DWORD
	s_and_b64 vcc, exec, s[0:1]
	s_cbranch_vccnz .LBB47_866
; %bb.862:
	v_mov_b32_e32 v6, 8
	v_cmp_lt_i16_sdwa s[0:1], v5, v6 src0_sel:BYTE_0 src1_sel:DWORD
	s_and_b64 vcc, exec, s[0:1]
	s_cbranch_vccnz .LBB47_867
; %bb.863:
	;; [unrolled: 5-line block ×3, first 2 shown]
	v_cmp_gt_i16_sdwa s[0:1], v5, v6 src0_sel:BYTE_0 src1_sel:DWORD
	s_and_b64 vcc, exec, s[0:1]
	s_cbranch_vccz .LBB47_869
; %bb.865:
	global_load_dwordx2 v[6:7], v[0:1], off
	s_movk_i32 s0, 0x7fff
	v_mov_b32_e32 v8, 0x7fc0
	s_waitcnt vmcnt(0)
	v_cvt_f32_f64_e32 v6, v[6:7]
	v_bfe_u32 v7, v6, 16, 1
	v_add3_u32 v7, v6, v7, s0
	v_lshrrev_b32_e32 v7, 16, v7
	v_cmp_o_f32_e32 vcc, v6, v6
	v_cndmask_b32_e32 v6, v8, v7, vcc
	s_mov_b64 s[0:1], 0
	s_branch .LBB47_870
.LBB47_866:
	s_mov_b64 s[0:1], -1
                                        ; implicit-def: $vgpr6
	s_branch .LBB47_888
.LBB47_867:
	s_mov_b64 s[0:1], -1
                                        ; implicit-def: $vgpr6
	s_branch .LBB47_876
.LBB47_868:
	s_mov_b64 s[0:1], -1
                                        ; implicit-def: $vgpr6
	s_branch .LBB47_873
.LBB47_869:
	s_mov_b64 s[0:1], -1
                                        ; implicit-def: $vgpr6
.LBB47_870:
	s_andn2_b64 vcc, exec, s[0:1]
	s_cbranch_vccnz .LBB47_872
; %bb.871:
	global_load_dword v6, v[0:1], off
	s_movk_i32 s0, 0x7fff
	v_mov_b32_e32 v7, 0x7fc0
	s_waitcnt vmcnt(0)
	v_bfe_u32 v8, v6, 16, 1
	v_add3_u32 v8, v6, v8, s0
	v_lshrrev_b32_e32 v8, 16, v8
	v_cmp_o_f32_e32 vcc, v6, v6
	v_cndmask_b32_e32 v6, v7, v8, vcc
.LBB47_872:
	s_mov_b64 s[0:1], 0
.LBB47_873:
	s_andn2_b64 vcc, exec, s[0:1]
	s_cbranch_vccnz .LBB47_875
; %bb.874:
	global_load_dword v6, v[0:1], off
	s_movk_i32 s0, 0x7fff
	v_mov_b32_e32 v8, 0x7fc0
	s_waitcnt vmcnt(0)
	v_cvt_f32_f16_e32 v7, v6
	v_cmp_o_f16_e32 vcc, v6, v6
	v_bfe_u32 v9, v7, 16, 1
	v_add3_u32 v7, v7, v9, s0
	v_lshrrev_b32_e32 v7, 16, v7
	v_cndmask_b32_e32 v6, v8, v7, vcc
.LBB47_875:
	s_mov_b64 s[0:1], 0
.LBB47_876:
	s_andn2_b64 vcc, exec, s[0:1]
	s_cbranch_vccnz .LBB47_887
; %bb.877:
	v_mov_b32_e32 v6, 6
	v_cmp_lt_i16_sdwa s[0:1], v5, v6 src0_sel:BYTE_0 src1_sel:DWORD
	s_and_b64 vcc, exec, s[0:1]
	s_cbranch_vccnz .LBB47_880
; %bb.878:
	v_cmp_gt_i16_sdwa s[0:1], v5, v6 src0_sel:BYTE_0 src1_sel:DWORD
	s_and_b64 vcc, exec, s[0:1]
	s_cbranch_vccz .LBB47_881
; %bb.879:
	global_load_dwordx2 v[6:7], v[0:1], off
	s_movk_i32 s0, 0x7fff
	v_mov_b32_e32 v8, 0x7fc0
	s_waitcnt vmcnt(0)
	v_cvt_f32_f64_e32 v6, v[6:7]
	v_bfe_u32 v7, v6, 16, 1
	v_add3_u32 v7, v6, v7, s0
	v_lshrrev_b32_e32 v7, 16, v7
	v_cmp_o_f32_e32 vcc, v6, v6
	v_cndmask_b32_e32 v6, v8, v7, vcc
	s_mov_b64 s[0:1], 0
	s_branch .LBB47_882
.LBB47_880:
	s_mov_b64 s[0:1], -1
                                        ; implicit-def: $vgpr6
	s_branch .LBB47_885
.LBB47_881:
	s_mov_b64 s[0:1], -1
                                        ; implicit-def: $vgpr6
.LBB47_882:
	s_andn2_b64 vcc, exec, s[0:1]
	s_cbranch_vccnz .LBB47_884
; %bb.883:
	global_load_dword v6, v[0:1], off
	s_movk_i32 s0, 0x7fff
	v_mov_b32_e32 v7, 0x7fc0
	s_waitcnt vmcnt(0)
	v_bfe_u32 v8, v6, 16, 1
	v_add3_u32 v8, v6, v8, s0
	v_lshrrev_b32_e32 v8, 16, v8
	v_cmp_o_f32_e32 vcc, v6, v6
	v_cndmask_b32_e32 v6, v7, v8, vcc
.LBB47_884:
	s_mov_b64 s[0:1], 0
.LBB47_885:
	s_andn2_b64 vcc, exec, s[0:1]
	s_cbranch_vccnz .LBB47_887
; %bb.886:
	global_load_ushort v6, v[0:1], off
	s_movk_i32 s0, 0x7fff
	v_mov_b32_e32 v8, 0x7fc0
	s_waitcnt vmcnt(0)
	v_cvt_f32_f16_e32 v7, v6
	v_cmp_o_f16_e32 vcc, v6, v6
	v_bfe_u32 v9, v7, 16, 1
	v_add3_u32 v7, v7, v9, s0
	v_lshrrev_b32_e32 v7, 16, v7
	v_cndmask_b32_e32 v6, v8, v7, vcc
.LBB47_887:
	s_mov_b64 s[0:1], 0
.LBB47_888:
	s_andn2_b64 vcc, exec, s[0:1]
	s_cbranch_vccnz .LBB47_908
; %bb.889:
	v_mov_b32_e32 v6, 2
	v_cmp_lt_i16_sdwa s[0:1], v5, v6 src0_sel:BYTE_0 src1_sel:DWORD
	s_and_b64 vcc, exec, s[0:1]
	s_cbranch_vccnz .LBB47_893
; %bb.890:
	v_mov_b32_e32 v6, 3
	v_cmp_lt_i16_sdwa s[0:1], v5, v6 src0_sel:BYTE_0 src1_sel:DWORD
	s_and_b64 vcc, exec, s[0:1]
	s_cbranch_vccnz .LBB47_894
; %bb.891:
	v_cmp_gt_i16_sdwa s[0:1], v5, v6 src0_sel:BYTE_0 src1_sel:DWORD
	s_and_b64 vcc, exec, s[0:1]
	s_cbranch_vccz .LBB47_895
; %bb.892:
	global_load_dwordx2 v[6:7], v[0:1], off
	s_movk_i32 s0, 0x7fff
	s_waitcnt vmcnt(0)
	v_xor_b32_e32 v9, v6, v7
	v_ffbh_i32_e32 v8, v7
	v_ashrrev_i32_e32 v9, 31, v9
	v_add_u32_e32 v8, -1, v8
	v_add_u32_e32 v9, 32, v9
	v_min_u32_e32 v8, v8, v9
	v_lshlrev_b64 v[6:7], v8, v[6:7]
	v_min_u32_e32 v6, 1, v6
	v_or_b32_e32 v6, v7, v6
	v_cvt_f32_i32_e32 v6, v6
	v_sub_u32_e32 v7, 32, v8
	v_ldexp_f32 v6, v6, v7
	v_bfe_u32 v7, v6, 16, 1
	v_add3_u32 v6, v6, v7, s0
	v_lshrrev_b32_e32 v6, 16, v6
	s_mov_b64 s[0:1], 0
	s_branch .LBB47_896
.LBB47_893:
	s_mov_b64 s[0:1], -1
                                        ; implicit-def: $vgpr6
	s_branch .LBB47_902
.LBB47_894:
	s_mov_b64 s[0:1], -1
                                        ; implicit-def: $vgpr6
	s_branch .LBB47_899
.LBB47_895:
	s_mov_b64 s[0:1], -1
                                        ; implicit-def: $vgpr6
.LBB47_896:
	s_andn2_b64 vcc, exec, s[0:1]
	s_cbranch_vccnz .LBB47_898
; %bb.897:
	global_load_dword v6, v[0:1], off
	s_movk_i32 s0, 0x7fff
	s_waitcnt vmcnt(0)
	v_cvt_f32_i32_e32 v6, v6
	v_bfe_u32 v7, v6, 16, 1
	v_add3_u32 v6, v6, v7, s0
	v_lshrrev_b32_e32 v6, 16, v6
.LBB47_898:
	s_mov_b64 s[0:1], 0
.LBB47_899:
	s_andn2_b64 vcc, exec, s[0:1]
	s_cbranch_vccnz .LBB47_901
; %bb.900:
	global_load_sshort v6, v[0:1], off
	s_movk_i32 s0, 0x7fff
	s_waitcnt vmcnt(0)
	v_cvt_f32_i32_e32 v6, v6
	v_bfe_u32 v7, v6, 16, 1
	v_add3_u32 v6, v6, v7, s0
	v_lshrrev_b32_e32 v6, 16, v6
.LBB47_901:
	s_mov_b64 s[0:1], 0
.LBB47_902:
	s_andn2_b64 vcc, exec, s[0:1]
	s_cbranch_vccnz .LBB47_908
; %bb.903:
	v_mov_b32_e32 v6, 0
	v_cmp_gt_i16_sdwa s[0:1], v5, v6 src0_sel:BYTE_0 src1_sel:DWORD
	s_and_b64 vcc, exec, s[0:1]
	s_cbranch_vccz .LBB47_905
; %bb.904:
	global_load_sbyte v6, v[0:1], off
	s_movk_i32 s0, 0x7fff
	s_waitcnt vmcnt(0)
	v_cvt_f32_i32_e32 v6, v6
	v_bfe_u32 v7, v6, 16, 1
	v_add3_u32 v6, v6, v7, s0
	v_lshrrev_b32_e32 v6, 16, v6
	s_mov_b64 s[0:1], 0
	s_branch .LBB47_906
.LBB47_905:
	s_mov_b64 s[0:1], -1
                                        ; implicit-def: $vgpr6
.LBB47_906:
	s_andn2_b64 vcc, exec, s[0:1]
	s_cbranch_vccnz .LBB47_908
; %bb.907:
	global_load_ubyte v0, v[0:1], off
	s_movk_i32 s0, 0x7fff
	s_waitcnt vmcnt(0)
	v_cvt_f32_ubyte0_e32 v0, v0
	v_bfe_u32 v1, v0, 16, 1
	v_add3_u32 v0, v0, v1, s0
	v_lshrrev_b32_e32 v6, 16, v0
.LBB47_908:
	s_mov_b64 s[0:1], -1
.LBB47_909:
	s_andn2_b64 vcc, exec, s[0:1]
	s_cbranch_vccnz .LBB47_917
; %bb.910:
	v_mul_lo_u32 v0, v3, s14
	v_ashrrev_i32_e32 v1, 31, v0
	v_mov_b32_e32 v7, s3
	v_add_co_u32_e32 v0, vcc, s2, v0
	v_addc_co_u32_e32 v1, vcc, v7, v1, vcc
	v_mov_b32_e32 v7, 11
	v_cmp_lt_i16_sdwa s[0:1], v4, v7 src0_sel:BYTE_0 src1_sel:DWORD
	s_and_b64 vcc, exec, s[0:1]
	s_cbranch_vccnz .LBB47_919
; %bb.911:
	v_mov_b32_e32 v7, 25
	v_cmp_gt_i16_sdwa s[0:1], v4, v7 src0_sel:BYTE_0 src1_sel:DWORD
	s_and_b64 vcc, exec, s[0:1]
	s_cbranch_vccz .LBB47_920
; %bb.912:
	v_mov_b32_e32 v7, 28
	v_cmp_gt_i16_sdwa s[0:1], v4, v7 src0_sel:BYTE_0 src1_sel:DWORD
	s_and_b64 vcc, exec, s[0:1]
	s_cbranch_vccz .LBB47_921
	;; [unrolled: 5-line block ×4, first 2 shown]
; %bb.915:
	v_mov_b32_e32 v7, 46
	v_cmp_eq_u16_sdwa s[0:1], v4, v7 src0_sel:BYTE_0 src1_sel:DWORD
	s_mov_b64 s[40:41], 0
	s_and_b64 vcc, exec, s[0:1]
	s_cbranch_vccz .LBB47_926
; %bb.916:
	global_load_dword v7, v[0:1], off
	s_mov_b64 s[0:1], -1
	s_mov_b64 s[38:39], 0
	s_branch .LBB47_927
.LBB47_917:
	s_mov_b64 s[42:43], 0
	s_mov_b64 s[0:1], s[28:29]
	;; [unrolled: 1-line block ×3, first 2 shown]
.LBB47_918:
                                        ; implicit-def: $vgpr3
	s_branch .LBB47_1167
.LBB47_919:
	s_mov_b64 s[40:41], -1
	s_mov_b64 s[0:1], 0
                                        ; implicit-def: $vgpr7
	s_mov_b64 s[38:39], s[26:27]
	s_branch .LBB47_992
.LBB47_920:
	s_mov_b64 s[40:41], -1
	s_mov_b64 s[0:1], 0
	s_mov_b64 s[38:39], s[26:27]
                                        ; implicit-def: $vgpr7
	s_branch .LBB47_956
.LBB47_921:
	s_mov_b64 s[40:41], -1
	s_mov_b64 s[0:1], 0
	s_mov_b64 s[38:39], s[26:27]
                                        ; implicit-def: $vgpr7
	s_branch .LBB47_937
.LBB47_922:
	s_mov_b64 s[40:41], -1
	s_mov_b64 s[0:1], 0
	s_mov_b64 s[38:39], s[26:27]
                                        ; implicit-def: $vgpr7
	s_branch .LBB47_932
.LBB47_923:
	s_mov_b64 s[40:41], -1
	s_mov_b64 s[0:1], 0
	s_mov_b64 s[38:39], s[26:27]
                                        ; implicit-def: $vgpr7
	s_branch .LBB47_927
.LBB47_924:
	s_or_saveexec_b64 s[36:37], s[36:37]
                                        ; implicit-def: $sgpr15
	s_xor_b64 exec, exec, s[36:37]
	s_cbranch_execz .LBB47_700
.LBB47_925:
	s_mov_b32 s15, 0x42800000
	v_add_f32_e64 v8, |v9|, s15
	v_and_b32_e32 v8, 0xff, v8
	v_cmp_ne_u32_e32 vcc, 0, v8
	s_andn2_b64 s[34:35], s[34:35], exec
	s_and_b64 s[38:39], vcc, exec
	s_mov_b32 s15, 0
	s_or_b64 s[34:35], s[34:35], s[38:39]
	s_or_b64 exec, exec, s[36:37]
	v_mov_b32_e32 v10, s15
	s_and_saveexec_b64 s[36:37], s[34:35]
	s_cbranch_execnz .LBB47_701
	s_branch .LBB47_702
.LBB47_926:
	s_mov_b64 s[38:39], -1
                                        ; implicit-def: $vgpr7
	s_mov_b64 s[0:1], 0
.LBB47_927:
	s_and_b64 vcc, exec, s[40:41]
	s_cbranch_vccz .LBB47_931
; %bb.928:
	s_waitcnt vmcnt(0)
	v_mov_b32_e32 v7, 44
	v_cmp_eq_u16_sdwa s[38:39], v4, v7 src0_sel:BYTE_0 src1_sel:DWORD
	s_and_b64 vcc, exec, s[38:39]
	s_cbranch_vccz .LBB47_930
; %bb.929:
	global_load_ubyte v7, v[0:1], off
	s_movk_i32 s15, 0xff
	v_mov_b32_e32 v8, 0x7f800001
	v_mov_b32_e32 v9, 0x400000
	;; [unrolled: 1-line block ×3, first 2 shown]
	s_mov_b64 s[0:1], -1
	s_mov_b64 s[38:39], 0
	s_waitcnt vmcnt(0)
	v_lshlrev_b32_e32 v11, 23, v7
	v_cmp_ne_u32_e32 vcc, s15, v7
	v_cndmask_b32_e32 v8, v8, v11, vcc
	v_cmp_ne_u32_e32 vcc, 0, v7
	v_cndmask_b32_e32 v7, v9, v8, vcc
	v_add_u32_e32 v8, 0x7fff, v7
	v_lshrrev_b32_e32 v8, 16, v8
	v_cmp_o_f32_e32 vcc, v7, v7
	v_cndmask_b32_e32 v7, v10, v8, vcc
	s_branch .LBB47_931
.LBB47_930:
	s_mov_b64 s[38:39], -1
                                        ; implicit-def: $vgpr7
.LBB47_931:
	s_mov_b64 s[40:41], 0
.LBB47_932:
	s_and_b64 vcc, exec, s[40:41]
	s_cbranch_vccz .LBB47_936
; %bb.933:
	s_waitcnt vmcnt(0)
	v_mov_b32_e32 v7, 29
	v_cmp_eq_u16_sdwa s[38:39], v4, v7 src0_sel:BYTE_0 src1_sel:DWORD
	s_and_b64 vcc, exec, s[38:39]
	s_cbranch_vccz .LBB47_935
; %bb.934:
	global_load_dwordx2 v[8:9], v[0:1], off
	s_movk_i32 s15, 0x7fff
	s_mov_b64 s[0:1], -1
	s_mov_b64 s[38:39], 0
	s_mov_b64 s[40:41], 0
	s_waitcnt vmcnt(0)
	v_ffbh_u32_e32 v7, v9
	v_min_u32_e32 v7, 32, v7
	v_lshlrev_b64 v[8:9], v7, v[8:9]
	v_min_u32_e32 v8, 1, v8
	v_or_b32_e32 v8, v9, v8
	v_cvt_f32_u32_e32 v8, v8
	v_sub_u32_e32 v7, 32, v7
	v_ldexp_f32 v7, v8, v7
	v_bfe_u32 v8, v7, 16, 1
	v_add3_u32 v7, v7, v8, s15
	v_lshrrev_b32_e32 v7, 16, v7
	s_branch .LBB47_937
.LBB47_935:
	s_mov_b64 s[38:39], -1
                                        ; implicit-def: $vgpr7
.LBB47_936:
	s_mov_b64 s[40:41], 0
.LBB47_937:
	s_and_b64 vcc, exec, s[40:41]
	s_cbranch_vccz .LBB47_955
; %bb.938:
	s_waitcnt vmcnt(0)
	v_mov_b32_e32 v7, 27
	v_cmp_lt_i16_sdwa s[0:1], v4, v7 src0_sel:BYTE_0 src1_sel:DWORD
	s_and_b64 vcc, exec, s[0:1]
	s_cbranch_vccnz .LBB47_941
; %bb.939:
	v_cmp_gt_i16_sdwa s[0:1], v4, v7 src0_sel:BYTE_0 src1_sel:DWORD
	s_and_b64 vcc, exec, s[0:1]
	s_cbranch_vccz .LBB47_942
; %bb.940:
	global_load_dword v7, v[0:1], off
	s_movk_i32 s0, 0x7fff
	s_waitcnt vmcnt(0)
	v_cvt_f32_u32_e32 v7, v7
	v_bfe_u32 v8, v7, 16, 1
	v_add3_u32 v7, v7, v8, s0
	v_lshrrev_b32_e32 v7, 16, v7
	s_mov_b64 s[0:1], 0
	s_branch .LBB47_943
.LBB47_941:
	s_mov_b64 s[0:1], -1
                                        ; implicit-def: $vgpr7
	s_branch .LBB47_946
.LBB47_942:
	s_mov_b64 s[0:1], -1
                                        ; implicit-def: $vgpr7
.LBB47_943:
	s_andn2_b64 vcc, exec, s[0:1]
	s_cbranch_vccnz .LBB47_945
; %bb.944:
	global_load_ushort v7, v[0:1], off
	s_movk_i32 s0, 0x7fff
	s_waitcnt vmcnt(0)
	v_cvt_f32_u32_e32 v7, v7
	v_bfe_u32 v8, v7, 16, 1
	v_add3_u32 v7, v7, v8, s0
	v_lshrrev_b32_e32 v7, 16, v7
.LBB47_945:
	s_mov_b64 s[0:1], 0
.LBB47_946:
	s_andn2_b64 vcc, exec, s[0:1]
	s_cbranch_vccnz .LBB47_954
; %bb.947:
	global_load_ubyte v7, v[0:1], off
	s_movk_i32 s0, 0x7f
                                        ; implicit-def: $sgpr15
	s_waitcnt vmcnt(0)
	v_cmp_lt_i16_e32 vcc, s0, v7
	s_mov_b64 s[0:1], 0
	s_and_saveexec_b64 s[40:41], vcc
	s_xor_b64 s[40:41], exec, s[40:41]
	s_cbranch_execz .LBB47_968
; %bb.948:
	s_movk_i32 s0, 0x80
	v_cmp_eq_u16_e32 vcc, s0, v7
	s_mov_b64 s[0:1], -1
                                        ; implicit-def: $sgpr15
	s_and_saveexec_b64 s[42:43], vcc
; %bb.949:
	s_mov_b32 s15, 0x7f800001
	s_xor_b64 s[0:1], exec, -1
; %bb.950:
	s_or_b64 exec, exec, s[42:43]
	s_and_b64 s[0:1], s[0:1], exec
	s_or_saveexec_b64 s[40:41], s[40:41]
	v_mov_b32_e32 v8, s15
	s_xor_b64 exec, exec, s[40:41]
	s_cbranch_execnz .LBB47_969
.LBB47_951:
	s_or_b64 exec, exec, s[40:41]
	s_and_saveexec_b64 s[40:41], s[0:1]
	s_cbranch_execz .LBB47_953
.LBB47_952:
	v_lshlrev_b32_e32 v8, 24, v7
	v_and_b32_e32 v7, 0xffff, v7
	v_and_b32_e32 v9, 7, v7
	v_ffbh_u32_e32 v11, v9
	v_min_u32_e32 v11, 32, v11
	v_subrev_u32_e32 v12, 28, v11
	v_bfe_u32 v10, v7, 3, 4
	v_lshlrev_b32_e32 v7, v12, v7
	v_sub_u32_e32 v11, 29, v11
	v_and_b32_e32 v7, 7, v7
	v_cmp_eq_u32_e32 vcc, 0, v10
	v_cndmask_b32_e32 v10, v10, v11, vcc
	v_cndmask_b32_e32 v7, v9, v7, vcc
	v_mov_b32_e32 v9, 0x3b800000
	v_lshlrev_b32_e32 v7, 20, v7
	v_and_b32_e32 v8, 0x80000000, v8
	v_lshl_add_u32 v9, v10, 23, v9
	v_or3_b32 v8, v8, v9, v7
.LBB47_953:
	s_or_b64 exec, exec, s[40:41]
	v_bfe_u32 v7, v8, 16, 1
	s_movk_i32 s0, 0x7fff
	v_add3_u32 v7, v8, v7, s0
	v_lshrrev_b32_e32 v7, 16, v7
	v_mov_b32_e32 v9, 0x7fc0
	v_cmp_o_f32_e32 vcc, v8, v8
	v_cndmask_b32_e32 v7, v9, v7, vcc
.LBB47_954:
	s_mov_b64 s[0:1], -1
.LBB47_955:
	s_mov_b64 s[40:41], 0
.LBB47_956:
	s_and_b64 vcc, exec, s[40:41]
	s_cbranch_vccz .LBB47_991
; %bb.957:
	s_waitcnt vmcnt(0)
	v_mov_b32_e32 v7, 22
	v_cmp_gt_i16_sdwa s[40:41], v4, v7 src0_sel:BYTE_0 src1_sel:DWORD
	s_and_b64 vcc, exec, s[40:41]
	s_cbranch_vccz .LBB47_967
; %bb.958:
	v_mov_b32_e32 v7, 24
	v_cmp_lt_i16_sdwa s[0:1], v4, v7 src0_sel:BYTE_0 src1_sel:DWORD
	s_and_b64 vcc, exec, s[0:1]
	s_cbranch_vccnz .LBB47_970
; %bb.959:
	v_cmp_gt_i16_sdwa s[0:1], v4, v7 src0_sel:BYTE_0 src1_sel:DWORD
	s_and_b64 vcc, exec, s[0:1]
	s_cbranch_vccz .LBB47_971
; %bb.960:
	global_load_ubyte v7, v[0:1], off
	s_movk_i32 s0, 0x7f
                                        ; implicit-def: $sgpr15
	s_waitcnt vmcnt(0)
	v_cmp_lt_i16_e32 vcc, s0, v7
	s_mov_b64 s[0:1], 0
	s_and_saveexec_b64 s[40:41], vcc
	s_xor_b64 s[40:41], exec, s[40:41]
	s_cbranch_execz .LBB47_983
; %bb.961:
	s_movk_i32 s0, 0x80
	v_cmp_eq_u16_e32 vcc, s0, v7
	s_mov_b64 s[0:1], -1
                                        ; implicit-def: $sgpr15
	s_and_saveexec_b64 s[42:43], vcc
; %bb.962:
	s_mov_b32 s15, 0x7f800001
	s_xor_b64 s[0:1], exec, -1
; %bb.963:
	s_or_b64 exec, exec, s[42:43]
	s_and_b64 s[0:1], s[0:1], exec
	s_or_saveexec_b64 s[40:41], s[40:41]
	v_mov_b32_e32 v8, s15
	s_xor_b64 exec, exec, s[40:41]
	s_cbranch_execnz .LBB47_984
.LBB47_964:
	s_or_b64 exec, exec, s[40:41]
	s_and_saveexec_b64 s[40:41], s[0:1]
	s_cbranch_execz .LBB47_966
.LBB47_965:
	v_lshlrev_b32_e32 v8, 24, v7
	v_and_b32_e32 v7, 0xffff, v7
	v_and_b32_e32 v9, 3, v7
	v_ffbh_u32_e32 v11, v9
	v_min_u32_e32 v11, 32, v11
	v_subrev_u32_e32 v12, 29, v11
	v_bfe_u32 v10, v7, 2, 5
	v_lshlrev_b32_e32 v7, v12, v7
	v_sub_u32_e32 v11, 30, v11
	v_and_b32_e32 v7, 3, v7
	v_cmp_eq_u32_e32 vcc, 0, v10
	v_cndmask_b32_e32 v10, v10, v11, vcc
	v_cndmask_b32_e32 v7, v9, v7, vcc
	v_mov_b32_e32 v9, 0x37800000
	v_lshlrev_b32_e32 v7, 21, v7
	v_and_b32_e32 v8, 0x80000000, v8
	v_lshl_add_u32 v9, v10, 23, v9
	v_or3_b32 v8, v8, v9, v7
.LBB47_966:
	s_or_b64 exec, exec, s[40:41]
	v_bfe_u32 v7, v8, 16, 1
	s_movk_i32 s0, 0x7fff
	v_add3_u32 v7, v8, v7, s0
	v_lshrrev_b32_e32 v7, 16, v7
	v_mov_b32_e32 v9, 0x7fc0
	v_cmp_o_f32_e32 vcc, v8, v8
	v_cndmask_b32_e32 v7, v9, v7, vcc
	s_mov_b64 s[0:1], 0
	s_branch .LBB47_972
.LBB47_967:
	s_mov_b64 s[40:41], -1
                                        ; implicit-def: $vgpr7
	s_branch .LBB47_978
.LBB47_968:
	s_or_saveexec_b64 s[40:41], s[40:41]
	v_mov_b32_e32 v8, s15
	s_xor_b64 exec, exec, s[40:41]
	s_cbranch_execz .LBB47_951
.LBB47_969:
	v_cmp_ne_u16_e32 vcc, 0, v7
	s_andn2_b64 s[0:1], s[0:1], exec
	s_and_b64 s[42:43], vcc, exec
	v_mov_b32_e32 v8, 0
	s_or_b64 s[0:1], s[0:1], s[42:43]
	s_or_b64 exec, exec, s[40:41]
	s_and_saveexec_b64 s[40:41], s[0:1]
	s_cbranch_execnz .LBB47_952
	s_branch .LBB47_953
.LBB47_970:
	s_mov_b64 s[0:1], -1
                                        ; implicit-def: $vgpr7
	s_branch .LBB47_975
.LBB47_971:
	s_mov_b64 s[0:1], -1
                                        ; implicit-def: $vgpr7
.LBB47_972:
	s_and_b64 vcc, exec, s[0:1]
	s_cbranch_vccz .LBB47_974
; %bb.973:
	global_load_ubyte v7, v[0:1], off
	s_mov_b32 s0, 0x7f800000
	s_brev_b32 s1, 1
	s_movk_i32 s15, 0x7fff
	v_mov_b32_e32 v8, 0x7fc0
	s_waitcnt vmcnt(0)
	v_lshlrev_b32_e32 v7, 24, v7
	v_and_b32_e32 v9, 0x7f000000, v7
	v_ffbh_u32_e32 v10, v9
	v_min_u32_e32 v10, 32, v10
	v_sub_u32_e64 v10, v10, 4 clamp
	v_lshlrev_b32_e32 v12, v10, v9
	v_lshlrev_b32_e32 v10, 23, v10
	v_lshrrev_b32_e32 v12, 4, v12
	v_add_u32_e32 v11, 0x1000000, v9
	v_sub_u32_e32 v10, v12, v10
	v_ashrrev_i32_e32 v11, 8, v11
	v_add_u32_e32 v10, 0x3c000000, v10
	v_and_or_b32 v10, v11, s0, v10
	v_cmp_ne_u32_e32 vcc, 0, v9
	v_cndmask_b32_e32 v9, 0, v10, vcc
	v_and_or_b32 v7, v7, s1, v9
	v_bfe_u32 v9, v9, 16, 1
	v_add3_u32 v9, v7, v9, s15
	v_lshrrev_b32_e32 v9, 16, v9
	v_cmp_o_f32_e32 vcc, v7, v7
	v_cndmask_b32_e32 v7, v8, v9, vcc
.LBB47_974:
	s_mov_b64 s[0:1], 0
.LBB47_975:
	s_andn2_b64 vcc, exec, s[0:1]
	s_cbranch_vccnz .LBB47_977
; %bb.976:
	global_load_ubyte v7, v[0:1], off
	s_movk_i32 s0, 0x7f00
	s_brev_b32 s1, 16
	s_brev_b32 s15, 1
	s_movk_i32 s40, 0x7fff
	v_mov_b32_e32 v8, 0x7fc0
	s_waitcnt vmcnt(0)
	v_lshlrev_b16_e32 v9, 8, v7
	v_lshlrev_b32_e32 v7, 25, v7
	v_lshrrev_b32_e32 v10, 4, v7
	v_and_or_b32 v11, v9, s0, 0.5
	v_or_b32_e32 v10, 0x70000000, v10
	v_add_f32_e32 v11, -0.5, v11
	v_mul_f32_e32 v10, 0x7800000, v10
	v_cmp_gt_u32_e32 vcc, s1, v7
	v_bfe_i32 v9, v9, 0, 16
	v_cndmask_b32_e32 v7, v10, v11, vcc
	v_and_or_b32 v9, v9, s15, v7
	v_bfe_u32 v7, v7, 16, 1
	v_add3_u32 v7, v9, v7, s40
	v_lshrrev_b32_e32 v7, 16, v7
	v_cmp_o_f32_e32 vcc, v9, v9
	v_cndmask_b32_e32 v7, v8, v7, vcc
.LBB47_977:
	s_mov_b64 s[40:41], 0
	s_mov_b64 s[0:1], -1
.LBB47_978:
	s_andn2_b64 vcc, exec, s[40:41]
	s_cbranch_vccnz .LBB47_991
; %bb.979:
	v_mov_b32_e32 v7, 14
	v_cmp_gt_i16_sdwa s[40:41], v4, v7 src0_sel:BYTE_0 src1_sel:DWORD
	s_and_b64 vcc, exec, s[40:41]
	s_cbranch_vccz .LBB47_982
; %bb.980:
	v_mov_b32_e32 v7, 15
	v_cmp_eq_u16_sdwa s[38:39], v4, v7 src0_sel:BYTE_0 src1_sel:DWORD
	s_and_b64 vcc, exec, s[38:39]
	s_cbranch_vccz .LBB47_985
; %bb.981:
	global_load_ushort v7, v[0:1], off
	s_mov_b64 s[0:1], -1
	s_mov_b64 s[38:39], 0
	s_branch .LBB47_986
.LBB47_982:
	s_mov_b64 s[40:41], -1
                                        ; implicit-def: $vgpr7
	s_branch .LBB47_987
.LBB47_983:
	s_or_saveexec_b64 s[40:41], s[40:41]
	v_mov_b32_e32 v8, s15
	s_xor_b64 exec, exec, s[40:41]
	s_cbranch_execz .LBB47_964
.LBB47_984:
	v_cmp_ne_u16_e32 vcc, 0, v7
	s_andn2_b64 s[0:1], s[0:1], exec
	s_and_b64 s[42:43], vcc, exec
	v_mov_b32_e32 v8, 0
	s_or_b64 s[0:1], s[0:1], s[42:43]
	s_or_b64 exec, exec, s[40:41]
	s_and_saveexec_b64 s[40:41], s[0:1]
	s_cbranch_execnz .LBB47_965
	s_branch .LBB47_966
.LBB47_985:
	s_mov_b64 s[38:39], -1
                                        ; implicit-def: $vgpr7
.LBB47_986:
	s_mov_b64 s[40:41], 0
.LBB47_987:
	s_and_b64 vcc, exec, s[40:41]
	s_cbranch_vccz .LBB47_991
; %bb.988:
	s_waitcnt vmcnt(0)
	v_mov_b32_e32 v7, 11
	v_cmp_eq_u16_sdwa s[38:39], v4, v7 src0_sel:BYTE_0 src1_sel:DWORD
	s_and_b64 vcc, exec, s[38:39]
	s_cbranch_vccz .LBB47_990
; %bb.989:
	global_load_ubyte v7, v[0:1], off
	s_mov_b64 s[0:1], -1
	s_mov_b64 s[38:39], 0
	s_waitcnt vmcnt(0)
	v_cmp_ne_u16_e32 vcc, 0, v7
	v_cndmask_b32_e64 v7, 0, 1.0, vcc
	v_lshrrev_b32_e32 v7, 16, v7
	s_branch .LBB47_991
.LBB47_990:
	s_mov_b64 s[38:39], -1
                                        ; implicit-def: $vgpr7
.LBB47_991:
	s_mov_b64 s[40:41], 0
.LBB47_992:
	s_and_b64 vcc, exec, s[40:41]
	s_cbranch_vccz .LBB47_1041
; %bb.993:
	s_waitcnt vmcnt(0)
	v_mov_b32_e32 v7, 5
	v_cmp_lt_i16_sdwa s[0:1], v4, v7 src0_sel:BYTE_0 src1_sel:DWORD
	s_and_b64 vcc, exec, s[0:1]
	s_cbranch_vccnz .LBB47_998
; %bb.994:
	v_mov_b32_e32 v7, 8
	v_cmp_lt_i16_sdwa s[0:1], v4, v7 src0_sel:BYTE_0 src1_sel:DWORD
	s_and_b64 vcc, exec, s[0:1]
	s_cbranch_vccnz .LBB47_999
; %bb.995:
	;; [unrolled: 5-line block ×3, first 2 shown]
	v_cmp_gt_i16_sdwa s[0:1], v4, v7 src0_sel:BYTE_0 src1_sel:DWORD
	s_and_b64 vcc, exec, s[0:1]
	s_cbranch_vccz .LBB47_1001
; %bb.997:
	global_load_dwordx2 v[8:9], v[0:1], off
	s_movk_i32 s0, 0x7fff
	v_mov_b32_e32 v7, 0x7fc0
	s_waitcnt vmcnt(0)
	v_cvt_f32_f64_e32 v8, v[8:9]
	v_bfe_u32 v9, v8, 16, 1
	v_add3_u32 v9, v8, v9, s0
	v_lshrrev_b32_e32 v9, 16, v9
	v_cmp_o_f32_e32 vcc, v8, v8
	v_cndmask_b32_e32 v7, v7, v9, vcc
	s_mov_b64 s[0:1], 0
	s_branch .LBB47_1002
.LBB47_998:
	s_mov_b64 s[0:1], -1
                                        ; implicit-def: $vgpr7
	s_branch .LBB47_1020
.LBB47_999:
	s_mov_b64 s[0:1], -1
                                        ; implicit-def: $vgpr7
	s_branch .LBB47_1008
.LBB47_1000:
	s_mov_b64 s[0:1], -1
                                        ; implicit-def: $vgpr7
	s_branch .LBB47_1005
.LBB47_1001:
	s_mov_b64 s[0:1], -1
                                        ; implicit-def: $vgpr7
.LBB47_1002:
	s_andn2_b64 vcc, exec, s[0:1]
	s_cbranch_vccnz .LBB47_1004
; %bb.1003:
	global_load_dword v7, v[0:1], off
	s_movk_i32 s0, 0x7fff
	v_mov_b32_e32 v8, 0x7fc0
	s_waitcnt vmcnt(0)
	v_bfe_u32 v9, v7, 16, 1
	v_add3_u32 v9, v7, v9, s0
	v_lshrrev_b32_e32 v9, 16, v9
	v_cmp_o_f32_e32 vcc, v7, v7
	v_cndmask_b32_e32 v7, v8, v9, vcc
.LBB47_1004:
	s_mov_b64 s[0:1], 0
.LBB47_1005:
	s_andn2_b64 vcc, exec, s[0:1]
	s_cbranch_vccnz .LBB47_1007
; %bb.1006:
	global_load_dword v7, v[0:1], off
	s_movk_i32 s0, 0x7fff
	v_mov_b32_e32 v9, 0x7fc0
	s_waitcnt vmcnt(0)
	v_cvt_f32_f16_e32 v8, v7
	v_cmp_o_f16_e32 vcc, v7, v7
	v_bfe_u32 v10, v8, 16, 1
	v_add3_u32 v8, v8, v10, s0
	v_lshrrev_b32_e32 v8, 16, v8
	v_cndmask_b32_e32 v7, v9, v8, vcc
.LBB47_1007:
	s_mov_b64 s[0:1], 0
.LBB47_1008:
	s_andn2_b64 vcc, exec, s[0:1]
	s_cbranch_vccnz .LBB47_1019
; %bb.1009:
	v_mov_b32_e32 v7, 6
	v_cmp_lt_i16_sdwa s[0:1], v4, v7 src0_sel:BYTE_0 src1_sel:DWORD
	s_and_b64 vcc, exec, s[0:1]
	s_cbranch_vccnz .LBB47_1012
; %bb.1010:
	v_cmp_gt_i16_sdwa s[0:1], v4, v7 src0_sel:BYTE_0 src1_sel:DWORD
	s_and_b64 vcc, exec, s[0:1]
	s_cbranch_vccz .LBB47_1013
; %bb.1011:
	global_load_dwordx2 v[8:9], v[0:1], off
	s_movk_i32 s0, 0x7fff
	v_mov_b32_e32 v7, 0x7fc0
	s_waitcnt vmcnt(0)
	v_cvt_f32_f64_e32 v8, v[8:9]
	v_bfe_u32 v9, v8, 16, 1
	v_add3_u32 v9, v8, v9, s0
	v_lshrrev_b32_e32 v9, 16, v9
	v_cmp_o_f32_e32 vcc, v8, v8
	v_cndmask_b32_e32 v7, v7, v9, vcc
	s_mov_b64 s[0:1], 0
	s_branch .LBB47_1014
.LBB47_1012:
	s_mov_b64 s[0:1], -1
                                        ; implicit-def: $vgpr7
	s_branch .LBB47_1017
.LBB47_1013:
	s_mov_b64 s[0:1], -1
                                        ; implicit-def: $vgpr7
.LBB47_1014:
	s_andn2_b64 vcc, exec, s[0:1]
	s_cbranch_vccnz .LBB47_1016
; %bb.1015:
	global_load_dword v7, v[0:1], off
	s_movk_i32 s0, 0x7fff
	v_mov_b32_e32 v8, 0x7fc0
	s_waitcnt vmcnt(0)
	v_bfe_u32 v9, v7, 16, 1
	v_add3_u32 v9, v7, v9, s0
	v_lshrrev_b32_e32 v9, 16, v9
	v_cmp_o_f32_e32 vcc, v7, v7
	v_cndmask_b32_e32 v7, v8, v9, vcc
.LBB47_1016:
	s_mov_b64 s[0:1], 0
.LBB47_1017:
	s_andn2_b64 vcc, exec, s[0:1]
	s_cbranch_vccnz .LBB47_1019
; %bb.1018:
	global_load_ushort v7, v[0:1], off
	s_movk_i32 s0, 0x7fff
	v_mov_b32_e32 v9, 0x7fc0
	s_waitcnt vmcnt(0)
	v_cvt_f32_f16_e32 v8, v7
	v_cmp_o_f16_e32 vcc, v7, v7
	v_bfe_u32 v10, v8, 16, 1
	v_add3_u32 v8, v8, v10, s0
	v_lshrrev_b32_e32 v8, 16, v8
	v_cndmask_b32_e32 v7, v9, v8, vcc
.LBB47_1019:
	s_mov_b64 s[0:1], 0
.LBB47_1020:
	s_andn2_b64 vcc, exec, s[0:1]
	s_cbranch_vccnz .LBB47_1040
; %bb.1021:
	v_mov_b32_e32 v7, 2
	v_cmp_lt_i16_sdwa s[0:1], v4, v7 src0_sel:BYTE_0 src1_sel:DWORD
	s_and_b64 vcc, exec, s[0:1]
	s_cbranch_vccnz .LBB47_1025
; %bb.1022:
	v_mov_b32_e32 v7, 3
	v_cmp_lt_i16_sdwa s[0:1], v4, v7 src0_sel:BYTE_0 src1_sel:DWORD
	s_and_b64 vcc, exec, s[0:1]
	s_cbranch_vccnz .LBB47_1026
; %bb.1023:
	v_cmp_gt_i16_sdwa s[0:1], v4, v7 src0_sel:BYTE_0 src1_sel:DWORD
	s_and_b64 vcc, exec, s[0:1]
	s_cbranch_vccz .LBB47_1027
; %bb.1024:
	global_load_dwordx2 v[8:9], v[0:1], off
	s_movk_i32 s0, 0x7fff
	s_waitcnt vmcnt(0)
	v_xor_b32_e32 v10, v8, v9
	v_ffbh_i32_e32 v7, v9
	v_ashrrev_i32_e32 v10, 31, v10
	v_add_u32_e32 v7, -1, v7
	v_add_u32_e32 v10, 32, v10
	v_min_u32_e32 v7, v7, v10
	v_lshlrev_b64 v[8:9], v7, v[8:9]
	v_min_u32_e32 v8, 1, v8
	v_or_b32_e32 v8, v9, v8
	v_cvt_f32_i32_e32 v8, v8
	v_sub_u32_e32 v7, 32, v7
	v_ldexp_f32 v7, v8, v7
	v_bfe_u32 v8, v7, 16, 1
	v_add3_u32 v7, v7, v8, s0
	v_lshrrev_b32_e32 v7, 16, v7
	s_mov_b64 s[0:1], 0
	s_branch .LBB47_1028
.LBB47_1025:
	s_mov_b64 s[0:1], -1
                                        ; implicit-def: $vgpr7
	s_branch .LBB47_1034
.LBB47_1026:
	s_mov_b64 s[0:1], -1
                                        ; implicit-def: $vgpr7
	s_branch .LBB47_1031
.LBB47_1027:
	s_mov_b64 s[0:1], -1
                                        ; implicit-def: $vgpr7
.LBB47_1028:
	s_andn2_b64 vcc, exec, s[0:1]
	s_cbranch_vccnz .LBB47_1030
; %bb.1029:
	global_load_dword v7, v[0:1], off
	s_movk_i32 s0, 0x7fff
	s_waitcnt vmcnt(0)
	v_cvt_f32_i32_e32 v7, v7
	v_bfe_u32 v8, v7, 16, 1
	v_add3_u32 v7, v7, v8, s0
	v_lshrrev_b32_e32 v7, 16, v7
.LBB47_1030:
	s_mov_b64 s[0:1], 0
.LBB47_1031:
	s_andn2_b64 vcc, exec, s[0:1]
	s_cbranch_vccnz .LBB47_1033
; %bb.1032:
	global_load_sshort v7, v[0:1], off
	s_movk_i32 s0, 0x7fff
	s_waitcnt vmcnt(0)
	v_cvt_f32_i32_e32 v7, v7
	v_bfe_u32 v8, v7, 16, 1
	v_add3_u32 v7, v7, v8, s0
	v_lshrrev_b32_e32 v7, 16, v7
.LBB47_1033:
	s_mov_b64 s[0:1], 0
.LBB47_1034:
	s_andn2_b64 vcc, exec, s[0:1]
	s_cbranch_vccnz .LBB47_1040
; %bb.1035:
	v_mov_b32_e32 v7, 0
	v_cmp_gt_i16_sdwa s[0:1], v4, v7 src0_sel:BYTE_0 src1_sel:DWORD
	s_and_b64 vcc, exec, s[0:1]
	s_cbranch_vccz .LBB47_1037
; %bb.1036:
	global_load_sbyte v7, v[0:1], off
	s_movk_i32 s0, 0x7fff
	s_waitcnt vmcnt(0)
	v_cvt_f32_i32_e32 v7, v7
	v_bfe_u32 v8, v7, 16, 1
	v_add3_u32 v7, v7, v8, s0
	v_lshrrev_b32_e32 v7, 16, v7
	s_mov_b64 s[0:1], 0
	s_branch .LBB47_1038
.LBB47_1037:
	s_mov_b64 s[0:1], -1
                                        ; implicit-def: $vgpr7
.LBB47_1038:
	s_andn2_b64 vcc, exec, s[0:1]
	s_cbranch_vccnz .LBB47_1040
; %bb.1039:
	global_load_ubyte v0, v[0:1], off
	s_movk_i32 s0, 0x7fff
	s_waitcnt vmcnt(0)
	v_cvt_f32_ubyte0_e32 v0, v0
	v_bfe_u32 v1, v0, 16, 1
	v_add3_u32 v0, v0, v1, s0
	v_lshrrev_b32_e32 v7, 16, v0
.LBB47_1040:
	s_mov_b64 s[0:1], -1
.LBB47_1041:
	s_andn2_b64 vcc, exec, s[0:1]
	s_cbranch_vccnz .LBB47_1051
; %bb.1042:
	s_waitcnt vmcnt(0)
	v_lshlrev_b32_e32 v0, 16, v6
	v_cmp_nlt_f32_e32 vcc, 0, v0
	s_and_saveexec_b64 s[0:1], vcc
; %bb.1043:
	v_lshlrev_b32_e32 v1, 16, v7
	v_mul_f32_e32 v0, v0, v1
	v_bfe_u32 v1, v0, 16, 1
	s_movk_i32 s15, 0x7fff
	v_add3_u32 v1, v0, v1, s15
	v_lshrrev_b32_e32 v1, 16, v1
	v_mov_b32_e32 v6, 0x7fc0
	v_cmp_o_f32_e32 vcc, v0, v0
	v_cndmask_b32_e32 v6, v6, v1, vcc
; %bb.1044:
	s_or_b64 exec, exec, s[0:1]
	v_mul_lo_u32 v0, v3, s12
	v_ashrrev_i32_e32 v1, 31, v0
	v_mov_b32_e32 v7, s9
	v_add_co_u32_e32 v0, vcc, s8, v0
	v_addc_co_u32_e32 v1, vcc, v7, v1, vcc
	v_mov_b32_e32 v7, 11
	v_cmp_lt_i16_sdwa s[0:1], v2, v7 src0_sel:BYTE_0 src1_sel:DWORD
	s_and_b64 vcc, exec, s[0:1]
	s_cbranch_vccnz .LBB47_1052
; %bb.1045:
	v_mov_b32_e32 v7, 25
	v_cmp_gt_i16_sdwa s[0:1], v2, v7 src0_sel:BYTE_0 src1_sel:DWORD
	s_and_b64 vcc, exec, s[0:1]
	s_cbranch_vccz .LBB47_1053
; %bb.1046:
	v_mov_b32_e32 v7, 28
	v_cmp_gt_i16_sdwa s[0:1], v2, v7 src0_sel:BYTE_0 src1_sel:DWORD
	s_and_b64 vcc, exec, s[0:1]
	s_cbranch_vccz .LBB47_1054
	;; [unrolled: 5-line block ×4, first 2 shown]
; %bb.1049:
	v_mov_b32_e32 v7, 46
	v_cmp_eq_u16_sdwa s[40:41], v2, v7 src0_sel:BYTE_0 src1_sel:DWORD
	s_mov_b64 s[42:43], 0
	s_mov_b64 s[0:1], -1
	s_and_b64 vcc, exec, s[40:41]
	s_mov_b64 s[40:41], 0
	s_cbranch_vccz .LBB47_1057
; %bb.1050:
	v_and_b32_e32 v7, 0xffff, v6
	global_store_dword v[0:1], v7, off
	s_mov_b64 s[40:41], -1
	s_mov_b64 s[0:1], 0
	s_branch .LBB47_1057
.LBB47_1051:
	s_mov_b64 s[42:43], 0
                                        ; implicit-def: $vgpr3
	s_mov_b64 s[0:1], s[28:29]
	s_branch .LBB47_1167
.LBB47_1052:
	s_mov_b64 s[42:43], -1
	s_mov_b64 s[40:41], 0
	s_mov_b64 s[0:1], s[28:29]
	s_branch .LBB47_1126
.LBB47_1053:
	s_mov_b64 s[42:43], -1
	s_mov_b64 s[40:41], 0
	s_mov_b64 s[0:1], s[28:29]
	s_branch .LBB47_1084
.LBB47_1054:
	s_mov_b64 s[42:43], -1
	s_mov_b64 s[40:41], 0
	s_mov_b64 s[0:1], s[28:29]
	s_branch .LBB47_1067
.LBB47_1055:
	s_mov_b64 s[42:43], -1
	s_mov_b64 s[40:41], 0
	s_mov_b64 s[0:1], s[28:29]
	s_branch .LBB47_1063
.LBB47_1056:
	s_mov_b64 s[42:43], -1
	s_mov_b64 s[40:41], 0
	s_mov_b64 s[0:1], s[28:29]
.LBB47_1057:
	s_and_b64 vcc, exec, s[42:43]
	s_cbranch_vccz .LBB47_1062
; %bb.1058:
	v_mov_b32_e32 v7, 44
	v_cmp_eq_u16_sdwa s[42:43], v2, v7 src0_sel:BYTE_0 src1_sel:DWORD
	s_mov_b64 s[0:1], -1
	s_and_b64 vcc, exec, s[42:43]
	s_cbranch_vccz .LBB47_1062
; %bb.1059:
	v_and_b32_e32 v8, 0xffff, v6
	v_bfe_u32 v7, v8, 7, 8
	s_movk_i32 s0, 0xff
	v_cmp_ne_u32_e32 vcc, s0, v7
	v_mov_b32_e32 v9, 0xff
	s_and_saveexec_b64 s[40:41], vcc
; %bb.1060:
	v_lshlrev_b32_e32 v10, 16, v8
	s_mov_b32 s0, 0x3f0000
	v_lshrrev_b32_e32 v9, 7, v8
	v_and_b32_e32 v8, 64, v8
	v_and_or_b32 v7, v10, s0, v7
	v_cmp_ne_u32_e32 vcc, 0, v8
	v_cmp_ne_u32_e64 s[0:1], 0, v7
	s_and_b64 s[0:1], vcc, s[0:1]
	v_cndmask_b32_e64 v7, 0, 1, s[0:1]
	v_add_u32_e32 v9, v9, v7
; %bb.1061:
	s_or_b64 exec, exec, s[40:41]
	s_mov_b64 s[40:41], -1
	s_mov_b64 s[0:1], 0
	global_store_byte v[0:1], v9, off
.LBB47_1062:
	s_mov_b64 s[42:43], 0
.LBB47_1063:
	s_and_b64 vcc, exec, s[42:43]
	s_cbranch_vccz .LBB47_1066
; %bb.1064:
	v_mov_b32_e32 v7, 29
	v_cmp_eq_u16_sdwa s[42:43], v2, v7 src0_sel:BYTE_0 src1_sel:DWORD
	s_mov_b64 s[0:1], -1
	s_and_b64 vcc, exec, s[42:43]
	s_cbranch_vccz .LBB47_1066
; %bb.1065:
	v_lshlrev_b32_e32 v7, 16, v6
	v_trunc_f32_e32 v7, v7
	v_mul_f32_e32 v8, 0x2f800000, v7
	v_floor_f32_e32 v8, v8
	v_fmac_f32_e32 v7, 0xcf800000, v8
	v_cvt_u32_f32_e32 v9, v8
	v_cvt_u32_f32_e32 v8, v7
	s_mov_b64 s[40:41], -1
	s_mov_b64 s[0:1], 0
	s_mov_b64 s[42:43], 0
	global_store_dwordx2 v[0:1], v[8:9], off
	s_branch .LBB47_1067
.LBB47_1066:
	s_mov_b64 s[42:43], 0
.LBB47_1067:
	s_and_b64 vcc, exec, s[42:43]
	s_cbranch_vccz .LBB47_1083
; %bb.1068:
	v_mov_b32_e32 v7, 27
	v_cmp_lt_i16_sdwa s[42:43], v2, v7 src0_sel:BYTE_0 src1_sel:DWORD
	s_mov_b64 s[40:41], -1
	s_and_b64 vcc, exec, s[42:43]
	s_cbranch_vccnz .LBB47_1074
; %bb.1069:
	v_cmp_gt_i16_sdwa s[42:43], v2, v7 src0_sel:BYTE_0 src1_sel:DWORD
	s_and_b64 vcc, exec, s[42:43]
	s_cbranch_vccz .LBB47_1071
; %bb.1070:
	v_lshlrev_b32_e32 v7, 16, v6
	v_cvt_u32_f32_e32 v7, v7
	s_mov_b64 s[40:41], 0
	global_store_dword v[0:1], v7, off
.LBB47_1071:
	s_andn2_b64 vcc, exec, s[40:41]
	s_cbranch_vccnz .LBB47_1073
; %bb.1072:
	v_lshlrev_b32_e32 v7, 16, v6
	v_cvt_u32_f32_e32 v7, v7
	global_store_short v[0:1], v7, off
.LBB47_1073:
	s_mov_b64 s[40:41], 0
.LBB47_1074:
	s_andn2_b64 vcc, exec, s[40:41]
	s_cbranch_vccnz .LBB47_1082
; %bb.1075:
	v_lshlrev_b32_e32 v9, 16, v6
	v_and_b32_e32 v8, 0x7fffffff, v9
	s_mov_b32 s15, 0x43800000
	v_cmp_gt_u32_e32 vcc, s15, v8
	v_mov_b32_e32 v10, 0x80
	s_and_saveexec_b64 s[40:41], vcc
	s_cbranch_execz .LBB47_1081
; %bb.1076:
	s_mov_b32 s15, 0x3bffffff
	v_and_b32_e32 v7, 0xffff, v6
	v_cmp_lt_u32_e32 vcc, s15, v8
	s_mov_b64 s[42:43], 0
                                        ; implicit-def: $vgpr8
	s_and_saveexec_b64 s[44:45], vcc
	s_xor_b64 s[44:45], exec, s[44:45]
	s_cbranch_execz .LBB47_1183
; %bb.1077:
	v_bfe_u32 v8, v7, 4, 1
	s_mov_b32 s15, 0x487ffff
	v_add3_u32 v8, v9, v8, s15
	s_mov_b64 s[42:43], exec
	v_lshrrev_b32_e32 v8, 20, v8
                                        ; implicit-def: $vgpr9
	s_or_saveexec_b64 s[44:45], s[44:45]
                                        ; implicit-def: $sgpr15
	s_xor_b64 exec, exec, s[44:45]
	s_cbranch_execnz .LBB47_1184
.LBB47_1078:
	s_or_b64 exec, exec, s[44:45]
	v_mov_b32_e32 v10, s15
	s_and_saveexec_b64 s[44:45], s[42:43]
.LBB47_1079:
	v_lshrrev_b32_e32 v7, 8, v7
	s_movk_i32 s15, 0x80
	v_and_or_b32 v10, v7, s15, v8
.LBB47_1080:
	s_or_b64 exec, exec, s[44:45]
.LBB47_1081:
	s_or_b64 exec, exec, s[40:41]
	global_store_byte v[0:1], v10, off
.LBB47_1082:
	s_mov_b64 s[40:41], -1
.LBB47_1083:
	s_mov_b64 s[42:43], 0
.LBB47_1084:
	s_and_b64 vcc, exec, s[42:43]
	s_cbranch_vccz .LBB47_1125
; %bb.1085:
	v_mov_b32_e32 v7, 22
	v_cmp_gt_i16_sdwa s[44:45], v2, v7 src0_sel:BYTE_0 src1_sel:DWORD
	s_mov_b64 s[42:43], -1
	s_and_b64 vcc, exec, s[44:45]
	s_cbranch_vccz .LBB47_1117
; %bb.1086:
	v_mov_b32_e32 v7, 24
	v_cmp_lt_i16_sdwa s[42:43], v2, v7 src0_sel:BYTE_0 src1_sel:DWORD
	s_mov_b64 s[40:41], -1
	s_and_b64 vcc, exec, s[42:43]
	s_cbranch_vccnz .LBB47_1106
; %bb.1087:
	v_cmp_gt_i16_sdwa s[42:43], v2, v7 src0_sel:BYTE_0 src1_sel:DWORD
	s_and_b64 vcc, exec, s[42:43]
	s_cbranch_vccz .LBB47_1095
; %bb.1088:
	v_lshlrev_b32_e32 v9, 16, v6
	v_and_b32_e32 v8, 0x7fffffff, v9
	s_mov_b32 s15, 0x47800000
	v_cmp_gt_u32_e32 vcc, s15, v8
	v_mov_b32_e32 v10, 0x80
	s_and_saveexec_b64 s[40:41], vcc
	s_cbranch_execz .LBB47_1094
; %bb.1089:
	s_mov_b32 s15, 0x37ffffff
	v_and_b32_e32 v7, 0xffff, v6
	v_cmp_lt_u32_e32 vcc, s15, v8
	s_mov_b64 s[42:43], 0
                                        ; implicit-def: $vgpr8
	s_and_saveexec_b64 s[44:45], vcc
	s_xor_b64 s[44:45], exec, s[44:45]
	s_cbranch_execz .LBB47_2212
; %bb.1090:
	v_bfe_u32 v8, v7, 5, 1
	s_mov_b32 s15, 0x88fffff
	v_add3_u32 v8, v9, v8, s15
	s_mov_b64 s[42:43], exec
	v_lshrrev_b32_e32 v8, 21, v8
                                        ; implicit-def: $vgpr9
	s_or_saveexec_b64 s[44:45], s[44:45]
                                        ; implicit-def: $sgpr15
	s_xor_b64 exec, exec, s[44:45]
	s_cbranch_execnz .LBB47_2213
.LBB47_1091:
	s_or_b64 exec, exec, s[44:45]
	v_mov_b32_e32 v10, s15
	s_and_saveexec_b64 s[44:45], s[42:43]
.LBB47_1092:
	v_lshrrev_b32_e32 v7, 8, v7
	s_movk_i32 s15, 0x80
	v_and_or_b32 v10, v7, s15, v8
.LBB47_1093:
	s_or_b64 exec, exec, s[44:45]
.LBB47_1094:
	s_or_b64 exec, exec, s[40:41]
	s_mov_b64 s[40:41], 0
	global_store_byte v[0:1], v10, off
.LBB47_1095:
	s_and_b64 vcc, exec, s[40:41]
	s_cbranch_vccz .LBB47_1105
; %bb.1096:
	v_lshlrev_b32_e32 v9, 16, v6
	v_and_b32_e32 v10, 0x7fffffff, v9
	s_mov_b32 s15, 0x43f00000
	v_and_b32_e32 v7, 0xffff, v6
	v_cmp_gt_u32_e32 vcc, s15, v10
                                        ; implicit-def: $vgpr8
	s_and_saveexec_b64 s[40:41], vcc
	s_xor_b64 s[40:41], exec, s[40:41]
	s_cbranch_execz .LBB47_1102
; %bb.1097:
	s_mov_b32 s15, 0x3c7fffff
	v_cmp_lt_u32_e32 vcc, s15, v10
                                        ; implicit-def: $vgpr8
	s_and_saveexec_b64 s[42:43], vcc
	s_xor_b64 s[42:43], exec, s[42:43]
; %bb.1098:
	v_bfe_u32 v8, v7, 4, 1
	s_mov_b32 s15, 0x407ffff
	v_add3_u32 v8, v9, v8, s15
	v_lshrrev_b32_e32 v9, 20, v8
	v_and_b32_e32 v8, 0xff00000, v8
	s_mov_b32 s15, 0x7f00000
	v_mov_b32_e32 v10, 0x7e
	v_cmp_ne_u32_e32 vcc, s15, v8
	v_cndmask_b32_e32 v8, v10, v9, vcc
                                        ; implicit-def: $vgpr9
; %bb.1099:
	s_andn2_saveexec_b64 s[42:43], s[42:43]
; %bb.1100:
	s_mov_b32 s15, 0x46800000
	v_add_f32_e64 v8, |v9|, s15
; %bb.1101:
	s_or_b64 exec, exec, s[42:43]
                                        ; implicit-def: $vgpr10
.LBB47_1102:
	s_andn2_saveexec_b64 s[40:41], s[40:41]
; %bb.1103:
	s_mov_b32 s15, 0x7f800000
	v_mov_b32_e32 v8, 0x7e
	v_mov_b32_e32 v9, 0x7f
	v_cmp_lt_u32_e32 vcc, s15, v10
	v_cndmask_b32_e32 v8, v8, v9, vcc
; %bb.1104:
	s_or_b64 exec, exec, s[40:41]
	v_lshrrev_b32_e32 v7, 8, v7
	s_movk_i32 s15, 0x80
	v_and_or_b32 v7, v7, s15, v8
	global_store_byte v[0:1], v7, off
.LBB47_1105:
	s_mov_b64 s[40:41], 0
.LBB47_1106:
	s_andn2_b64 vcc, exec, s[40:41]
	s_cbranch_vccnz .LBB47_1116
; %bb.1107:
	v_lshlrev_b32_e32 v9, 16, v6
	v_and_b32_e32 v10, 0x7fffffff, v9
	s_mov_b32 s15, 0x47800000
	v_and_b32_e32 v7, 0xffff, v6
	v_cmp_gt_u32_e32 vcc, s15, v10
                                        ; implicit-def: $vgpr8
	s_and_saveexec_b64 s[40:41], vcc
	s_xor_b64 s[40:41], exec, s[40:41]
	s_cbranch_execz .LBB47_1113
; %bb.1108:
	s_mov_b32 s15, 0x387fffff
	v_cmp_lt_u32_e32 vcc, s15, v10
                                        ; implicit-def: $vgpr8
	s_and_saveexec_b64 s[42:43], vcc
	s_xor_b64 s[42:43], exec, s[42:43]
; %bb.1109:
	v_bfe_u32 v8, v7, 5, 1
	s_mov_b32 s15, 0x80fffff
	v_add3_u32 v8, v9, v8, s15
	v_lshrrev_b32_e32 v8, 21, v8
                                        ; implicit-def: $vgpr9
; %bb.1110:
	s_andn2_saveexec_b64 s[42:43], s[42:43]
; %bb.1111:
	s_mov_b32 s15, 0x43000000
	v_add_f32_e64 v8, |v9|, s15
; %bb.1112:
	s_or_b64 exec, exec, s[42:43]
                                        ; implicit-def: $vgpr10
.LBB47_1113:
	s_andn2_saveexec_b64 s[40:41], s[40:41]
; %bb.1114:
	s_mov_b32 s15, 0x7f800000
	v_mov_b32_e32 v8, 0x7c
	v_mov_b32_e32 v9, 0x7f
	v_cmp_lt_u32_e32 vcc, s15, v10
	v_cndmask_b32_e32 v8, v8, v9, vcc
; %bb.1115:
	s_or_b64 exec, exec, s[40:41]
	v_lshrrev_b32_e32 v7, 8, v7
	s_movk_i32 s15, 0x80
	v_and_or_b32 v7, v7, s15, v8
	global_store_byte v[0:1], v7, off
.LBB47_1116:
	s_mov_b64 s[42:43], 0
	s_mov_b64 s[40:41], -1
.LBB47_1117:
	s_andn2_b64 vcc, exec, s[42:43]
	s_cbranch_vccnz .LBB47_1125
; %bb.1118:
	v_mov_b32_e32 v7, 14
	v_cmp_gt_i16_sdwa s[44:45], v2, v7 src0_sel:BYTE_0 src1_sel:DWORD
	s_mov_b64 s[42:43], -1
	s_and_b64 vcc, exec, s[44:45]
	s_cbranch_vccz .LBB47_1122
; %bb.1119:
	v_mov_b32_e32 v7, 15
	v_cmp_eq_u16_sdwa s[42:43], v2, v7 src0_sel:BYTE_0 src1_sel:DWORD
	s_mov_b64 s[0:1], -1
	s_and_b64 vcc, exec, s[42:43]
	s_cbranch_vccz .LBB47_1121
; %bb.1120:
	global_store_short v[0:1], v6, off
	s_mov_b64 s[40:41], -1
	s_mov_b64 s[0:1], 0
.LBB47_1121:
	s_mov_b64 s[42:43], 0
.LBB47_1122:
	s_and_b64 vcc, exec, s[42:43]
	s_cbranch_vccz .LBB47_1125
; %bb.1123:
	v_mov_b32_e32 v7, 11
	v_cmp_eq_u16_sdwa s[42:43], v2, v7 src0_sel:BYTE_0 src1_sel:DWORD
	s_mov_b64 s[0:1], -1
	s_and_b64 vcc, exec, s[42:43]
	s_cbranch_vccz .LBB47_1125
; %bb.1124:
	v_and_b32_e32 v7, 0x7fff, v6
	v_cmp_ne_u16_e32 vcc, 0, v7
	v_cndmask_b32_e64 v7, 0, 1, vcc
	s_mov_b64 s[40:41], -1
	s_mov_b64 s[0:1], 0
	global_store_byte v[0:1], v7, off
.LBB47_1125:
	s_mov_b64 s[42:43], 0
.LBB47_1126:
	s_and_b64 vcc, exec, s[42:43]
	s_cbranch_vccz .LBB47_1165
; %bb.1127:
	v_mov_b32_e32 v7, 5
	v_cmp_lt_i16_sdwa s[42:43], v2, v7 src0_sel:BYTE_0 src1_sel:DWORD
	s_mov_b64 s[40:41], -1
	s_and_b64 vcc, exec, s[42:43]
	s_cbranch_vccnz .LBB47_1148
; %bb.1128:
	v_mov_b32_e32 v7, 8
	v_cmp_lt_i16_sdwa s[42:43], v2, v7 src0_sel:BYTE_0 src1_sel:DWORD
	s_and_b64 vcc, exec, s[42:43]
	s_cbranch_vccnz .LBB47_1138
; %bb.1129:
	v_mov_b32_e32 v7, 9
	v_cmp_lt_i16_sdwa s[42:43], v2, v7 src0_sel:BYTE_0 src1_sel:DWORD
	s_and_b64 vcc, exec, s[42:43]
	s_cbranch_vccnz .LBB47_1135
; %bb.1130:
	v_cmp_gt_i16_sdwa s[42:43], v2, v7 src0_sel:BYTE_0 src1_sel:DWORD
	s_and_b64 vcc, exec, s[42:43]
	s_cbranch_vccz .LBB47_1132
; %bb.1131:
	v_lshlrev_b32_e32 v7, 16, v6
	v_mov_b32_e32 v10, 0
	v_cvt_f64_f32_e32 v[8:9], v7
	v_mov_b32_e32 v11, v10
	s_mov_b64 s[40:41], 0
	global_store_dwordx4 v[0:1], v[8:11], off
.LBB47_1132:
	s_andn2_b64 vcc, exec, s[40:41]
	s_cbranch_vccnz .LBB47_1134
; %bb.1133:
	v_lshlrev_b32_e32 v8, 16, v6
	v_mov_b32_e32 v9, 0
	global_store_dwordx2 v[0:1], v[8:9], off
.LBB47_1134:
	s_mov_b64 s[40:41], 0
.LBB47_1135:
	s_andn2_b64 vcc, exec, s[40:41]
	s_cbranch_vccnz .LBB47_1137
; %bb.1136:
	v_lshlrev_b32_e32 v7, 16, v6
	v_cvt_f16_f32_e32 v7, v7
	global_store_dword v[0:1], v7, off
.LBB47_1137:
	s_mov_b64 s[40:41], 0
.LBB47_1138:
	s_andn2_b64 vcc, exec, s[40:41]
	s_cbranch_vccnz .LBB47_1147
; %bb.1139:
	v_mov_b32_e32 v7, 6
	v_cmp_lt_i16_sdwa s[42:43], v2, v7 src0_sel:BYTE_0 src1_sel:DWORD
	s_mov_b64 s[40:41], -1
	s_and_b64 vcc, exec, s[42:43]
	s_cbranch_vccnz .LBB47_1145
; %bb.1140:
	v_cmp_gt_i16_sdwa s[42:43], v2, v7 src0_sel:BYTE_0 src1_sel:DWORD
	s_and_b64 vcc, exec, s[42:43]
	s_cbranch_vccz .LBB47_1142
; %bb.1141:
	v_lshlrev_b32_e32 v7, 16, v6
	v_cvt_f64_f32_e32 v[8:9], v7
	s_mov_b64 s[40:41], 0
	global_store_dwordx2 v[0:1], v[8:9], off
.LBB47_1142:
	s_andn2_b64 vcc, exec, s[40:41]
	s_cbranch_vccnz .LBB47_1144
; %bb.1143:
	v_lshlrev_b32_e32 v7, 16, v6
	global_store_dword v[0:1], v7, off
.LBB47_1144:
	s_mov_b64 s[40:41], 0
.LBB47_1145:
	s_andn2_b64 vcc, exec, s[40:41]
	s_cbranch_vccnz .LBB47_1147
; %bb.1146:
	v_lshlrev_b32_e32 v7, 16, v6
	v_cvt_f16_f32_e32 v7, v7
	global_store_short v[0:1], v7, off
.LBB47_1147:
	s_mov_b64 s[40:41], 0
.LBB47_1148:
	s_andn2_b64 vcc, exec, s[40:41]
	s_cbranch_vccnz .LBB47_1164
; %bb.1149:
	v_mov_b32_e32 v7, 2
	v_cmp_lt_i16_sdwa s[42:43], v2, v7 src0_sel:BYTE_0 src1_sel:DWORD
	s_mov_b64 s[40:41], -1
	s_and_b64 vcc, exec, s[42:43]
	s_cbranch_vccnz .LBB47_1159
; %bb.1150:
	v_mov_b32_e32 v7, 3
	v_cmp_lt_i16_sdwa s[42:43], v2, v7 src0_sel:BYTE_0 src1_sel:DWORD
	s_and_b64 vcc, exec, s[42:43]
	s_cbranch_vccnz .LBB47_1156
; %bb.1151:
	v_cmp_gt_i16_sdwa s[42:43], v2, v7 src0_sel:BYTE_0 src1_sel:DWORD
	s_and_b64 vcc, exec, s[42:43]
	s_cbranch_vccz .LBB47_1153
; %bb.1152:
	v_lshlrev_b32_e32 v7, 16, v6
	v_trunc_f32_e32 v7, v7
	s_mov_b32 s15, 0x2f800000
	v_mul_f32_e64 v8, |v7|, s15
	v_floor_f32_e32 v8, v8
	s_mov_b32 s15, 0xcf800000
	v_cvt_u32_f32_e32 v9, v8
	v_fma_f32 v8, v8, s15, |v7|
	v_cvt_u32_f32_e32 v8, v8
	v_ashrrev_i32_e32 v7, 31, v7
	v_xor_b32_e32 v9, v9, v7
	s_mov_b64 s[40:41], 0
	v_xor_b32_e32 v8, v8, v7
	v_sub_co_u32_e32 v8, vcc, v8, v7
	v_subb_co_u32_e32 v9, vcc, v9, v7, vcc
	global_store_dwordx2 v[0:1], v[8:9], off
.LBB47_1153:
	s_andn2_b64 vcc, exec, s[40:41]
	s_cbranch_vccnz .LBB47_1155
; %bb.1154:
	v_lshlrev_b32_e32 v7, 16, v6
	v_cvt_i32_f32_e32 v7, v7
	global_store_dword v[0:1], v7, off
.LBB47_1155:
	s_mov_b64 s[40:41], 0
.LBB47_1156:
	s_andn2_b64 vcc, exec, s[40:41]
	s_cbranch_vccnz .LBB47_1158
; %bb.1157:
	v_lshlrev_b32_e32 v7, 16, v6
	v_cvt_i32_f32_e32 v7, v7
	global_store_short v[0:1], v7, off
.LBB47_1158:
	s_mov_b64 s[40:41], 0
.LBB47_1159:
	s_andn2_b64 vcc, exec, s[40:41]
	s_cbranch_vccnz .LBB47_1164
; %bb.1160:
	v_mov_b32_e32 v7, 0
	v_cmp_gt_i16_sdwa s[42:43], v2, v7 src0_sel:BYTE_0 src1_sel:DWORD
	s_mov_b64 s[40:41], -1
	s_and_b64 vcc, exec, s[42:43]
	v_lshlrev_b32_e32 v6, 16, v6
	s_cbranch_vccz .LBB47_1162
; %bb.1161:
	v_cvt_i32_f32_e32 v7, v6
	s_mov_b64 s[40:41], 0
	global_store_byte v[0:1], v7, off
.LBB47_1162:
	s_andn2_b64 vcc, exec, s[40:41]
	s_cbranch_vccnz .LBB47_1164
; %bb.1163:
	v_trunc_f32_e32 v6, v6
	s_mov_b32 s15, 0x2f800000
	v_mul_f32_e64 v7, |v6|, s15
	v_floor_f32_e32 v7, v7
	s_mov_b32 s15, 0xcf800000
	v_fma_f32 v7, v7, s15, |v6|
	v_cvt_u32_f32_e32 v7, v7
	v_ashrrev_i32_e32 v6, 31, v6
	v_xor_b32_e32 v7, v7, v6
	v_sub_u32_e32 v6, v7, v6
	global_store_byte v[0:1], v6, off
.LBB47_1164:
	s_mov_b64 s[40:41], -1
.LBB47_1165:
	s_andn2_b64 vcc, exec, s[40:41]
	s_cbranch_vccnz .LBB47_1178
; %bb.1166:
	v_add_u32_e32 v3, 0x80, v3
	s_mov_b64 s[42:43], -1
.LBB47_1167:
	s_andn2_b64 s[40:41], s[28:29], exec
	s_and_b64 s[0:1], s[0:1], exec
	s_or_b64 s[40:41], s[40:41], s[0:1]
	s_andn2_b64 s[0:1], s[26:27], exec
	s_and_b64 s[38:39], s[38:39], exec
	s_or_b64 s[38:39], s[0:1], s[38:39]
	;; [unrolled: 3-line block ×3, first 2 shown]
	s_orn2_b64 s[46:47], s[42:43], exec
.LBB47_1168:
	s_or_b64 exec, exec, s[34:35]
	s_mov_b64 s[42:43], 0
	s_mov_b64 s[36:37], 0
	;; [unrolled: 1-line block ×3, first 2 shown]
                                        ; implicit-def: $vgpr7
                                        ; implicit-def: $vgpr0_vgpr1
                                        ; implicit-def: $vgpr6
	s_and_saveexec_b64 s[34:35], s[46:47]
	s_cbranch_execz .LBB47_1252
; %bb.1169:
	v_cmp_gt_i32_e32 vcc, s33, v3
	s_mov_b64 s[46:47], 0
	s_mov_b64 s[48:49], s[0:1]
	s_mov_b64 s[50:51], 0
	s_mov_b64 s[52:53], 0
                                        ; implicit-def: $vgpr7
                                        ; implicit-def: $vgpr0_vgpr1
                                        ; implicit-def: $vgpr6
	s_and_saveexec_b64 s[36:37], vcc
	s_cbranch_execz .LBB47_1251
; %bb.1170:
	v_mul_lo_u32 v0, v3, s13
	v_ashrrev_i32_e32 v1, 31, v0
	s_waitcnt vmcnt(0)
	v_mov_b32_e32 v6, s11
	v_add_co_u32_e32 v0, vcc, s10, v0
	v_addc_co_u32_e32 v1, vcc, v6, v1, vcc
	v_and_b32_e32 v7, 0xff, v5
	v_cmp_gt_i16_e32 vcc, 11, v7
	s_cbranch_vccnz .LBB47_1177
; %bb.1171:
	v_cmp_lt_i16_e32 vcc, 25, v7
	s_cbranch_vccz .LBB47_1179
; %bb.1172:
	v_cmp_lt_i16_e32 vcc, 28, v7
	s_cbranch_vccz .LBB47_1180
	;; [unrolled: 3-line block ×4, first 2 shown]
; %bb.1175:
	v_cmp_eq_u16_e32 vcc, 46, v7
	s_mov_b64 s[48:49], 0
	s_cbranch_vccz .LBB47_1185
; %bb.1176:
	global_load_dword v6, v[0:1], off
	s_mov_b64 s[46:47], -1
	s_branch .LBB47_1187
.LBB47_1177:
	s_mov_b64 s[48:49], -1
                                        ; implicit-def: $vgpr6
	s_mov_b64 s[42:43], s[0:1]
	s_branch .LBB47_1250
.LBB47_1178:
	s_mov_b64 s[42:43], 0
	s_branch .LBB47_918
.LBB47_1179:
	s_mov_b64 s[48:49], -1
	s_mov_b64 s[42:43], s[0:1]
                                        ; implicit-def: $vgpr6
	s_branch .LBB47_1216
.LBB47_1180:
	s_mov_b64 s[48:49], -1
	s_mov_b64 s[42:43], s[0:1]
                                        ; implicit-def: $vgpr6
	s_branch .LBB47_1197
.LBB47_1181:
	s_mov_b64 s[48:49], -1
	s_mov_b64 s[42:43], s[0:1]
                                        ; implicit-def: $vgpr6
	s_branch .LBB47_1192
.LBB47_1182:
	s_mov_b64 s[48:49], -1
	s_mov_b64 s[42:43], s[0:1]
	s_branch .LBB47_1186
.LBB47_1183:
	s_or_saveexec_b64 s[44:45], s[44:45]
                                        ; implicit-def: $sgpr15
	s_xor_b64 exec, exec, s[44:45]
	s_cbranch_execz .LBB47_1078
.LBB47_1184:
	s_mov_b32 s15, 0x46000000
	v_add_f32_e64 v8, |v9|, s15
	v_and_b32_e32 v8, 0xff, v8
	v_cmp_ne_u32_e32 vcc, 0, v8
	s_andn2_b64 s[42:43], s[42:43], exec
	s_and_b64 s[46:47], vcc, exec
	s_mov_b32 s15, 0
	s_or_b64 s[42:43], s[42:43], s[46:47]
	s_or_b64 exec, exec, s[44:45]
	v_mov_b32_e32 v10, s15
	s_and_saveexec_b64 s[44:45], s[42:43]
	s_cbranch_execnz .LBB47_1079
	s_branch .LBB47_1080
.LBB47_1185:
	s_mov_b64 s[42:43], -1
.LBB47_1186:
                                        ; implicit-def: $vgpr6
.LBB47_1187:
	s_and_b64 vcc, exec, s[48:49]
	s_cbranch_vccz .LBB47_1191
; %bb.1188:
	v_cmp_eq_u16_e32 vcc, 44, v7
	s_cbranch_vccz .LBB47_1190
; %bb.1189:
	global_load_ubyte v5, v[0:1], off
	s_movk_i32 s15, 0xff
	s_waitcnt vmcnt(1)
	v_mov_b32_e32 v6, 0x7f800001
	v_mov_b32_e32 v8, 0x400000
	;; [unrolled: 1-line block ×3, first 2 shown]
	s_mov_b64 s[42:43], 0
	s_mov_b64 s[46:47], -1
	s_waitcnt vmcnt(0)
	v_lshlrev_b32_e32 v10, 23, v5
	v_cmp_ne_u32_e32 vcc, s15, v5
	v_cndmask_b32_e32 v6, v6, v10, vcc
	v_cmp_ne_u32_e32 vcc, 0, v5
	v_cndmask_b32_e32 v5, v8, v6, vcc
	v_add_u32_e32 v6, 0x7fff, v5
	v_lshrrev_b32_e32 v6, 16, v6
	v_cmp_o_f32_e32 vcc, v5, v5
	v_cndmask_b32_e32 v6, v9, v6, vcc
	s_branch .LBB47_1191
.LBB47_1190:
	s_mov_b64 s[42:43], -1
                                        ; implicit-def: $vgpr6
.LBB47_1191:
	s_mov_b64 s[48:49], 0
.LBB47_1192:
	s_and_b64 vcc, exec, s[48:49]
	s_cbranch_vccz .LBB47_1196
; %bb.1193:
	v_cmp_eq_u16_e32 vcc, 29, v7
	s_cbranch_vccz .LBB47_1195
; %bb.1194:
	global_load_dwordx2 v[8:9], v[0:1], off
	s_movk_i32 s15, 0x7fff
	s_mov_b64 s[42:43], 0
	s_mov_b64 s[46:47], -1
	s_mov_b64 s[48:49], 0
	s_waitcnt vmcnt(0)
	v_ffbh_u32_e32 v5, v9
	v_min_u32_e32 v5, 32, v5
	v_lshlrev_b64 v[8:9], v5, v[8:9]
	v_min_u32_e32 v6, 1, v8
	v_or_b32_e32 v6, v9, v6
	v_cvt_f32_u32_e32 v6, v6
	v_sub_u32_e32 v5, 32, v5
	v_ldexp_f32 v5, v6, v5
	v_bfe_u32 v6, v5, 16, 1
	v_add3_u32 v5, v5, v6, s15
	v_lshrrev_b32_e32 v6, 16, v5
	s_branch .LBB47_1197
.LBB47_1195:
	s_mov_b64 s[42:43], -1
                                        ; implicit-def: $vgpr6
.LBB47_1196:
	s_mov_b64 s[48:49], 0
.LBB47_1197:
	s_and_b64 vcc, exec, s[48:49]
	s_cbranch_vccz .LBB47_1215
; %bb.1198:
	v_cmp_gt_i16_e32 vcc, 27, v7
	s_cbranch_vccnz .LBB47_1201
; %bb.1199:
	v_cmp_lt_i16_e32 vcc, 27, v7
	s_cbranch_vccz .LBB47_1202
; %bb.1200:
	global_load_dword v5, v[0:1], off
	s_movk_i32 s15, 0x7fff
	s_mov_b64 s[46:47], 0
	s_waitcnt vmcnt(0)
	v_cvt_f32_u32_e32 v5, v5
	v_bfe_u32 v6, v5, 16, 1
	v_add3_u32 v5, v5, v6, s15
	v_lshrrev_b32_e32 v6, 16, v5
	s_branch .LBB47_1203
.LBB47_1201:
	s_mov_b64 s[46:47], -1
                                        ; implicit-def: $vgpr6
	s_branch .LBB47_1206
.LBB47_1202:
	s_mov_b64 s[46:47], -1
                                        ; implicit-def: $vgpr6
.LBB47_1203:
	s_andn2_b64 vcc, exec, s[46:47]
	s_cbranch_vccnz .LBB47_1205
; %bb.1204:
	global_load_ushort v5, v[0:1], off
	s_movk_i32 s15, 0x7fff
	s_waitcnt vmcnt(0)
	v_cvt_f32_u32_e32 v5, v5
	v_bfe_u32 v6, v5, 16, 1
	v_add3_u32 v5, v5, v6, s15
	v_lshrrev_b32_e32 v6, 16, v5
.LBB47_1205:
	s_mov_b64 s[46:47], 0
.LBB47_1206:
	s_andn2_b64 vcc, exec, s[46:47]
	s_cbranch_vccnz .LBB47_1214
; %bb.1207:
	global_load_ubyte v5, v[0:1], off
	s_movk_i32 s15, 0x7f
	s_mov_b64 s[46:47], 0
	s_waitcnt vmcnt(0)
	v_cmp_lt_i16_e32 vcc, s15, v5
                                        ; implicit-def: $sgpr15
	s_and_saveexec_b64 s[48:49], vcc
	s_xor_b64 s[48:49], exec, s[48:49]
	s_cbranch_execz .LBB47_1228
; %bb.1208:
	s_movk_i32 s15, 0x80
	v_cmp_eq_u16_e32 vcc, s15, v5
	s_mov_b64 s[46:47], -1
                                        ; implicit-def: $sgpr15
	s_and_saveexec_b64 s[50:51], vcc
; %bb.1209:
	s_mov_b32 s15, 0x7f800001
	s_xor_b64 s[46:47], exec, -1
; %bb.1210:
	s_or_b64 exec, exec, s[50:51]
	s_and_b64 s[46:47], s[46:47], exec
	s_or_saveexec_b64 s[48:49], s[48:49]
	v_mov_b32_e32 v6, s15
	s_xor_b64 exec, exec, s[48:49]
	s_cbranch_execnz .LBB47_1229
.LBB47_1211:
	s_or_b64 exec, exec, s[48:49]
	s_and_saveexec_b64 s[48:49], s[46:47]
	s_cbranch_execz .LBB47_1213
.LBB47_1212:
	v_lshlrev_b32_e32 v6, 24, v5
	v_and_b32_e32 v5, 0xffff, v5
	v_and_b32_e32 v8, 7, v5
	v_ffbh_u32_e32 v10, v8
	v_min_u32_e32 v10, 32, v10
	v_subrev_u32_e32 v11, 28, v10
	v_bfe_u32 v9, v5, 3, 4
	v_lshlrev_b32_e32 v5, v11, v5
	v_sub_u32_e32 v10, 29, v10
	v_and_b32_e32 v5, 7, v5
	v_cmp_eq_u32_e32 vcc, 0, v9
	v_cndmask_b32_e32 v9, v9, v10, vcc
	v_cndmask_b32_e32 v5, v8, v5, vcc
	v_mov_b32_e32 v8, 0x3b800000
	v_lshlrev_b32_e32 v5, 20, v5
	v_and_b32_e32 v6, 0x80000000, v6
	v_lshl_add_u32 v8, v9, 23, v8
	v_or3_b32 v6, v6, v8, v5
.LBB47_1213:
	s_or_b64 exec, exec, s[48:49]
	v_bfe_u32 v5, v6, 16, 1
	s_movk_i32 s15, 0x7fff
	v_add3_u32 v5, v6, v5, s15
	v_lshrrev_b32_e32 v5, 16, v5
	v_mov_b32_e32 v8, 0x7fc0
	v_cmp_o_f32_e32 vcc, v6, v6
	v_cndmask_b32_e32 v6, v8, v5, vcc
.LBB47_1214:
	s_mov_b64 s[46:47], -1
.LBB47_1215:
	s_mov_b64 s[48:49], 0
.LBB47_1216:
	s_and_b64 vcc, exec, s[48:49]
	s_cbranch_vccz .LBB47_1249
; %bb.1217:
	v_cmp_lt_i16_e32 vcc, 22, v7
	s_cbranch_vccz .LBB47_1227
; %bb.1218:
	v_cmp_gt_i16_e32 vcc, 24, v7
	s_cbranch_vccnz .LBB47_1230
; %bb.1219:
	v_cmp_lt_i16_e32 vcc, 24, v7
	s_cbranch_vccz .LBB47_1231
; %bb.1220:
	global_load_ubyte v5, v[0:1], off
	s_movk_i32 s15, 0x7f
	s_waitcnt vmcnt(0)
	v_cmp_lt_i16_e32 vcc, s15, v5
                                        ; implicit-def: $sgpr15
	s_and_saveexec_b64 s[46:47], vcc
	s_xor_b64 s[46:47], exec, s[46:47]
	s_cbranch_execz .LBB47_1243
; %bb.1221:
	s_movk_i32 s15, 0x80
	v_cmp_eq_u16_e32 vcc, s15, v5
	s_mov_b64 s[44:45], -1
                                        ; implicit-def: $sgpr15
	s_and_saveexec_b64 s[48:49], vcc
; %bb.1222:
	s_mov_b32 s15, 0x7f800001
	s_xor_b64 s[44:45], exec, -1
; %bb.1223:
	s_or_b64 exec, exec, s[48:49]
	s_and_b64 s[44:45], s[44:45], exec
	s_or_saveexec_b64 s[46:47], s[46:47]
	v_mov_b32_e32 v6, s15
	s_xor_b64 exec, exec, s[46:47]
	s_cbranch_execnz .LBB47_1244
.LBB47_1224:
	s_or_b64 exec, exec, s[46:47]
	s_and_saveexec_b64 s[46:47], s[44:45]
	s_cbranch_execz .LBB47_1226
.LBB47_1225:
	v_lshlrev_b32_e32 v6, 24, v5
	v_and_b32_e32 v5, 0xffff, v5
	v_and_b32_e32 v8, 3, v5
	v_ffbh_u32_e32 v10, v8
	v_min_u32_e32 v10, 32, v10
	v_subrev_u32_e32 v11, 29, v10
	v_bfe_u32 v9, v5, 2, 5
	v_lshlrev_b32_e32 v5, v11, v5
	v_sub_u32_e32 v10, 30, v10
	v_and_b32_e32 v5, 3, v5
	v_cmp_eq_u32_e32 vcc, 0, v9
	v_cndmask_b32_e32 v9, v9, v10, vcc
	v_cndmask_b32_e32 v5, v8, v5, vcc
	v_mov_b32_e32 v8, 0x37800000
	v_lshlrev_b32_e32 v5, 21, v5
	v_and_b32_e32 v6, 0x80000000, v6
	v_lshl_add_u32 v8, v9, 23, v8
	v_or3_b32 v6, v6, v8, v5
.LBB47_1226:
	s_or_b64 exec, exec, s[46:47]
	v_bfe_u32 v5, v6, 16, 1
	s_movk_i32 s15, 0x7fff
	v_add3_u32 v5, v6, v5, s15
	v_lshrrev_b32_e32 v5, 16, v5
	v_mov_b32_e32 v8, 0x7fc0
	v_cmp_o_f32_e32 vcc, v6, v6
	v_cndmask_b32_e32 v6, v8, v5, vcc
	s_mov_b64 s[44:45], 0
	s_branch .LBB47_1232
.LBB47_1227:
	s_mov_b64 s[44:45], -1
                                        ; implicit-def: $vgpr6
	s_branch .LBB47_1238
.LBB47_1228:
	s_or_saveexec_b64 s[48:49], s[48:49]
	v_mov_b32_e32 v6, s15
	s_xor_b64 exec, exec, s[48:49]
	s_cbranch_execz .LBB47_1211
.LBB47_1229:
	v_cmp_ne_u16_e32 vcc, 0, v5
	s_andn2_b64 s[46:47], s[46:47], exec
	s_and_b64 s[50:51], vcc, exec
	v_mov_b32_e32 v6, 0
	s_or_b64 s[46:47], s[46:47], s[50:51]
	s_or_b64 exec, exec, s[48:49]
	s_and_saveexec_b64 s[48:49], s[46:47]
	s_cbranch_execnz .LBB47_1212
	s_branch .LBB47_1213
.LBB47_1230:
	s_mov_b64 s[44:45], -1
                                        ; implicit-def: $vgpr6
	s_branch .LBB47_1235
.LBB47_1231:
	s_mov_b64 s[44:45], -1
                                        ; implicit-def: $vgpr6
.LBB47_1232:
	s_and_b64 vcc, exec, s[44:45]
	s_cbranch_vccz .LBB47_1234
; %bb.1233:
	global_load_ubyte v5, v[0:1], off
	s_mov_b32 s15, 0x7f800000
	s_brev_b32 s33, 1
	s_movk_i32 s44, 0x7fff
	s_waitcnt vmcnt(1)
	v_mov_b32_e32 v6, 0x7fc0
	s_waitcnt vmcnt(0)
	v_lshlrev_b32_e32 v5, 24, v5
	v_and_b32_e32 v8, 0x7f000000, v5
	v_ffbh_u32_e32 v9, v8
	v_min_u32_e32 v9, 32, v9
	v_sub_u32_e64 v9, v9, 4 clamp
	v_lshlrev_b32_e32 v11, v9, v8
	v_lshlrev_b32_e32 v9, 23, v9
	v_lshrrev_b32_e32 v11, 4, v11
	v_add_u32_e32 v10, 0x1000000, v8
	v_sub_u32_e32 v9, v11, v9
	v_ashrrev_i32_e32 v10, 8, v10
	v_add_u32_e32 v9, 0x3c000000, v9
	v_and_or_b32 v9, v10, s15, v9
	v_cmp_ne_u32_e32 vcc, 0, v8
	v_cndmask_b32_e32 v8, 0, v9, vcc
	v_and_or_b32 v5, v5, s33, v8
	v_bfe_u32 v8, v8, 16, 1
	v_add3_u32 v8, v5, v8, s44
	v_lshrrev_b32_e32 v8, 16, v8
	v_cmp_o_f32_e32 vcc, v5, v5
	v_cndmask_b32_e32 v6, v6, v8, vcc
.LBB47_1234:
	s_mov_b64 s[44:45], 0
.LBB47_1235:
	s_andn2_b64 vcc, exec, s[44:45]
	s_cbranch_vccnz .LBB47_1237
; %bb.1236:
	global_load_ubyte v5, v[0:1], off
	s_movk_i32 s15, 0x7f00
	s_brev_b32 s33, 16
	s_brev_b32 s44, 1
	s_movk_i32 s45, 0x7fff
	s_waitcnt vmcnt(1)
	v_mov_b32_e32 v6, 0x7fc0
	s_waitcnt vmcnt(0)
	v_lshlrev_b16_e32 v8, 8, v5
	v_lshlrev_b32_e32 v5, 25, v5
	v_lshrrev_b32_e32 v9, 4, v5
	v_and_or_b32 v10, v8, s15, 0.5
	v_or_b32_e32 v9, 0x70000000, v9
	v_add_f32_e32 v10, -0.5, v10
	v_mul_f32_e32 v9, 0x7800000, v9
	v_cmp_gt_u32_e32 vcc, s33, v5
	v_bfe_i32 v8, v8, 0, 16
	v_cndmask_b32_e32 v5, v9, v10, vcc
	v_and_or_b32 v8, v8, s44, v5
	v_bfe_u32 v5, v5, 16, 1
	v_add3_u32 v5, v8, v5, s45
	v_lshrrev_b32_e32 v5, 16, v5
	v_cmp_o_f32_e32 vcc, v8, v8
	v_cndmask_b32_e32 v6, v6, v5, vcc
.LBB47_1237:
	s_mov_b64 s[44:45], 0
	s_mov_b64 s[46:47], -1
.LBB47_1238:
	s_andn2_b64 vcc, exec, s[44:45]
	s_mov_b64 s[44:45], 0
	s_cbranch_vccnz .LBB47_1249
; %bb.1239:
	v_cmp_lt_i16_e32 vcc, 14, v7
	s_cbranch_vccz .LBB47_1242
; %bb.1240:
	v_cmp_eq_u16_e32 vcc, 15, v7
	s_cbranch_vccz .LBB47_1245
; %bb.1241:
	global_load_ushort v6, v[0:1], off
	s_mov_b64 s[42:43], 0
	s_mov_b64 s[46:47], -1
	s_branch .LBB47_1246
.LBB47_1242:
	s_mov_b64 s[48:49], -1
                                        ; implicit-def: $vgpr6
	s_branch .LBB47_1247
.LBB47_1243:
	s_or_saveexec_b64 s[46:47], s[46:47]
	v_mov_b32_e32 v6, s15
	s_xor_b64 exec, exec, s[46:47]
	s_cbranch_execz .LBB47_1224
.LBB47_1244:
	v_cmp_ne_u16_e32 vcc, 0, v5
	s_andn2_b64 s[44:45], s[44:45], exec
	s_and_b64 s[48:49], vcc, exec
	v_mov_b32_e32 v6, 0
	s_or_b64 s[44:45], s[44:45], s[48:49]
	s_or_b64 exec, exec, s[46:47]
	s_and_saveexec_b64 s[46:47], s[44:45]
	s_cbranch_execnz .LBB47_1225
	s_branch .LBB47_1226
.LBB47_1245:
	s_mov_b64 s[42:43], -1
                                        ; implicit-def: $vgpr6
.LBB47_1246:
	s_mov_b64 s[48:49], 0
.LBB47_1247:
	s_and_b64 vcc, exec, s[48:49]
	s_cbranch_vccz .LBB47_1249
; %bb.1248:
	v_cmp_ne_u16_e32 vcc, 11, v7
	s_andn2_b64 s[42:43], s[42:43], exec
	s_and_b64 s[48:49], vcc, exec
	s_mov_b64 s[44:45], -1
	s_or_b64 s[42:43], s[42:43], s[48:49]
                                        ; implicit-def: $vgpr6
.LBB47_1249:
	s_mov_b64 s[48:49], 0
.LBB47_1250:
	s_and_b64 s[52:53], s[46:47], exec
	s_and_b64 s[46:47], s[44:45], exec
	s_andn2_b64 s[44:45], s[0:1], exec
	s_and_b64 s[42:43], s[42:43], exec
	s_and_b64 s[50:51], s[48:49], exec
	s_or_b64 s[48:49], s[44:45], s[42:43]
.LBB47_1251:
	s_or_b64 exec, exec, s[36:37]
	s_and_b64 s[42:43], s[46:47], exec
	s_andn2_b64 s[0:1], s[0:1], exec
	s_and_b64 s[46:47], s[48:49], exec
	s_and_b64 s[44:45], s[52:53], exec
	s_and_b64 s[36:37], s[50:51], exec
	s_or_b64 s[0:1], s[0:1], s[46:47]
.LBB47_1252:
	s_or_b64 exec, exec, s[34:35]
	s_andn2_b64 s[28:29], s[28:29], exec
	s_and_b64 s[34:35], s[40:41], exec
	s_or_b64 s[28:29], s[28:29], s[34:35]
	s_andn2_b64 s[26:27], s[26:27], exec
	s_and_b64 s[34:35], s[38:39], exec
	s_andn2_b64 s[24:25], s[24:25], exec
	s_and_b64 s[0:1], s[0:1], exec
	s_or_b64 s[26:27], s[26:27], s[34:35]
	s_and_b64 s[38:39], s[44:45], exec
	s_and_b64 s[36:37], s[36:37], exec
	;; [unrolled: 1-line block ×3, first 2 shown]
	s_or_b64 s[24:25], s[24:25], s[0:1]
.LBB47_1253:
	s_or_b64 exec, exec, s[30:31]
	s_andn2_b64 s[0:1], s[6:7], exec
	s_and_b64 s[6:7], s[28:29], exec
	s_or_b64 s[6:7], s[0:1], s[6:7]
	s_andn2_b64 s[0:1], s[18:19], exec
	s_and_b64 s[18:19], s[26:27], exec
	s_or_b64 s[18:19], s[0:1], s[18:19]
	s_andn2_b64 s[0:1], s[20:21], exec
	s_and_b64 s[20:21], s[24:25], exec
	s_and_b64 s[28:29], s[38:39], exec
	;; [unrolled: 1-line block ×4, first 2 shown]
	s_or_b64 s[20:21], s[0:1], s[20:21]
	s_or_b64 exec, exec, s[22:23]
	s_mov_b64 s[22:23], 0
	s_and_saveexec_b64 s[0:1], s[20:21]
	s_cbranch_execz .LBB47_395
.LBB47_1254:
	s_mov_b64 s[22:23], exec
	s_andn2_b64 s[26:27], s[26:27], exec
	s_trap 2
                                        ; implicit-def: $vgpr6
	s_or_b64 exec, exec, s[0:1]
	s_and_saveexec_b64 s[0:1], s[26:27]
	s_xor_b64 s[0:1], exec, s[0:1]
	s_cbranch_execnz .LBB47_396
.LBB47_1255:
	s_or_b64 exec, exec, s[0:1]
	s_and_saveexec_b64 s[0:1], s[30:31]
	s_cbranch_execz .LBB47_1301
.LBB47_1256:
	s_waitcnt vmcnt(0)
	v_cmp_gt_i16_e32 vcc, 5, v7
	s_cbranch_vccnz .LBB47_1261
; %bb.1257:
	v_cmp_gt_i16_e32 vcc, 8, v7
	s_cbranch_vccnz .LBB47_1262
; %bb.1258:
	;; [unrolled: 3-line block ×3, first 2 shown]
	v_cmp_lt_i16_e32 vcc, 9, v7
	s_cbranch_vccz .LBB47_1264
; %bb.1260:
	global_load_dwordx2 v[8:9], v[0:1], off
	s_movk_i32 s15, 0x7fff
	v_mov_b32_e32 v5, 0x7fc0
	s_mov_b64 s[20:21], 0
	s_waitcnt vmcnt(0)
	v_cvt_f32_f64_e32 v6, v[8:9]
	v_bfe_u32 v8, v6, 16, 1
	v_add3_u32 v8, v6, v8, s15
	v_lshrrev_b32_e32 v8, 16, v8
	v_cmp_o_f32_e32 vcc, v6, v6
	v_cndmask_b32_e32 v6, v5, v8, vcc
	s_branch .LBB47_1265
.LBB47_1261:
                                        ; implicit-def: $vgpr6
	s_branch .LBB47_1282
.LBB47_1262:
                                        ; implicit-def: $vgpr6
	s_branch .LBB47_1271
.LBB47_1263:
	s_mov_b64 s[20:21], -1
                                        ; implicit-def: $vgpr6
	s_branch .LBB47_1268
.LBB47_1264:
	s_mov_b64 s[20:21], -1
                                        ; implicit-def: $vgpr6
.LBB47_1265:
	s_andn2_b64 vcc, exec, s[20:21]
	s_cbranch_vccnz .LBB47_1267
; %bb.1266:
	global_load_dword v5, v[0:1], off
	s_movk_i32 s15, 0x7fff
	v_mov_b32_e32 v6, 0x7fc0
	s_waitcnt vmcnt(0)
	v_bfe_u32 v8, v5, 16, 1
	v_add3_u32 v8, v5, v8, s15
	v_lshrrev_b32_e32 v8, 16, v8
	v_cmp_o_f32_e32 vcc, v5, v5
	v_cndmask_b32_e32 v6, v6, v8, vcc
.LBB47_1267:
	s_mov_b64 s[20:21], 0
.LBB47_1268:
	s_andn2_b64 vcc, exec, s[20:21]
	s_cbranch_vccnz .LBB47_1270
; %bb.1269:
	global_load_dword v5, v[0:1], off
	s_movk_i32 s15, 0x7fff
	v_mov_b32_e32 v8, 0x7fc0
	s_waitcnt vmcnt(0)
	v_cvt_f32_f16_e32 v6, v5
	v_cmp_o_f16_e32 vcc, v5, v5
	v_bfe_u32 v9, v6, 16, 1
	v_add3_u32 v6, v6, v9, s15
	v_lshrrev_b32_e32 v6, 16, v6
	v_cndmask_b32_e32 v6, v8, v6, vcc
.LBB47_1270:
	s_cbranch_execnz .LBB47_1281
.LBB47_1271:
	v_cmp_gt_i16_e32 vcc, 6, v7
	s_cbranch_vccnz .LBB47_1274
; %bb.1272:
	v_cmp_lt_i16_e32 vcc, 6, v7
	s_cbranch_vccz .LBB47_1275
; %bb.1273:
	global_load_dwordx2 v[8:9], v[0:1], off
	s_movk_i32 s15, 0x7fff
	v_mov_b32_e32 v5, 0x7fc0
	s_mov_b64 s[20:21], 0
	s_waitcnt vmcnt(0)
	v_cvt_f32_f64_e32 v6, v[8:9]
	v_bfe_u32 v8, v6, 16, 1
	v_add3_u32 v8, v6, v8, s15
	v_lshrrev_b32_e32 v8, 16, v8
	v_cmp_o_f32_e32 vcc, v6, v6
	v_cndmask_b32_e32 v6, v5, v8, vcc
	s_branch .LBB47_1276
.LBB47_1274:
	s_mov_b64 s[20:21], -1
                                        ; implicit-def: $vgpr6
	s_branch .LBB47_1279
.LBB47_1275:
	s_mov_b64 s[20:21], -1
                                        ; implicit-def: $vgpr6
.LBB47_1276:
	s_andn2_b64 vcc, exec, s[20:21]
	s_cbranch_vccnz .LBB47_1278
; %bb.1277:
	global_load_dword v5, v[0:1], off
	s_movk_i32 s15, 0x7fff
	v_mov_b32_e32 v6, 0x7fc0
	s_waitcnt vmcnt(0)
	v_bfe_u32 v8, v5, 16, 1
	v_add3_u32 v8, v5, v8, s15
	v_lshrrev_b32_e32 v8, 16, v8
	v_cmp_o_f32_e32 vcc, v5, v5
	v_cndmask_b32_e32 v6, v6, v8, vcc
.LBB47_1278:
	s_mov_b64 s[20:21], 0
.LBB47_1279:
	s_andn2_b64 vcc, exec, s[20:21]
	s_cbranch_vccnz .LBB47_1281
; %bb.1280:
	global_load_ushort v5, v[0:1], off
	s_movk_i32 s15, 0x7fff
	v_mov_b32_e32 v8, 0x7fc0
	s_waitcnt vmcnt(0)
	v_cvt_f32_f16_e32 v6, v5
	v_cmp_o_f16_e32 vcc, v5, v5
	v_bfe_u32 v9, v6, 16, 1
	v_add3_u32 v6, v6, v9, s15
	v_lshrrev_b32_e32 v6, 16, v6
	v_cndmask_b32_e32 v6, v8, v6, vcc
.LBB47_1281:
	s_cbranch_execnz .LBB47_1300
.LBB47_1282:
	v_cmp_gt_i16_e32 vcc, 2, v7
	s_cbranch_vccnz .LBB47_1286
; %bb.1283:
	v_cmp_gt_i16_e32 vcc, 3, v7
	s_cbranch_vccnz .LBB47_1287
; %bb.1284:
	v_cmp_lt_i16_e32 vcc, 3, v7
	s_cbranch_vccz .LBB47_1288
; %bb.1285:
	global_load_dwordx2 v[8:9], v[0:1], off
	s_movk_i32 s15, 0x7fff
	s_mov_b64 s[20:21], 0
	s_waitcnt vmcnt(0)
	v_xor_b32_e32 v6, v8, v9
	v_ffbh_i32_e32 v5, v9
	v_ashrrev_i32_e32 v6, 31, v6
	v_add_u32_e32 v5, -1, v5
	v_add_u32_e32 v6, 32, v6
	v_min_u32_e32 v5, v5, v6
	v_lshlrev_b64 v[8:9], v5, v[8:9]
	v_min_u32_e32 v6, 1, v8
	v_or_b32_e32 v6, v9, v6
	v_cvt_f32_i32_e32 v6, v6
	v_sub_u32_e32 v5, 32, v5
	v_ldexp_f32 v5, v6, v5
	v_bfe_u32 v6, v5, 16, 1
	v_add3_u32 v5, v5, v6, s15
	v_lshrrev_b32_e32 v6, 16, v5
	s_branch .LBB47_1289
.LBB47_1286:
                                        ; implicit-def: $vgpr6
	s_branch .LBB47_1295
.LBB47_1287:
	s_mov_b64 s[20:21], -1
                                        ; implicit-def: $vgpr6
	s_branch .LBB47_1292
.LBB47_1288:
	s_mov_b64 s[20:21], -1
                                        ; implicit-def: $vgpr6
.LBB47_1289:
	s_andn2_b64 vcc, exec, s[20:21]
	s_cbranch_vccnz .LBB47_1291
; %bb.1290:
	global_load_dword v5, v[0:1], off
	s_movk_i32 s15, 0x7fff
	s_waitcnt vmcnt(0)
	v_cvt_f32_i32_e32 v5, v5
	v_bfe_u32 v6, v5, 16, 1
	v_add3_u32 v5, v5, v6, s15
	v_lshrrev_b32_e32 v6, 16, v5
.LBB47_1291:
	s_mov_b64 s[20:21], 0
.LBB47_1292:
	s_andn2_b64 vcc, exec, s[20:21]
	s_cbranch_vccnz .LBB47_1294
; %bb.1293:
	global_load_sshort v5, v[0:1], off
	s_movk_i32 s15, 0x7fff
	s_waitcnt vmcnt(0)
	v_cvt_f32_i32_e32 v5, v5
	v_bfe_u32 v6, v5, 16, 1
	v_add3_u32 v5, v5, v6, s15
	v_lshrrev_b32_e32 v6, 16, v5
.LBB47_1294:
	s_cbranch_execnz .LBB47_1300
.LBB47_1295:
	v_cmp_lt_i16_e32 vcc, 0, v7
	s_cbranch_vccz .LBB47_1297
; %bb.1296:
	global_load_sbyte v5, v[0:1], off
	s_movk_i32 s15, 0x7fff
	s_mov_b64 s[20:21], 0
	s_waitcnt vmcnt(0)
	v_cvt_f32_i32_e32 v5, v5
	v_bfe_u32 v6, v5, 16, 1
	v_add3_u32 v5, v5, v6, s15
	v_lshrrev_b32_e32 v6, 16, v5
	s_branch .LBB47_1298
.LBB47_1297:
	s_mov_b64 s[20:21], -1
                                        ; implicit-def: $vgpr6
.LBB47_1298:
	s_andn2_b64 vcc, exec, s[20:21]
	s_cbranch_vccnz .LBB47_1300
; %bb.1299:
	global_load_ubyte v0, v[0:1], off
	s_movk_i32 s15, 0x7fff
	s_waitcnt vmcnt(0)
	v_cvt_f32_ubyte0_e32 v0, v0
	v_bfe_u32 v1, v0, 16, 1
	v_add3_u32 v0, v0, v1, s15
	v_lshrrev_b32_e32 v6, 16, v0
.LBB47_1300:
	s_or_b64 s[28:29], s[28:29], exec
.LBB47_1301:
	s_or_b64 exec, exec, s[0:1]
	s_mov_b64 s[26:27], 0
	s_mov_b64 s[30:31], 0
	;; [unrolled: 1-line block ×3, first 2 shown]
                                        ; implicit-def: $vgpr5
                                        ; implicit-def: $vgpr0_vgpr1
                                        ; implicit-def: $vgpr7
	s_and_saveexec_b64 s[0:1], s[28:29]
	s_cbranch_execz .LBB47_1309
; %bb.1302:
	v_mul_lo_u32 v0, v3, s14
	v_ashrrev_i32_e32 v1, 31, v0
	v_mov_b32_e32 v5, s3
	v_add_co_u32_e32 v0, vcc, s2, v0
	v_addc_co_u32_e32 v1, vcc, v5, v1, vcc
	s_waitcnt vmcnt(0)
	v_and_b32_e32 v5, 0xff, v4
	v_cmp_gt_i16_e32 vcc, 11, v5
	s_cbranch_vccnz .LBB47_1312
; %bb.1303:
	v_cmp_lt_i16_e32 vcc, 25, v5
	s_cbranch_vccz .LBB47_1313
; %bb.1304:
	v_cmp_lt_i16_e32 vcc, 28, v5
	s_cbranch_vccz .LBB47_1314
	;; [unrolled: 3-line block ×4, first 2 shown]
; %bb.1307:
	v_cmp_eq_u16_e32 vcc, 46, v5
	s_mov_b64 s[28:29], 0
	s_cbranch_vccz .LBB47_1317
; %bb.1308:
	global_load_dword v7, v[0:1], off
	s_mov_b64 s[20:21], 0
	s_mov_b64 s[24:25], -1
	s_branch .LBB47_1319
.LBB47_1309:
	s_or_b64 exec, exec, s[0:1]
	s_and_saveexec_b64 s[0:1], s[18:19]
	s_cbranch_execnz .LBB47_1382
.LBB47_1310:
	s_or_b64 exec, exec, s[0:1]
	s_and_saveexec_b64 s[0:1], s[26:27]
	s_xor_b64 s[0:1], exec, s[0:1]
	s_cbranch_execz .LBB47_1383
.LBB47_1311:
	global_load_ubyte v4, v[0:1], off
	s_or_b64 s[24:25], s[24:25], exec
	s_waitcnt vmcnt(0)
	v_cmp_ne_u16_e32 vcc, 0, v4
	v_cndmask_b32_e64 v4, 0, 1.0, vcc
	v_lshrrev_b32_e32 v7, 16, v4
	s_or_b64 exec, exec, s[0:1]
	s_and_saveexec_b64 s[0:1], s[30:31]
	s_cbranch_execz .LBB47_1429
	s_branch .LBB47_1384
.LBB47_1312:
	s_mov_b64 s[28:29], -1
                                        ; implicit-def: $vgpr7
	s_mov_b64 s[20:21], s[18:19]
	s_branch .LBB47_1381
.LBB47_1313:
	s_mov_b64 s[20:21], s[18:19]
                                        ; implicit-def: $vgpr7
	s_cbranch_execnz .LBB47_1348
	s_branch .LBB47_1380
.LBB47_1314:
	s_mov_b64 s[28:29], -1
	s_mov_b64 s[20:21], s[18:19]
                                        ; implicit-def: $vgpr7
	s_branch .LBB47_1329
.LBB47_1315:
	s_mov_b64 s[28:29], -1
	s_mov_b64 s[20:21], s[18:19]
                                        ; implicit-def: $vgpr7
	s_branch .LBB47_1324
.LBB47_1316:
	s_mov_b64 s[28:29], -1
	s_mov_b64 s[20:21], s[18:19]
	s_branch .LBB47_1318
.LBB47_1317:
	s_mov_b64 s[20:21], -1
.LBB47_1318:
                                        ; implicit-def: $vgpr7
.LBB47_1319:
	s_and_b64 vcc, exec, s[28:29]
	s_cbranch_vccz .LBB47_1323
; %bb.1320:
	v_cmp_eq_u16_e32 vcc, 44, v5
	s_cbranch_vccz .LBB47_1322
; %bb.1321:
	global_load_ubyte v4, v[0:1], off
	s_movk_i32 s15, 0xff
	s_waitcnt vmcnt(1)
	v_mov_b32_e32 v7, 0x7f800001
	v_mov_b32_e32 v8, 0x400000
	v_mov_b32_e32 v9, 0x7fc0
	s_mov_b64 s[20:21], 0
	s_mov_b64 s[24:25], -1
	s_waitcnt vmcnt(0)
	v_lshlrev_b32_e32 v10, 23, v4
	v_cmp_ne_u32_e32 vcc, s15, v4
	v_cndmask_b32_e32 v7, v7, v10, vcc
	v_cmp_ne_u32_e32 vcc, 0, v4
	v_cndmask_b32_e32 v4, v8, v7, vcc
	v_add_u32_e32 v7, 0x7fff, v4
	v_lshrrev_b32_e32 v7, 16, v7
	v_cmp_o_f32_e32 vcc, v4, v4
	v_cndmask_b32_e32 v7, v9, v7, vcc
	s_branch .LBB47_1323
.LBB47_1322:
	s_mov_b64 s[20:21], -1
                                        ; implicit-def: $vgpr7
.LBB47_1323:
	s_mov_b64 s[28:29], 0
.LBB47_1324:
	s_and_b64 vcc, exec, s[28:29]
	s_cbranch_vccz .LBB47_1328
; %bb.1325:
	v_cmp_eq_u16_e32 vcc, 29, v5
	s_cbranch_vccz .LBB47_1327
; %bb.1326:
	global_load_dwordx2 v[8:9], v[0:1], off
	s_movk_i32 s15, 0x7fff
	s_mov_b64 s[20:21], 0
	s_mov_b64 s[24:25], -1
	s_mov_b64 s[28:29], 0
	s_waitcnt vmcnt(0)
	v_ffbh_u32_e32 v4, v9
	v_min_u32_e32 v4, 32, v4
	v_lshlrev_b64 v[8:9], v4, v[8:9]
	v_min_u32_e32 v7, 1, v8
	v_or_b32_e32 v7, v9, v7
	v_cvt_f32_u32_e32 v7, v7
	v_sub_u32_e32 v4, 32, v4
	v_ldexp_f32 v4, v7, v4
	v_bfe_u32 v7, v4, 16, 1
	v_add3_u32 v4, v4, v7, s15
	v_lshrrev_b32_e32 v7, 16, v4
	s_branch .LBB47_1329
.LBB47_1327:
	s_mov_b64 s[20:21], -1
                                        ; implicit-def: $vgpr7
.LBB47_1328:
	s_mov_b64 s[28:29], 0
.LBB47_1329:
	s_and_b64 vcc, exec, s[28:29]
	s_cbranch_vccz .LBB47_1347
; %bb.1330:
	v_cmp_gt_i16_e32 vcc, 27, v5
	s_cbranch_vccnz .LBB47_1333
; %bb.1331:
	v_cmp_lt_i16_e32 vcc, 27, v5
	s_cbranch_vccz .LBB47_1334
; %bb.1332:
	global_load_dword v4, v[0:1], off
	s_movk_i32 s15, 0x7fff
	s_mov_b64 s[24:25], 0
	s_waitcnt vmcnt(0)
	v_cvt_f32_u32_e32 v4, v4
	v_bfe_u32 v7, v4, 16, 1
	v_add3_u32 v4, v4, v7, s15
	v_lshrrev_b32_e32 v7, 16, v4
	s_branch .LBB47_1335
.LBB47_1333:
	s_mov_b64 s[24:25], -1
                                        ; implicit-def: $vgpr7
	s_branch .LBB47_1338
.LBB47_1334:
	s_mov_b64 s[24:25], -1
                                        ; implicit-def: $vgpr7
.LBB47_1335:
	s_andn2_b64 vcc, exec, s[24:25]
	s_cbranch_vccnz .LBB47_1337
; %bb.1336:
	global_load_ushort v4, v[0:1], off
	s_movk_i32 s15, 0x7fff
	s_waitcnt vmcnt(0)
	v_cvt_f32_u32_e32 v4, v4
	v_bfe_u32 v7, v4, 16, 1
	v_add3_u32 v4, v4, v7, s15
	v_lshrrev_b32_e32 v7, 16, v4
.LBB47_1337:
	s_mov_b64 s[24:25], 0
.LBB47_1338:
	s_andn2_b64 vcc, exec, s[24:25]
	s_cbranch_vccnz .LBB47_1346
; %bb.1339:
	global_load_ubyte v4, v[0:1], off
	s_movk_i32 s15, 0x7f
	s_mov_b64 s[24:25], 0
	s_waitcnt vmcnt(0)
	v_cmp_lt_i16_e32 vcc, s15, v4
                                        ; implicit-def: $sgpr15
	s_and_saveexec_b64 s[28:29], vcc
	s_xor_b64 s[28:29], exec, s[28:29]
	s_cbranch_execz .LBB47_1359
; %bb.1340:
	s_movk_i32 s15, 0x80
	v_cmp_eq_u16_e32 vcc, s15, v4
	s_mov_b64 s[24:25], -1
                                        ; implicit-def: $sgpr15
	s_and_saveexec_b64 s[30:31], vcc
; %bb.1341:
	s_mov_b32 s15, 0x7f800001
	s_xor_b64 s[24:25], exec, -1
; %bb.1342:
	s_or_b64 exec, exec, s[30:31]
	s_and_b64 s[24:25], s[24:25], exec
	s_or_saveexec_b64 s[28:29], s[28:29]
	v_mov_b32_e32 v7, s15
	s_xor_b64 exec, exec, s[28:29]
	s_cbranch_execnz .LBB47_1360
.LBB47_1343:
	s_or_b64 exec, exec, s[28:29]
	s_and_saveexec_b64 s[28:29], s[24:25]
	s_cbranch_execz .LBB47_1345
.LBB47_1344:
	v_lshlrev_b32_e32 v7, 24, v4
	v_and_b32_e32 v4, 0xffff, v4
	v_and_b32_e32 v8, 7, v4
	v_ffbh_u32_e32 v10, v8
	v_min_u32_e32 v10, 32, v10
	v_subrev_u32_e32 v11, 28, v10
	v_bfe_u32 v9, v4, 3, 4
	v_lshlrev_b32_e32 v4, v11, v4
	v_sub_u32_e32 v10, 29, v10
	v_and_b32_e32 v4, 7, v4
	v_cmp_eq_u32_e32 vcc, 0, v9
	v_cndmask_b32_e32 v9, v9, v10, vcc
	v_cndmask_b32_e32 v4, v8, v4, vcc
	v_mov_b32_e32 v8, 0x3b800000
	v_lshlrev_b32_e32 v4, 20, v4
	v_and_b32_e32 v7, 0x80000000, v7
	v_lshl_add_u32 v8, v9, 23, v8
	v_or3_b32 v7, v7, v8, v4
.LBB47_1345:
	s_or_b64 exec, exec, s[28:29]
	v_bfe_u32 v4, v7, 16, 1
	s_movk_i32 s15, 0x7fff
	v_add3_u32 v4, v7, v4, s15
	v_lshrrev_b32_e32 v4, 16, v4
	v_mov_b32_e32 v8, 0x7fc0
	v_cmp_o_f32_e32 vcc, v7, v7
	v_cndmask_b32_e32 v7, v8, v4, vcc
.LBB47_1346:
	s_mov_b64 s[24:25], -1
.LBB47_1347:
	s_branch .LBB47_1380
.LBB47_1348:
	v_cmp_lt_i16_e32 vcc, 22, v5
	s_cbranch_vccz .LBB47_1358
; %bb.1349:
	v_cmp_gt_i16_e32 vcc, 24, v5
	s_cbranch_vccnz .LBB47_1361
; %bb.1350:
	v_cmp_lt_i16_e32 vcc, 24, v5
	s_cbranch_vccz .LBB47_1362
; %bb.1351:
	global_load_ubyte v4, v[0:1], off
	s_movk_i32 s15, 0x7f
	s_mov_b64 s[24:25], 0
	s_waitcnt vmcnt(0)
	v_cmp_lt_i16_e32 vcc, s15, v4
                                        ; implicit-def: $sgpr15
	s_and_saveexec_b64 s[26:27], vcc
	s_xor_b64 s[26:27], exec, s[26:27]
	s_cbranch_execz .LBB47_1374
; %bb.1352:
	s_movk_i32 s15, 0x80
	v_cmp_eq_u16_e32 vcc, s15, v4
	s_mov_b64 s[24:25], -1
                                        ; implicit-def: $sgpr15
	s_and_saveexec_b64 s[28:29], vcc
; %bb.1353:
	s_mov_b32 s15, 0x7f800001
	s_xor_b64 s[24:25], exec, -1
; %bb.1354:
	s_or_b64 exec, exec, s[28:29]
	s_and_b64 s[24:25], s[24:25], exec
	s_or_saveexec_b64 s[26:27], s[26:27]
	v_mov_b32_e32 v7, s15
	s_xor_b64 exec, exec, s[26:27]
	s_cbranch_execnz .LBB47_1375
.LBB47_1355:
	s_or_b64 exec, exec, s[26:27]
	s_and_saveexec_b64 s[26:27], s[24:25]
	s_cbranch_execz .LBB47_1357
.LBB47_1356:
	v_lshlrev_b32_e32 v7, 24, v4
	v_and_b32_e32 v4, 0xffff, v4
	v_and_b32_e32 v8, 3, v4
	v_ffbh_u32_e32 v10, v8
	v_min_u32_e32 v10, 32, v10
	v_subrev_u32_e32 v11, 29, v10
	v_bfe_u32 v9, v4, 2, 5
	v_lshlrev_b32_e32 v4, v11, v4
	v_sub_u32_e32 v10, 30, v10
	v_and_b32_e32 v4, 3, v4
	v_cmp_eq_u32_e32 vcc, 0, v9
	v_cndmask_b32_e32 v9, v9, v10, vcc
	v_cndmask_b32_e32 v4, v8, v4, vcc
	v_mov_b32_e32 v8, 0x37800000
	v_lshlrev_b32_e32 v4, 21, v4
	v_and_b32_e32 v7, 0x80000000, v7
	v_lshl_add_u32 v8, v9, 23, v8
	v_or3_b32 v7, v7, v8, v4
.LBB47_1357:
	s_or_b64 exec, exec, s[26:27]
	v_bfe_u32 v4, v7, 16, 1
	s_movk_i32 s15, 0x7fff
	v_add3_u32 v4, v7, v4, s15
	v_lshrrev_b32_e32 v4, 16, v4
	v_mov_b32_e32 v8, 0x7fc0
	v_cmp_o_f32_e32 vcc, v7, v7
	v_cndmask_b32_e32 v7, v8, v4, vcc
	s_mov_b64 s[24:25], 0
	s_branch .LBB47_1363
.LBB47_1358:
	s_mov_b64 s[26:27], -1
                                        ; implicit-def: $vgpr7
	s_branch .LBB47_1369
.LBB47_1359:
	s_or_saveexec_b64 s[28:29], s[28:29]
	v_mov_b32_e32 v7, s15
	s_xor_b64 exec, exec, s[28:29]
	s_cbranch_execz .LBB47_1343
.LBB47_1360:
	v_cmp_ne_u16_e32 vcc, 0, v4
	s_andn2_b64 s[24:25], s[24:25], exec
	s_and_b64 s[30:31], vcc, exec
	v_mov_b32_e32 v7, 0
	s_or_b64 s[24:25], s[24:25], s[30:31]
	s_or_b64 exec, exec, s[28:29]
	s_and_saveexec_b64 s[28:29], s[24:25]
	s_cbranch_execnz .LBB47_1344
	s_branch .LBB47_1345
.LBB47_1361:
	s_mov_b64 s[24:25], -1
                                        ; implicit-def: $vgpr7
	s_branch .LBB47_1366
.LBB47_1362:
	s_mov_b64 s[24:25], -1
                                        ; implicit-def: $vgpr7
.LBB47_1363:
	s_and_b64 vcc, exec, s[24:25]
	s_cbranch_vccz .LBB47_1365
; %bb.1364:
	global_load_ubyte v4, v[0:1], off
	s_mov_b32 s15, 0x7f800000
	s_brev_b32 s24, 1
	s_movk_i32 s25, 0x7fff
	s_waitcnt vmcnt(1)
	v_mov_b32_e32 v7, 0x7fc0
	s_waitcnt vmcnt(0)
	v_lshlrev_b32_e32 v4, 24, v4
	v_and_b32_e32 v8, 0x7f000000, v4
	v_ffbh_u32_e32 v9, v8
	v_min_u32_e32 v9, 32, v9
	v_sub_u32_e64 v9, v9, 4 clamp
	v_lshlrev_b32_e32 v11, v9, v8
	v_lshlrev_b32_e32 v9, 23, v9
	v_lshrrev_b32_e32 v11, 4, v11
	v_add_u32_e32 v10, 0x1000000, v8
	v_sub_u32_e32 v9, v11, v9
	v_ashrrev_i32_e32 v10, 8, v10
	v_add_u32_e32 v9, 0x3c000000, v9
	v_and_or_b32 v9, v10, s15, v9
	v_cmp_ne_u32_e32 vcc, 0, v8
	v_cndmask_b32_e32 v8, 0, v9, vcc
	v_and_or_b32 v4, v4, s24, v8
	v_bfe_u32 v8, v8, 16, 1
	v_add3_u32 v8, v4, v8, s25
	v_lshrrev_b32_e32 v8, 16, v8
	v_cmp_o_f32_e32 vcc, v4, v4
	v_cndmask_b32_e32 v7, v7, v8, vcc
.LBB47_1365:
	s_mov_b64 s[24:25], 0
.LBB47_1366:
	s_andn2_b64 vcc, exec, s[24:25]
	s_cbranch_vccnz .LBB47_1368
; %bb.1367:
	global_load_ubyte v4, v[0:1], off
	s_movk_i32 s15, 0x7f00
	s_brev_b32 s24, 16
	s_brev_b32 s25, 1
	s_movk_i32 s26, 0x7fff
	s_waitcnt vmcnt(1)
	v_mov_b32_e32 v7, 0x7fc0
	s_waitcnt vmcnt(0)
	v_lshlrev_b16_e32 v8, 8, v4
	v_lshlrev_b32_e32 v4, 25, v4
	v_lshrrev_b32_e32 v9, 4, v4
	v_and_or_b32 v10, v8, s15, 0.5
	v_or_b32_e32 v9, 0x70000000, v9
	v_add_f32_e32 v10, -0.5, v10
	v_mul_f32_e32 v9, 0x7800000, v9
	v_cmp_gt_u32_e32 vcc, s24, v4
	v_bfe_i32 v8, v8, 0, 16
	v_cndmask_b32_e32 v4, v9, v10, vcc
	v_and_or_b32 v8, v8, s25, v4
	v_bfe_u32 v4, v4, 16, 1
	v_add3_u32 v4, v8, v4, s26
	v_lshrrev_b32_e32 v4, 16, v4
	v_cmp_o_f32_e32 vcc, v8, v8
	v_cndmask_b32_e32 v7, v7, v4, vcc
.LBB47_1368:
	s_mov_b64 s[26:27], 0
	s_mov_b64 s[24:25], -1
.LBB47_1369:
	s_andn2_b64 vcc, exec, s[26:27]
	s_mov_b64 s[26:27], 0
	s_cbranch_vccnz .LBB47_1380
; %bb.1370:
	v_cmp_lt_i16_e32 vcc, 14, v5
	s_cbranch_vccz .LBB47_1373
; %bb.1371:
	v_cmp_eq_u16_e32 vcc, 15, v5
	s_cbranch_vccz .LBB47_1376
; %bb.1372:
	global_load_ushort v7, v[0:1], off
	s_mov_b64 s[20:21], 0
	s_mov_b64 s[24:25], -1
	s_branch .LBB47_1377
.LBB47_1373:
	s_mov_b64 s[28:29], -1
                                        ; implicit-def: $vgpr7
	s_branch .LBB47_1378
.LBB47_1374:
	s_or_saveexec_b64 s[26:27], s[26:27]
	v_mov_b32_e32 v7, s15
	s_xor_b64 exec, exec, s[26:27]
	s_cbranch_execz .LBB47_1355
.LBB47_1375:
	v_cmp_ne_u16_e32 vcc, 0, v4
	s_andn2_b64 s[24:25], s[24:25], exec
	s_and_b64 s[28:29], vcc, exec
	v_mov_b32_e32 v7, 0
	s_or_b64 s[24:25], s[24:25], s[28:29]
	s_or_b64 exec, exec, s[26:27]
	s_and_saveexec_b64 s[26:27], s[24:25]
	s_cbranch_execnz .LBB47_1356
	s_branch .LBB47_1357
.LBB47_1376:
	s_mov_b64 s[20:21], -1
                                        ; implicit-def: $vgpr7
.LBB47_1377:
	s_mov_b64 s[28:29], 0
.LBB47_1378:
	s_and_b64 vcc, exec, s[28:29]
	s_cbranch_vccz .LBB47_1380
; %bb.1379:
	v_cmp_ne_u16_e32 vcc, 11, v5
	s_andn2_b64 s[20:21], s[20:21], exec
	s_and_b64 s[28:29], vcc, exec
	s_mov_b64 s[26:27], -1
	s_or_b64 s[20:21], s[20:21], s[28:29]
                                        ; implicit-def: $vgpr7
.LBB47_1380:
	s_mov_b64 s[28:29], 0
.LBB47_1381:
	s_andn2_b64 s[18:19], s[18:19], exec
	s_and_b64 s[20:21], s[20:21], exec
	s_and_b64 s[24:25], s[24:25], exec
	;; [unrolled: 1-line block ×4, first 2 shown]
	s_or_b64 s[18:19], s[18:19], s[20:21]
	s_or_b64 exec, exec, s[0:1]
	s_and_saveexec_b64 s[0:1], s[18:19]
	s_cbranch_execz .LBB47_1310
.LBB47_1382:
	s_or_b64 s[22:23], s[22:23], exec
	s_andn2_b64 s[26:27], s[26:27], exec
	s_trap 2
                                        ; implicit-def: $vgpr7
	s_or_b64 exec, exec, s[0:1]
	s_and_saveexec_b64 s[0:1], s[26:27]
	s_xor_b64 s[0:1], exec, s[0:1]
	s_cbranch_execnz .LBB47_1311
.LBB47_1383:
	s_or_b64 exec, exec, s[0:1]
	s_and_saveexec_b64 s[0:1], s[30:31]
	s_cbranch_execz .LBB47_1429
.LBB47_1384:
	v_cmp_gt_i16_e32 vcc, 5, v5
	s_cbranch_vccnz .LBB47_1389
; %bb.1385:
	v_cmp_gt_i16_e32 vcc, 8, v5
	s_cbranch_vccnz .LBB47_1390
; %bb.1386:
	;; [unrolled: 3-line block ×3, first 2 shown]
	v_cmp_lt_i16_e32 vcc, 9, v5
	s_cbranch_vccz .LBB47_1392
; %bb.1388:
	global_load_dwordx2 v[8:9], v[0:1], off
	s_movk_i32 s15, 0x7fff
	s_waitcnt vmcnt(1)
	v_mov_b32_e32 v4, 0x7fc0
	s_mov_b64 s[18:19], 0
	s_waitcnt vmcnt(0)
	v_cvt_f32_f64_e32 v7, v[8:9]
	v_bfe_u32 v8, v7, 16, 1
	v_add3_u32 v8, v7, v8, s15
	v_lshrrev_b32_e32 v8, 16, v8
	v_cmp_o_f32_e32 vcc, v7, v7
	v_cndmask_b32_e32 v7, v4, v8, vcc
	s_branch .LBB47_1393
.LBB47_1389:
                                        ; implicit-def: $vgpr7
	s_branch .LBB47_1410
.LBB47_1390:
                                        ; implicit-def: $vgpr7
	s_branch .LBB47_1399
.LBB47_1391:
	s_mov_b64 s[18:19], -1
                                        ; implicit-def: $vgpr7
	s_branch .LBB47_1396
.LBB47_1392:
	s_mov_b64 s[18:19], -1
                                        ; implicit-def: $vgpr7
.LBB47_1393:
	s_andn2_b64 vcc, exec, s[18:19]
	s_cbranch_vccnz .LBB47_1395
; %bb.1394:
	global_load_dword v4, v[0:1], off
	s_movk_i32 s15, 0x7fff
	s_waitcnt vmcnt(1)
	v_mov_b32_e32 v7, 0x7fc0
	s_waitcnt vmcnt(0)
	v_bfe_u32 v8, v4, 16, 1
	v_add3_u32 v8, v4, v8, s15
	v_lshrrev_b32_e32 v8, 16, v8
	v_cmp_o_f32_e32 vcc, v4, v4
	v_cndmask_b32_e32 v7, v7, v8, vcc
.LBB47_1395:
	s_mov_b64 s[18:19], 0
.LBB47_1396:
	s_andn2_b64 vcc, exec, s[18:19]
	s_cbranch_vccnz .LBB47_1398
; %bb.1397:
	global_load_dword v4, v[0:1], off
	s_movk_i32 s15, 0x7fff
	v_mov_b32_e32 v8, 0x7fc0
	s_waitcnt vmcnt(0)
	v_cvt_f32_f16_e32 v7, v4
	v_cmp_o_f16_e32 vcc, v4, v4
	v_bfe_u32 v9, v7, 16, 1
	v_add3_u32 v7, v7, v9, s15
	v_lshrrev_b32_e32 v7, 16, v7
	v_cndmask_b32_e32 v7, v8, v7, vcc
.LBB47_1398:
	s_cbranch_execnz .LBB47_1409
.LBB47_1399:
	v_cmp_gt_i16_e32 vcc, 6, v5
	s_cbranch_vccnz .LBB47_1402
; %bb.1400:
	v_cmp_lt_i16_e32 vcc, 6, v5
	s_cbranch_vccz .LBB47_1403
; %bb.1401:
	global_load_dwordx2 v[8:9], v[0:1], off
	s_movk_i32 s15, 0x7fff
	s_waitcnt vmcnt(1)
	v_mov_b32_e32 v4, 0x7fc0
	s_mov_b64 s[18:19], 0
	s_waitcnt vmcnt(0)
	v_cvt_f32_f64_e32 v7, v[8:9]
	v_bfe_u32 v8, v7, 16, 1
	v_add3_u32 v8, v7, v8, s15
	v_lshrrev_b32_e32 v8, 16, v8
	v_cmp_o_f32_e32 vcc, v7, v7
	v_cndmask_b32_e32 v7, v4, v8, vcc
	s_branch .LBB47_1404
.LBB47_1402:
	s_mov_b64 s[18:19], -1
                                        ; implicit-def: $vgpr7
	s_branch .LBB47_1407
.LBB47_1403:
	s_mov_b64 s[18:19], -1
                                        ; implicit-def: $vgpr7
.LBB47_1404:
	s_andn2_b64 vcc, exec, s[18:19]
	s_cbranch_vccnz .LBB47_1406
; %bb.1405:
	global_load_dword v4, v[0:1], off
	s_movk_i32 s15, 0x7fff
	s_waitcnt vmcnt(1)
	v_mov_b32_e32 v7, 0x7fc0
	s_waitcnt vmcnt(0)
	v_bfe_u32 v8, v4, 16, 1
	v_add3_u32 v8, v4, v8, s15
	v_lshrrev_b32_e32 v8, 16, v8
	v_cmp_o_f32_e32 vcc, v4, v4
	v_cndmask_b32_e32 v7, v7, v8, vcc
.LBB47_1406:
	s_mov_b64 s[18:19], 0
.LBB47_1407:
	s_andn2_b64 vcc, exec, s[18:19]
	s_cbranch_vccnz .LBB47_1409
; %bb.1408:
	global_load_ushort v4, v[0:1], off
	s_movk_i32 s15, 0x7fff
	v_mov_b32_e32 v8, 0x7fc0
	s_waitcnt vmcnt(0)
	v_cvt_f32_f16_e32 v7, v4
	v_cmp_o_f16_e32 vcc, v4, v4
	v_bfe_u32 v9, v7, 16, 1
	v_add3_u32 v7, v7, v9, s15
	v_lshrrev_b32_e32 v7, 16, v7
	v_cndmask_b32_e32 v7, v8, v7, vcc
.LBB47_1409:
	s_cbranch_execnz .LBB47_1428
.LBB47_1410:
	v_cmp_gt_i16_e32 vcc, 2, v5
	s_cbranch_vccnz .LBB47_1414
; %bb.1411:
	v_cmp_gt_i16_e32 vcc, 3, v5
	s_cbranch_vccnz .LBB47_1415
; %bb.1412:
	v_cmp_lt_i16_e32 vcc, 3, v5
	s_cbranch_vccz .LBB47_1416
; %bb.1413:
	global_load_dwordx2 v[8:9], v[0:1], off
	s_movk_i32 s15, 0x7fff
	s_mov_b64 s[18:19], 0
	s_waitcnt vmcnt(0)
	v_xor_b32_e32 v7, v8, v9
	v_ffbh_i32_e32 v4, v9
	v_ashrrev_i32_e32 v7, 31, v7
	v_add_u32_e32 v4, -1, v4
	v_add_u32_e32 v7, 32, v7
	v_min_u32_e32 v4, v4, v7
	v_lshlrev_b64 v[8:9], v4, v[8:9]
	v_min_u32_e32 v7, 1, v8
	v_or_b32_e32 v7, v9, v7
	v_cvt_f32_i32_e32 v7, v7
	v_sub_u32_e32 v4, 32, v4
	v_ldexp_f32 v4, v7, v4
	v_bfe_u32 v7, v4, 16, 1
	v_add3_u32 v4, v4, v7, s15
	v_lshrrev_b32_e32 v7, 16, v4
	s_branch .LBB47_1417
.LBB47_1414:
                                        ; implicit-def: $vgpr7
	s_branch .LBB47_1423
.LBB47_1415:
	s_mov_b64 s[18:19], -1
                                        ; implicit-def: $vgpr7
	s_branch .LBB47_1420
.LBB47_1416:
	s_mov_b64 s[18:19], -1
                                        ; implicit-def: $vgpr7
.LBB47_1417:
	s_andn2_b64 vcc, exec, s[18:19]
	s_cbranch_vccnz .LBB47_1419
; %bb.1418:
	global_load_dword v4, v[0:1], off
	s_movk_i32 s15, 0x7fff
	s_waitcnt vmcnt(0)
	v_cvt_f32_i32_e32 v4, v4
	v_bfe_u32 v7, v4, 16, 1
	v_add3_u32 v4, v4, v7, s15
	v_lshrrev_b32_e32 v7, 16, v4
.LBB47_1419:
	s_mov_b64 s[18:19], 0
.LBB47_1420:
	s_andn2_b64 vcc, exec, s[18:19]
	s_cbranch_vccnz .LBB47_1422
; %bb.1421:
	global_load_sshort v4, v[0:1], off
	s_movk_i32 s15, 0x7fff
	s_waitcnt vmcnt(0)
	v_cvt_f32_i32_e32 v4, v4
	v_bfe_u32 v7, v4, 16, 1
	v_add3_u32 v4, v4, v7, s15
	v_lshrrev_b32_e32 v7, 16, v4
.LBB47_1422:
	s_cbranch_execnz .LBB47_1428
.LBB47_1423:
	v_cmp_lt_i16_e32 vcc, 0, v5
	s_cbranch_vccz .LBB47_1425
; %bb.1424:
	global_load_sbyte v4, v[0:1], off
	s_movk_i32 s15, 0x7fff
	s_mov_b64 s[18:19], 0
	s_waitcnt vmcnt(0)
	v_cvt_f32_i32_e32 v4, v4
	v_bfe_u32 v5, v4, 16, 1
	v_add3_u32 v4, v4, v5, s15
	v_lshrrev_b32_e32 v7, 16, v4
	s_branch .LBB47_1426
.LBB47_1425:
	s_mov_b64 s[18:19], -1
                                        ; implicit-def: $vgpr7
.LBB47_1426:
	s_andn2_b64 vcc, exec, s[18:19]
	s_cbranch_vccnz .LBB47_1428
; %bb.1427:
	global_load_ubyte v0, v[0:1], off
	s_movk_i32 s15, 0x7fff
	s_waitcnt vmcnt(0)
	v_cvt_f32_ubyte0_e32 v0, v0
	v_bfe_u32 v1, v0, 16, 1
	v_add3_u32 v0, v0, v1, s15
	v_lshrrev_b32_e32 v7, 16, v0
.LBB47_1428:
	s_or_b64 s[24:25], s[24:25], exec
.LBB47_1429:
	s_or_b64 exec, exec, s[0:1]
	s_mov_b64 s[26:27], 0
	s_mov_b64 s[20:21], 0
                                        ; implicit-def: $vgpr4
                                        ; implicit-def: $vgpr0_vgpr1
	s_and_saveexec_b64 s[18:19], s[24:25]
	s_cbranch_execz .LBB47_1449
; %bb.1430:
	s_waitcnt vmcnt(0)
	v_lshlrev_b32_e32 v0, 16, v6
	v_cmp_nlt_f32_e32 vcc, 0, v0
	s_and_saveexec_b64 s[0:1], vcc
; %bb.1431:
	v_lshlrev_b32_e32 v1, 16, v7
	v_mul_f32_e32 v0, v0, v1
	v_bfe_u32 v1, v0, 16, 1
	s_movk_i32 s15, 0x7fff
	v_add3_u32 v1, v0, v1, s15
	v_lshrrev_b32_e32 v1, 16, v1
	v_mov_b32_e32 v4, 0x7fc0
	v_cmp_o_f32_e32 vcc, v0, v0
	v_cndmask_b32_e32 v6, v4, v1, vcc
; %bb.1432:
	s_or_b64 exec, exec, s[0:1]
	v_mul_lo_u32 v0, v3, s12
	v_ashrrev_i32_e32 v1, 31, v0
	v_mov_b32_e32 v3, s9
	v_add_co_u32_e32 v0, vcc, s8, v0
	v_addc_co_u32_e32 v1, vcc, v3, v1, vcc
	v_and_b32_e32 v4, 0xff, v2
	v_cmp_gt_i16_e32 vcc, 11, v4
	s_cbranch_vccnz .LBB47_1452
; %bb.1433:
	v_cmp_lt_i16_e32 vcc, 25, v4
	s_mov_b64 s[24:25], -1
	s_mov_b64 s[0:1], s[6:7]
	s_cbranch_vccz .LBB47_1470
; %bb.1434:
	v_cmp_lt_i16_e32 vcc, 28, v4
	s_mov_b64 s[20:21], -1
	s_mov_b64 s[0:1], s[6:7]
	s_cbranch_vccz .LBB47_1454
; %bb.1435:
	v_cmp_lt_i16_e32 vcc, 43, v4
	s_mov_b64 s[0:1], s[6:7]
	s_cbranch_vccz .LBB47_1446
; %bb.1436:
	v_cmp_lt_i16_e32 vcc, 45, v4
	s_mov_b64 s[0:1], s[6:7]
	s_cbranch_vccz .LBB47_1440
; %bb.1437:
	v_cmp_eq_u16_e32 vcc, 46, v4
	s_mov_b64 s[0:1], -1
	s_cbranch_vccz .LBB47_1439
; %bb.1438:
	v_and_b32_e32 v2, 0xffff, v6
	global_store_dword v[0:1], v2, off
	s_mov_b64 s[0:1], 0
.LBB47_1439:
	s_mov_b64 s[20:21], 0
.LBB47_1440:
	s_and_b64 vcc, exec, s[20:21]
	s_cbranch_vccz .LBB47_1445
; %bb.1441:
	v_cmp_eq_u16_e32 vcc, 44, v4
	s_mov_b64 s[0:1], -1
	s_cbranch_vccz .LBB47_1445
; %bb.1442:
	v_and_b32_e32 v3, 0xffff, v6
	v_bfe_u32 v2, v3, 7, 8
	s_movk_i32 s0, 0xff
	v_cmp_ne_u32_e32 vcc, s0, v2
	v_mov_b32_e32 v5, 0xff
	s_and_saveexec_b64 s[20:21], vcc
; %bb.1443:
	v_lshlrev_b32_e32 v7, 16, v3
	s_mov_b32 s0, 0x3f0000
	v_lshrrev_b32_e32 v5, 7, v3
	v_and_b32_e32 v3, 64, v3
	v_and_or_b32 v2, v7, s0, v2
	v_cmp_ne_u32_e32 vcc, 0, v3
	v_cmp_ne_u32_e64 s[0:1], 0, v2
	s_and_b64 s[0:1], vcc, s[0:1]
	v_cndmask_b32_e64 v2, 0, 1, s[0:1]
	v_add_u32_e32 v5, v5, v2
; %bb.1444:
	s_or_b64 exec, exec, s[20:21]
	s_mov_b64 s[0:1], 0
	global_store_byte v[0:1], v5, off
.LBB47_1445:
	s_mov_b64 s[20:21], 0
.LBB47_1446:
	s_and_b64 vcc, exec, s[20:21]
	s_cbranch_vccz .LBB47_1453
; %bb.1447:
	v_cmp_eq_u16_e32 vcc, 29, v4
	s_mov_b64 s[0:1], -1
	s_cbranch_vccz .LBB47_1453
; %bb.1448:
	v_lshlrev_b32_e32 v2, 16, v6
	v_trunc_f32_e32 v2, v2
	v_mul_f32_e32 v3, 0x2f800000, v2
	v_floor_f32_e32 v5, v3
	v_fmac_f32_e32 v2, 0xcf800000, v5
	v_cvt_u32_f32_e32 v3, v5
	v_cvt_u32_f32_e32 v2, v2
	s_mov_b64 s[0:1], 0
	s_mov_b64 s[20:21], 0
	global_store_dwordx2 v[0:1], v[2:3], off
	s_branch .LBB47_1454
.LBB47_1449:
	s_or_b64 exec, exec, s[18:19]
	s_and_saveexec_b64 s[0:1], s[6:7]
	s_cbranch_execnz .LBB47_1512
.LBB47_1450:
	s_or_b64 exec, exec, s[0:1]
	s_and_saveexec_b64 s[0:1], s[26:27]
	s_xor_b64 s[0:1], exec, s[0:1]
	s_cbranch_execz .LBB47_1513
.LBB47_1451:
	s_waitcnt vmcnt(0)
	v_and_b32_e32 v2, 0x7fff, v6
	v_cmp_ne_u16_e32 vcc, 0, v2
	v_cndmask_b32_e64 v2, 0, 1, vcc
	global_store_byte v[0:1], v2, off
	s_or_b64 exec, exec, s[0:1]
	s_and_saveexec_b64 s[0:1], s[20:21]
	s_xor_b64 s[0:1], exec, s[0:1]
	s_cbranch_execz .LBB47_1551
	s_branch .LBB47_1514
.LBB47_1452:
	s_mov_b64 s[24:25], 0
	s_mov_b64 s[20:21], -1
	s_mov_b64 s[0:1], s[6:7]
	s_branch .LBB47_1511
.LBB47_1453:
	s_mov_b64 s[20:21], 0
.LBB47_1454:
	s_and_b64 vcc, exec, s[20:21]
	s_cbranch_vccz .LBB47_1469
; %bb.1455:
	v_cmp_gt_i16_e32 vcc, 27, v4
	s_mov_b64 s[20:21], -1
	s_cbranch_vccnz .LBB47_1461
; %bb.1456:
	v_cmp_lt_i16_e32 vcc, 27, v4
	s_cbranch_vccz .LBB47_1458
; %bb.1457:
	v_lshlrev_b32_e32 v2, 16, v6
	v_cvt_u32_f32_e32 v2, v2
	s_mov_b64 s[20:21], 0
	global_store_dword v[0:1], v2, off
.LBB47_1458:
	s_andn2_b64 vcc, exec, s[20:21]
	s_cbranch_vccnz .LBB47_1460
; %bb.1459:
	v_lshlrev_b32_e32 v2, 16, v6
	v_cvt_u32_f32_e32 v2, v2
	global_store_short v[0:1], v2, off
.LBB47_1460:
	s_mov_b64 s[20:21], 0
.LBB47_1461:
	s_andn2_b64 vcc, exec, s[20:21]
	s_cbranch_vccnz .LBB47_1469
; %bb.1462:
	v_lshlrev_b32_e32 v5, 16, v6
	v_and_b32_e32 v3, 0x7fffffff, v5
	s_mov_b32 s15, 0x43800000
	v_cmp_gt_u32_e32 vcc, s15, v3
	v_mov_b32_e32 v7, 0x80
	s_and_saveexec_b64 s[20:21], vcc
	s_cbranch_execz .LBB47_1468
; %bb.1463:
	s_mov_b32 s15, 0x3bffffff
	v_and_b32_e32 v2, 0xffff, v6
	v_cmp_lt_u32_e32 vcc, s15, v3
	s_mov_b64 s[24:25], 0
                                        ; implicit-def: $vgpr3
	s_and_saveexec_b64 s[26:27], vcc
	s_xor_b64 s[26:27], exec, s[26:27]
	s_cbranch_execz .LBB47_1566
; %bb.1464:
	v_bfe_u32 v3, v2, 4, 1
	s_mov_b32 s15, 0x487ffff
	v_add3_u32 v3, v5, v3, s15
	s_mov_b64 s[24:25], exec
	v_lshrrev_b32_e32 v3, 20, v3
                                        ; implicit-def: $vgpr5
	s_or_saveexec_b64 s[26:27], s[26:27]
                                        ; implicit-def: $sgpr15
	s_xor_b64 exec, exec, s[26:27]
	s_cbranch_execnz .LBB47_1567
.LBB47_1465:
	s_or_b64 exec, exec, s[26:27]
	v_mov_b32_e32 v7, s15
	s_and_saveexec_b64 s[26:27], s[24:25]
.LBB47_1466:
	v_lshrrev_b32_e32 v2, 8, v2
	s_movk_i32 s15, 0x80
	v_and_or_b32 v7, v2, s15, v3
.LBB47_1467:
	s_or_b64 exec, exec, s[26:27]
.LBB47_1468:
	s_or_b64 exec, exec, s[20:21]
	global_store_byte v[0:1], v7, off
.LBB47_1469:
	s_mov_b64 s[24:25], 0
.LBB47_1470:
	s_mov_b64 s[20:21], 0
	s_and_b64 vcc, exec, s[24:25]
	s_cbranch_vccz .LBB47_1510
; %bb.1471:
	v_cmp_lt_i16_e32 vcc, 22, v4
	s_mov_b64 s[24:25], -1
	s_cbranch_vccz .LBB47_1503
; %bb.1472:
	v_cmp_gt_i16_e32 vcc, 24, v4
	s_cbranch_vccnz .LBB47_1492
; %bb.1473:
	v_cmp_lt_i16_e32 vcc, 24, v4
	s_cbranch_vccz .LBB47_1481
; %bb.1474:
	v_lshlrev_b32_e32 v5, 16, v6
	v_and_b32_e32 v3, 0x7fffffff, v5
	s_mov_b32 s15, 0x47800000
	v_cmp_gt_u32_e32 vcc, s15, v3
	v_mov_b32_e32 v7, 0x80
	s_and_saveexec_b64 s[24:25], vcc
	s_cbranch_execz .LBB47_1480
; %bb.1475:
	s_mov_b32 s15, 0x37ffffff
	v_and_b32_e32 v2, 0xffff, v6
	v_cmp_lt_u32_e32 vcc, s15, v3
	s_mov_b64 s[26:27], 0
                                        ; implicit-def: $vgpr3
	s_and_saveexec_b64 s[28:29], vcc
	s_xor_b64 s[28:29], exec, s[28:29]
	s_cbranch_execz .LBB47_1691
; %bb.1476:
	v_bfe_u32 v3, v2, 5, 1
	s_mov_b32 s15, 0x88fffff
	v_add3_u32 v3, v5, v3, s15
	s_mov_b64 s[26:27], exec
	v_lshrrev_b32_e32 v3, 21, v3
                                        ; implicit-def: $vgpr5
	s_or_saveexec_b64 s[28:29], s[28:29]
                                        ; implicit-def: $sgpr15
	s_xor_b64 exec, exec, s[28:29]
	s_cbranch_execnz .LBB47_1692
.LBB47_1477:
	s_or_b64 exec, exec, s[28:29]
	v_mov_b32_e32 v7, s15
	s_and_saveexec_b64 s[28:29], s[26:27]
.LBB47_1478:
	v_lshrrev_b32_e32 v2, 8, v2
	s_movk_i32 s15, 0x80
	v_and_or_b32 v7, v2, s15, v3
.LBB47_1479:
	s_or_b64 exec, exec, s[28:29]
.LBB47_1480:
	s_or_b64 exec, exec, s[24:25]
	s_mov_b64 s[24:25], 0
	global_store_byte v[0:1], v7, off
.LBB47_1481:
	s_and_b64 vcc, exec, s[24:25]
	s_cbranch_vccz .LBB47_1491
; %bb.1482:
	v_lshlrev_b32_e32 v5, 16, v6
	v_and_b32_e32 v7, 0x7fffffff, v5
	s_mov_b32 s15, 0x43f00000
	v_and_b32_e32 v2, 0xffff, v6
	v_cmp_gt_u32_e32 vcc, s15, v7
                                        ; implicit-def: $vgpr3
	s_and_saveexec_b64 s[24:25], vcc
	s_xor_b64 s[24:25], exec, s[24:25]
	s_cbranch_execz .LBB47_1488
; %bb.1483:
	s_mov_b32 s15, 0x3c7fffff
	v_cmp_lt_u32_e32 vcc, s15, v7
                                        ; implicit-def: $vgpr3
	s_and_saveexec_b64 s[26:27], vcc
	s_xor_b64 s[26:27], exec, s[26:27]
; %bb.1484:
	v_bfe_u32 v3, v2, 4, 1
	s_mov_b32 s15, 0x407ffff
	v_add3_u32 v3, v5, v3, s15
	v_lshrrev_b32_e32 v5, 20, v3
	v_and_b32_e32 v3, 0xff00000, v3
	s_mov_b32 s15, 0x7f00000
	v_mov_b32_e32 v7, 0x7e
	v_cmp_ne_u32_e32 vcc, s15, v3
	v_cndmask_b32_e32 v3, v7, v5, vcc
                                        ; implicit-def: $vgpr5
; %bb.1485:
	s_andn2_saveexec_b64 s[26:27], s[26:27]
; %bb.1486:
	s_mov_b32 s15, 0x46800000
	v_add_f32_e64 v3, |v5|, s15
; %bb.1487:
	s_or_b64 exec, exec, s[26:27]
                                        ; implicit-def: $vgpr7
.LBB47_1488:
	s_andn2_saveexec_b64 s[24:25], s[24:25]
; %bb.1489:
	s_mov_b32 s15, 0x7f800000
	v_mov_b32_e32 v3, 0x7e
	v_mov_b32_e32 v5, 0x7f
	v_cmp_lt_u32_e32 vcc, s15, v7
	v_cndmask_b32_e32 v3, v3, v5, vcc
; %bb.1490:
	s_or_b64 exec, exec, s[24:25]
	v_lshrrev_b32_e32 v2, 8, v2
	s_movk_i32 s15, 0x80
	v_and_or_b32 v2, v2, s15, v3
	global_store_byte v[0:1], v2, off
.LBB47_1491:
	s_mov_b64 s[24:25], 0
.LBB47_1492:
	s_andn2_b64 vcc, exec, s[24:25]
	s_cbranch_vccnz .LBB47_1502
; %bb.1493:
	v_lshlrev_b32_e32 v5, 16, v6
	v_and_b32_e32 v7, 0x7fffffff, v5
	s_mov_b32 s15, 0x47800000
	v_and_b32_e32 v2, 0xffff, v6
	v_cmp_gt_u32_e32 vcc, s15, v7
                                        ; implicit-def: $vgpr3
	s_and_saveexec_b64 s[24:25], vcc
	s_xor_b64 s[24:25], exec, s[24:25]
	s_cbranch_execz .LBB47_1499
; %bb.1494:
	s_mov_b32 s15, 0x387fffff
	v_cmp_lt_u32_e32 vcc, s15, v7
                                        ; implicit-def: $vgpr3
	s_and_saveexec_b64 s[26:27], vcc
	s_xor_b64 s[26:27], exec, s[26:27]
; %bb.1495:
	v_bfe_u32 v3, v2, 5, 1
	s_mov_b32 s15, 0x80fffff
	v_add3_u32 v3, v5, v3, s15
	v_lshrrev_b32_e32 v3, 21, v3
                                        ; implicit-def: $vgpr5
; %bb.1496:
	s_andn2_saveexec_b64 s[26:27], s[26:27]
; %bb.1497:
	s_mov_b32 s15, 0x43000000
	v_add_f32_e64 v3, |v5|, s15
; %bb.1498:
	s_or_b64 exec, exec, s[26:27]
                                        ; implicit-def: $vgpr7
.LBB47_1499:
	s_andn2_saveexec_b64 s[24:25], s[24:25]
; %bb.1500:
	s_mov_b32 s15, 0x7f800000
	v_mov_b32_e32 v3, 0x7c
	v_mov_b32_e32 v5, 0x7f
	v_cmp_lt_u32_e32 vcc, s15, v7
	v_cndmask_b32_e32 v3, v3, v5, vcc
; %bb.1501:
	s_or_b64 exec, exec, s[24:25]
	v_lshrrev_b32_e32 v2, 8, v2
	s_movk_i32 s15, 0x80
	v_and_or_b32 v2, v2, s15, v3
	global_store_byte v[0:1], v2, off
.LBB47_1502:
	s_mov_b64 s[24:25], 0
.LBB47_1503:
	s_andn2_b64 vcc, exec, s[24:25]
	s_mov_b64 s[24:25], 0
	s_cbranch_vccnz .LBB47_1511
; %bb.1504:
	v_cmp_lt_i16_e32 vcc, 14, v4
	s_mov_b64 s[26:27], -1
	s_cbranch_vccz .LBB47_1508
; %bb.1505:
	v_cmp_eq_u16_e32 vcc, 15, v4
	s_mov_b64 s[0:1], -1
	s_cbranch_vccz .LBB47_1507
; %bb.1506:
	global_store_short v[0:1], v6, off
	s_mov_b64 s[0:1], 0
.LBB47_1507:
	s_mov_b64 s[26:27], 0
.LBB47_1508:
	s_and_b64 vcc, exec, s[26:27]
	s_cbranch_vccz .LBB47_1511
; %bb.1509:
	v_cmp_ne_u16_e32 vcc, 11, v4
	s_andn2_b64 s[0:1], s[0:1], exec
	s_and_b64 s[26:27], vcc, exec
	s_mov_b64 s[24:25], -1
	s_or_b64 s[0:1], s[0:1], s[26:27]
	s_branch .LBB47_1511
.LBB47_1510:
	s_mov_b64 s[24:25], 0
.LBB47_1511:
	s_andn2_b64 s[6:7], s[6:7], exec
	s_and_b64 s[0:1], s[0:1], exec
	s_and_b64 s[20:21], s[20:21], exec
	;; [unrolled: 1-line block ×3, first 2 shown]
	s_or_b64 s[6:7], s[6:7], s[0:1]
	s_or_b64 exec, exec, s[18:19]
	s_and_saveexec_b64 s[0:1], s[6:7]
	s_cbranch_execz .LBB47_1450
.LBB47_1512:
	s_or_b64 s[22:23], s[22:23], exec
	s_andn2_b64 s[26:27], s[26:27], exec
	s_trap 2
	s_or_b64 exec, exec, s[0:1]
	s_and_saveexec_b64 s[0:1], s[26:27]
	s_xor_b64 s[0:1], exec, s[0:1]
	s_cbranch_execnz .LBB47_1451
.LBB47_1513:
	s_or_b64 exec, exec, s[0:1]
	s_and_saveexec_b64 s[0:1], s[20:21]
	s_xor_b64 s[0:1], exec, s[0:1]
	s_cbranch_execz .LBB47_1551
.LBB47_1514:
	s_waitcnt vmcnt(0)
	v_cmp_gt_i16_e32 vcc, 5, v4
	s_mov_b64 s[6:7], -1
	s_cbranch_vccnz .LBB47_1535
; %bb.1515:
	v_cmp_gt_i16_e32 vcc, 8, v4
	s_cbranch_vccnz .LBB47_1525
; %bb.1516:
	v_cmp_gt_i16_e32 vcc, 9, v4
	s_cbranch_vccnz .LBB47_1522
; %bb.1517:
	v_cmp_lt_i16_e32 vcc, 9, v4
	s_cbranch_vccz .LBB47_1519
; %bb.1518:
	v_lshlrev_b32_e32 v2, 16, v6
	v_mov_b32_e32 v10, 0
	v_cvt_f64_f32_e32 v[8:9], v2
	v_mov_b32_e32 v11, v10
	s_mov_b64 s[6:7], 0
	global_store_dwordx4 v[0:1], v[8:11], off
.LBB47_1519:
	s_andn2_b64 vcc, exec, s[6:7]
	s_cbranch_vccnz .LBB47_1521
; %bb.1520:
	v_lshlrev_b32_e32 v2, 16, v6
	v_mov_b32_e32 v3, 0
	global_store_dwordx2 v[0:1], v[2:3], off
.LBB47_1521:
	s_mov_b64 s[6:7], 0
.LBB47_1522:
	s_andn2_b64 vcc, exec, s[6:7]
	s_cbranch_vccnz .LBB47_1524
; %bb.1523:
	v_lshlrev_b32_e32 v2, 16, v6
	v_cvt_f16_f32_e32 v2, v2
	global_store_dword v[0:1], v2, off
.LBB47_1524:
	s_mov_b64 s[6:7], 0
.LBB47_1525:
	s_andn2_b64 vcc, exec, s[6:7]
	s_cbranch_vccnz .LBB47_1534
; %bb.1526:
	v_cmp_gt_i16_e32 vcc, 6, v4
	s_mov_b64 s[6:7], -1
	s_cbranch_vccnz .LBB47_1532
; %bb.1527:
	v_cmp_lt_i16_e32 vcc, 6, v4
	s_cbranch_vccz .LBB47_1529
; %bb.1528:
	v_lshlrev_b32_e32 v2, 16, v6
	v_cvt_f64_f32_e32 v[2:3], v2
	s_mov_b64 s[6:7], 0
	global_store_dwordx2 v[0:1], v[2:3], off
.LBB47_1529:
	s_andn2_b64 vcc, exec, s[6:7]
	s_cbranch_vccnz .LBB47_1531
; %bb.1530:
	v_lshlrev_b32_e32 v2, 16, v6
	global_store_dword v[0:1], v2, off
.LBB47_1531:
	s_mov_b64 s[6:7], 0
.LBB47_1532:
	s_andn2_b64 vcc, exec, s[6:7]
	s_cbranch_vccnz .LBB47_1534
; %bb.1533:
	v_lshlrev_b32_e32 v2, 16, v6
	v_cvt_f16_f32_e32 v2, v2
	global_store_short v[0:1], v2, off
.LBB47_1534:
	s_mov_b64 s[6:7], 0
.LBB47_1535:
	s_andn2_b64 vcc, exec, s[6:7]
	s_cbranch_vccnz .LBB47_1551
; %bb.1536:
	v_cmp_gt_i16_e32 vcc, 2, v4
	s_mov_b64 s[6:7], -1
	s_cbranch_vccnz .LBB47_1546
; %bb.1537:
	v_cmp_gt_i16_e32 vcc, 3, v4
	s_cbranch_vccnz .LBB47_1543
; %bb.1538:
	v_cmp_lt_i16_e32 vcc, 3, v4
	s_cbranch_vccz .LBB47_1540
; %bb.1539:
	v_lshlrev_b32_e32 v2, 16, v6
	v_trunc_f32_e32 v2, v2
	s_mov_b32 s6, 0x2f800000
	v_mul_f32_e64 v3, |v2|, s6
	v_floor_f32_e32 v3, v3
	s_mov_b32 s6, 0xcf800000
	v_cvt_u32_f32_e32 v5, v3
	v_fma_f32 v3, v3, s6, |v2|
	v_cvt_u32_f32_e32 v3, v3
	v_ashrrev_i32_e32 v7, 31, v2
	v_xor_b32_e32 v5, v5, v7
	s_mov_b64 s[6:7], 0
	v_xor_b32_e32 v2, v3, v7
	v_sub_co_u32_e32 v2, vcc, v2, v7
	v_subb_co_u32_e32 v3, vcc, v5, v7, vcc
	global_store_dwordx2 v[0:1], v[2:3], off
.LBB47_1540:
	s_andn2_b64 vcc, exec, s[6:7]
	s_cbranch_vccnz .LBB47_1542
; %bb.1541:
	v_lshlrev_b32_e32 v2, 16, v6
	v_cvt_i32_f32_e32 v2, v2
	global_store_dword v[0:1], v2, off
.LBB47_1542:
	s_mov_b64 s[6:7], 0
.LBB47_1543:
	s_andn2_b64 vcc, exec, s[6:7]
	s_cbranch_vccnz .LBB47_1545
; %bb.1544:
	v_lshlrev_b32_e32 v2, 16, v6
	v_cvt_i32_f32_e32 v2, v2
	global_store_short v[0:1], v2, off
.LBB47_1545:
	s_mov_b64 s[6:7], 0
.LBB47_1546:
	s_andn2_b64 vcc, exec, s[6:7]
	s_cbranch_vccnz .LBB47_1551
; %bb.1547:
	v_cmp_lt_i16_e32 vcc, 0, v4
	s_mov_b64 s[6:7], -1
	v_lshlrev_b32_e32 v2, 16, v6
	s_cbranch_vccz .LBB47_1549
; %bb.1548:
	v_cvt_i32_f32_e32 v3, v2
	s_mov_b64 s[6:7], 0
	global_store_byte v[0:1], v3, off
.LBB47_1549:
	s_andn2_b64 vcc, exec, s[6:7]
	s_cbranch_vccnz .LBB47_1551
; %bb.1550:
	v_trunc_f32_e32 v2, v2
	s_mov_b32 s6, 0x2f800000
	v_mul_f32_e64 v3, |v2|, s6
	v_floor_f32_e32 v3, v3
	s_mov_b32 s6, 0xcf800000
	v_fma_f32 v3, v3, s6, |v2|
	v_cvt_u32_f32_e32 v3, v3
	v_ashrrev_i32_e32 v2, 31, v2
	v_xor_b32_e32 v3, v3, v2
	v_sub_u32_e32 v2, v3, v2
	global_store_byte v[0:1], v2, off
.LBB47_1551:
	s_or_b64 exec, exec, s[0:1]
	s_and_b64 s[6:7], s[22:23], exec
                                        ; implicit-def: $vgpr3
                                        ; implicit-def: $vgpr5
                                        ; implicit-def: $vgpr4
                                        ; implicit-def: $vgpr2
.LBB47_1552:
	s_or_saveexec_b64 s[4:5], s[4:5]
	s_mov_b64 s[0:1], 0
                                        ; implicit-def: $vgpr6
                                        ; implicit-def: $vgpr0_vgpr1
                                        ; implicit-def: $vgpr9
	s_xor_b64 exec, exec, s[4:5]
	s_cbranch_execz .LBB47_2605
; %bb.1553:
	s_waitcnt vmcnt(0)
	v_mul_lo_u32 v7, s13, v3
	v_ashrrev_i32_e32 v1, 31, v7
	v_mov_b32_e32 v6, s11
	v_add_co_u32_e32 v0, vcc, s10, v7
	v_addc_co_u32_e32 v1, vcc, v6, v1, vcc
	v_mov_b32_e32 v6, 11
	v_cmp_lt_i16_sdwa s[0:1], v5, v6 src0_sel:BYTE_0 src1_sel:DWORD
	s_and_b64 vcc, exec, s[0:1]
	s_cbranch_vccnz .LBB47_1560
; %bb.1554:
	v_mov_b32_e32 v6, 25
	v_cmp_gt_i16_sdwa s[0:1], v5, v6 src0_sel:BYTE_0 src1_sel:DWORD
	s_and_b64 vcc, exec, s[0:1]
	s_cbranch_vccz .LBB47_1562
; %bb.1555:
	v_mov_b32_e32 v6, 28
	v_cmp_gt_i16_sdwa s[0:1], v5, v6 src0_sel:BYTE_0 src1_sel:DWORD
	s_and_b64 vcc, exec, s[0:1]
	s_cbranch_vccz .LBB47_1563
	;; [unrolled: 5-line block ×4, first 2 shown]
; %bb.1558:
	v_mov_b32_e32 v6, 46
	v_cmp_eq_u16_sdwa s[0:1], v5, v6 src0_sel:BYTE_0 src1_sel:DWORD
	s_mov_b64 s[18:19], 0
	s_and_b64 vcc, exec, s[0:1]
	s_cbranch_vccz .LBB47_1568
; %bb.1559:
	global_load_dword v6, v[0:1], off
	s_mov_b64 s[0:1], 0
	s_mov_b64 s[20:21], -1
	s_branch .LBB47_1569
.LBB47_1560:
	s_mov_b64 s[20:21], 0
                                        ; implicit-def: $vgpr6
	s_mov_b64 s[18:19], s[6:7]
	s_cbranch_execnz .LBB47_1632
.LBB47_1561:
	s_andn2_b64 vcc, exec, s[20:21]
	s_cbranch_vccz .LBB47_1677
	s_branch .LBB47_2602
.LBB47_1562:
	s_mov_b64 s[20:21], 0
	s_mov_b64 s[0:1], 0
                                        ; implicit-def: $vgpr6
	s_cbranch_execnz .LBB47_1597
	s_branch .LBB47_1628
.LBB47_1563:
	s_mov_b64 s[18:19], -1
	s_mov_b64 s[20:21], 0
	s_mov_b64 s[0:1], 0
                                        ; implicit-def: $vgpr6
	s_branch .LBB47_1578
.LBB47_1564:
	s_mov_b64 s[20:21], 0
	s_mov_b64 s[0:1], 0
                                        ; implicit-def: $vgpr6
	s_cbranch_execnz .LBB47_1574
	s_branch .LBB47_1577
.LBB47_1565:
	s_mov_b64 s[18:19], -1
	s_mov_b64 s[20:21], 0
	s_mov_b64 s[0:1], 0
                                        ; implicit-def: $vgpr6
	s_branch .LBB47_1569
.LBB47_1566:
	s_or_saveexec_b64 s[26:27], s[26:27]
                                        ; implicit-def: $sgpr15
	s_xor_b64 exec, exec, s[26:27]
	s_cbranch_execz .LBB47_1465
.LBB47_1567:
	s_mov_b32 s15, 0x46000000
	v_add_f32_e64 v3, |v5|, s15
	v_and_b32_e32 v3, 0xff, v3
	v_cmp_ne_u32_e32 vcc, 0, v3
	s_andn2_b64 s[24:25], s[24:25], exec
	s_and_b64 s[28:29], vcc, exec
	s_mov_b32 s15, 0
	s_or_b64 s[24:25], s[24:25], s[28:29]
	s_or_b64 exec, exec, s[26:27]
	v_mov_b32_e32 v7, s15
	s_and_saveexec_b64 s[26:27], s[24:25]
	s_cbranch_execnz .LBB47_1466
	s_branch .LBB47_1467
.LBB47_1568:
	s_mov_b64 s[0:1], -1
                                        ; implicit-def: $vgpr6
	s_mov_b64 s[20:21], 0
.LBB47_1569:
	s_and_b64 vcc, exec, s[18:19]
	s_cbranch_vccz .LBB47_1572
; %bb.1570:
	s_waitcnt vmcnt(0)
	v_mov_b32_e32 v6, 44
	v_cmp_eq_u16_sdwa s[0:1], v5, v6 src0_sel:BYTE_0 src1_sel:DWORD
	s_and_b64 vcc, exec, s[0:1]
	s_cbranch_vccz .LBB47_1573
; %bb.1571:
	global_load_ubyte v6, v[0:1], off
	s_movk_i32 s15, 0xff
	v_mov_b32_e32 v8, 0x7f800001
	v_mov_b32_e32 v9, 0x400000
	;; [unrolled: 1-line block ×3, first 2 shown]
	s_mov_b64 s[0:1], 0
	s_mov_b64 s[20:21], -1
	s_waitcnt vmcnt(0)
	v_lshlrev_b32_e32 v11, 23, v6
	v_cmp_ne_u32_e32 vcc, s15, v6
	v_cndmask_b32_e32 v8, v8, v11, vcc
	v_cmp_ne_u32_e32 vcc, 0, v6
	v_cndmask_b32_e32 v6, v9, v8, vcc
	v_add_u32_e32 v8, 0x7fff, v6
	v_lshrrev_b32_e32 v8, 16, v8
	v_cmp_o_f32_e32 vcc, v6, v6
	v_cndmask_b32_e32 v6, v10, v8, vcc
.LBB47_1572:
	s_branch .LBB47_1577
.LBB47_1573:
	s_mov_b64 s[0:1], -1
                                        ; implicit-def: $vgpr6
	s_branch .LBB47_1577
.LBB47_1574:
	s_waitcnt vmcnt(0)
	v_mov_b32_e32 v6, 29
	v_cmp_eq_u16_sdwa s[0:1], v5, v6 src0_sel:BYTE_0 src1_sel:DWORD
	s_and_b64 vcc, exec, s[0:1]
	s_cbranch_vccz .LBB47_1576
; %bb.1575:
	global_load_dwordx2 v[8:9], v[0:1], off
	s_movk_i32 s15, 0x7fff
	s_mov_b64 s[0:1], 0
	s_mov_b64 s[20:21], -1
	s_mov_b64 s[18:19], 0
	s_waitcnt vmcnt(0)
	v_ffbh_u32_e32 v6, v9
	v_min_u32_e32 v6, 32, v6
	v_lshlrev_b64 v[8:9], v6, v[8:9]
	v_min_u32_e32 v8, 1, v8
	v_or_b32_e32 v8, v9, v8
	v_cvt_f32_u32_e32 v8, v8
	v_sub_u32_e32 v6, 32, v6
	v_ldexp_f32 v6, v8, v6
	v_bfe_u32 v8, v6, 16, 1
	v_add3_u32 v6, v6, v8, s15
	v_lshrrev_b32_e32 v6, 16, v6
	s_branch .LBB47_1578
.LBB47_1576:
	s_mov_b64 s[0:1], -1
                                        ; implicit-def: $vgpr6
.LBB47_1577:
	s_mov_b64 s[18:19], 0
.LBB47_1578:
	s_and_b64 vcc, exec, s[18:19]
	s_cbranch_vccz .LBB47_1596
; %bb.1579:
	s_waitcnt vmcnt(0)
	v_mov_b32_e32 v6, 27
	v_cmp_lt_i16_sdwa s[18:19], v5, v6 src0_sel:BYTE_0 src1_sel:DWORD
	s_and_b64 vcc, exec, s[18:19]
	s_cbranch_vccnz .LBB47_1582
; %bb.1580:
	v_cmp_gt_i16_sdwa s[18:19], v5, v6 src0_sel:BYTE_0 src1_sel:DWORD
	s_and_b64 vcc, exec, s[18:19]
	s_cbranch_vccz .LBB47_1583
; %bb.1581:
	global_load_dword v6, v[0:1], off
	s_movk_i32 s15, 0x7fff
	s_mov_b64 s[18:19], 0
	s_waitcnt vmcnt(0)
	v_cvt_f32_u32_e32 v6, v6
	v_bfe_u32 v8, v6, 16, 1
	v_add3_u32 v6, v6, v8, s15
	v_lshrrev_b32_e32 v6, 16, v6
	s_branch .LBB47_1584
.LBB47_1582:
	s_mov_b64 s[18:19], -1
                                        ; implicit-def: $vgpr6
	s_branch .LBB47_1587
.LBB47_1583:
	s_mov_b64 s[18:19], -1
                                        ; implicit-def: $vgpr6
.LBB47_1584:
	s_andn2_b64 vcc, exec, s[18:19]
	s_cbranch_vccnz .LBB47_1586
; %bb.1585:
	global_load_ushort v6, v[0:1], off
	s_movk_i32 s15, 0x7fff
	s_waitcnt vmcnt(0)
	v_cvt_f32_u32_e32 v6, v6
	v_bfe_u32 v8, v6, 16, 1
	v_add3_u32 v6, v6, v8, s15
	v_lshrrev_b32_e32 v6, 16, v6
.LBB47_1586:
	s_mov_b64 s[18:19], 0
.LBB47_1587:
	s_andn2_b64 vcc, exec, s[18:19]
	s_cbranch_vccnz .LBB47_1595
; %bb.1588:
	global_load_ubyte v6, v[0:1], off
	s_movk_i32 s15, 0x7f
	s_mov_b64 s[18:19], 0
	s_waitcnt vmcnt(0)
	v_cmp_lt_i16_e32 vcc, s15, v6
                                        ; implicit-def: $sgpr15
	s_and_saveexec_b64 s[20:21], vcc
	s_xor_b64 s[20:21], exec, s[20:21]
	s_cbranch_execz .LBB47_1608
; %bb.1589:
	s_movk_i32 s15, 0x80
	v_cmp_eq_u16_e32 vcc, s15, v6
	s_mov_b64 s[18:19], -1
                                        ; implicit-def: $sgpr15
	s_and_saveexec_b64 s[22:23], vcc
; %bb.1590:
	s_mov_b32 s15, 0x7f800001
	s_xor_b64 s[18:19], exec, -1
; %bb.1591:
	s_or_b64 exec, exec, s[22:23]
	s_and_b64 s[18:19], s[18:19], exec
	s_or_saveexec_b64 s[20:21], s[20:21]
	v_mov_b32_e32 v8, s15
	s_xor_b64 exec, exec, s[20:21]
	s_cbranch_execnz .LBB47_1609
.LBB47_1592:
	s_or_b64 exec, exec, s[20:21]
	s_and_saveexec_b64 s[20:21], s[18:19]
	s_cbranch_execz .LBB47_1594
.LBB47_1593:
	v_lshlrev_b32_e32 v8, 24, v6
	v_and_b32_e32 v6, 0xffff, v6
	v_and_b32_e32 v9, 7, v6
	v_ffbh_u32_e32 v11, v9
	v_min_u32_e32 v11, 32, v11
	v_subrev_u32_e32 v12, 28, v11
	v_bfe_u32 v10, v6, 3, 4
	v_lshlrev_b32_e32 v6, v12, v6
	v_sub_u32_e32 v11, 29, v11
	v_and_b32_e32 v6, 7, v6
	v_cmp_eq_u32_e32 vcc, 0, v10
	v_cndmask_b32_e32 v10, v10, v11, vcc
	v_cndmask_b32_e32 v6, v9, v6, vcc
	v_mov_b32_e32 v9, 0x3b800000
	v_lshlrev_b32_e32 v6, 20, v6
	v_and_b32_e32 v8, 0x80000000, v8
	v_lshl_add_u32 v9, v10, 23, v9
	v_or3_b32 v8, v8, v9, v6
.LBB47_1594:
	s_or_b64 exec, exec, s[20:21]
	v_bfe_u32 v6, v8, 16, 1
	s_movk_i32 s15, 0x7fff
	v_add3_u32 v6, v8, v6, s15
	v_lshrrev_b32_e32 v6, 16, v6
	v_mov_b32_e32 v9, 0x7fc0
	v_cmp_o_f32_e32 vcc, v8, v8
	v_cndmask_b32_e32 v6, v9, v6, vcc
.LBB47_1595:
	s_mov_b64 s[20:21], -1
.LBB47_1596:
	s_branch .LBB47_1628
.LBB47_1597:
	s_waitcnt vmcnt(0)
	v_mov_b32_e32 v6, 22
	v_cmp_gt_i16_sdwa s[16:17], v5, v6 src0_sel:BYTE_0 src1_sel:DWORD
	s_and_b64 vcc, exec, s[16:17]
	s_cbranch_vccz .LBB47_1607
; %bb.1598:
	v_mov_b32_e32 v6, 24
	v_cmp_lt_i16_sdwa s[16:17], v5, v6 src0_sel:BYTE_0 src1_sel:DWORD
	s_and_b64 vcc, exec, s[16:17]
	s_cbranch_vccnz .LBB47_1610
; %bb.1599:
	v_cmp_gt_i16_sdwa s[16:17], v5, v6 src0_sel:BYTE_0 src1_sel:DWORD
	s_and_b64 vcc, exec, s[16:17]
	s_cbranch_vccz .LBB47_1611
; %bb.1600:
	global_load_ubyte v6, v[0:1], off
	s_movk_i32 s15, 0x7f
	s_mov_b64 s[16:17], 0
	s_waitcnt vmcnt(0)
	v_cmp_lt_i16_e32 vcc, s15, v6
                                        ; implicit-def: $sgpr15
	s_and_saveexec_b64 s[18:19], vcc
	s_xor_b64 s[18:19], exec, s[18:19]
	s_cbranch_execz .LBB47_1622
; %bb.1601:
	s_movk_i32 s15, 0x80
	v_cmp_eq_u16_e32 vcc, s15, v6
	s_mov_b64 s[16:17], -1
                                        ; implicit-def: $sgpr15
	s_and_saveexec_b64 s[20:21], vcc
; %bb.1602:
	s_mov_b32 s15, 0x7f800001
	s_xor_b64 s[16:17], exec, -1
; %bb.1603:
	s_or_b64 exec, exec, s[20:21]
	s_and_b64 s[16:17], s[16:17], exec
	s_or_saveexec_b64 s[18:19], s[18:19]
	v_mov_b32_e32 v8, s15
	s_xor_b64 exec, exec, s[18:19]
	s_cbranch_execnz .LBB47_1623
.LBB47_1604:
	s_or_b64 exec, exec, s[18:19]
	s_and_saveexec_b64 s[18:19], s[16:17]
	s_cbranch_execz .LBB47_1606
.LBB47_1605:
	v_lshlrev_b32_e32 v8, 24, v6
	v_and_b32_e32 v6, 0xffff, v6
	v_and_b32_e32 v9, 3, v6
	v_ffbh_u32_e32 v11, v9
	v_min_u32_e32 v11, 32, v11
	v_subrev_u32_e32 v12, 29, v11
	v_bfe_u32 v10, v6, 2, 5
	v_lshlrev_b32_e32 v6, v12, v6
	v_sub_u32_e32 v11, 30, v11
	v_and_b32_e32 v6, 3, v6
	v_cmp_eq_u32_e32 vcc, 0, v10
	v_cndmask_b32_e32 v10, v10, v11, vcc
	v_cndmask_b32_e32 v6, v9, v6, vcc
	v_mov_b32_e32 v9, 0x37800000
	v_lshlrev_b32_e32 v6, 21, v6
	v_and_b32_e32 v8, 0x80000000, v8
	v_lshl_add_u32 v9, v10, 23, v9
	v_or3_b32 v8, v8, v9, v6
.LBB47_1606:
	s_or_b64 exec, exec, s[18:19]
	v_bfe_u32 v6, v8, 16, 1
	s_movk_i32 s15, 0x7fff
	v_add3_u32 v6, v8, v6, s15
	v_lshrrev_b32_e32 v6, 16, v6
	v_mov_b32_e32 v9, 0x7fc0
	v_cmp_o_f32_e32 vcc, v8, v8
	v_cndmask_b32_e32 v6, v9, v6, vcc
	s_mov_b64 s[16:17], 0
	s_branch .LBB47_1612
.LBB47_1607:
                                        ; implicit-def: $vgpr6
	s_mov_b64 s[16:17], 0
	s_branch .LBB47_1618
.LBB47_1608:
	s_or_saveexec_b64 s[20:21], s[20:21]
	v_mov_b32_e32 v8, s15
	s_xor_b64 exec, exec, s[20:21]
	s_cbranch_execz .LBB47_1592
.LBB47_1609:
	v_cmp_ne_u16_e32 vcc, 0, v6
	s_andn2_b64 s[18:19], s[18:19], exec
	s_and_b64 s[22:23], vcc, exec
	v_mov_b32_e32 v8, 0
	s_or_b64 s[18:19], s[18:19], s[22:23]
	s_or_b64 exec, exec, s[20:21]
	s_and_saveexec_b64 s[20:21], s[18:19]
	s_cbranch_execnz .LBB47_1593
	s_branch .LBB47_1594
.LBB47_1610:
	s_mov_b64 s[16:17], -1
                                        ; implicit-def: $vgpr6
	s_branch .LBB47_1615
.LBB47_1611:
	s_mov_b64 s[16:17], -1
                                        ; implicit-def: $vgpr6
.LBB47_1612:
	s_and_b64 vcc, exec, s[16:17]
	s_cbranch_vccz .LBB47_1614
; %bb.1613:
	global_load_ubyte v6, v[0:1], off
	s_mov_b32 s15, 0x7f800000
	s_brev_b32 s16, 1
	s_movk_i32 s17, 0x7fff
	v_mov_b32_e32 v8, 0x7fc0
	s_waitcnt vmcnt(0)
	v_lshlrev_b32_e32 v6, 24, v6
	v_and_b32_e32 v9, 0x7f000000, v6
	v_ffbh_u32_e32 v10, v9
	v_min_u32_e32 v10, 32, v10
	v_sub_u32_e64 v10, v10, 4 clamp
	v_lshlrev_b32_e32 v12, v10, v9
	v_lshlrev_b32_e32 v10, 23, v10
	v_lshrrev_b32_e32 v12, 4, v12
	v_add_u32_e32 v11, 0x1000000, v9
	v_sub_u32_e32 v10, v12, v10
	v_ashrrev_i32_e32 v11, 8, v11
	v_add_u32_e32 v10, 0x3c000000, v10
	v_and_or_b32 v10, v11, s15, v10
	v_cmp_ne_u32_e32 vcc, 0, v9
	v_cndmask_b32_e32 v9, 0, v10, vcc
	v_and_or_b32 v6, v6, s16, v9
	v_bfe_u32 v9, v9, 16, 1
	v_add3_u32 v9, v6, v9, s17
	v_lshrrev_b32_e32 v9, 16, v9
	v_cmp_o_f32_e32 vcc, v6, v6
	v_cndmask_b32_e32 v6, v8, v9, vcc
.LBB47_1614:
	s_mov_b64 s[16:17], 0
.LBB47_1615:
	s_andn2_b64 vcc, exec, s[16:17]
	s_cbranch_vccnz .LBB47_1617
; %bb.1616:
	global_load_ubyte v6, v[0:1], off
	s_movk_i32 s15, 0x7f00
	s_brev_b32 s16, 16
	s_brev_b32 s17, 1
	s_movk_i32 s18, 0x7fff
	v_mov_b32_e32 v8, 0x7fc0
	s_waitcnt vmcnt(0)
	v_lshlrev_b16_e32 v9, 8, v6
	v_lshlrev_b32_e32 v6, 25, v6
	v_lshrrev_b32_e32 v10, 4, v6
	v_and_or_b32 v11, v9, s15, 0.5
	v_or_b32_e32 v10, 0x70000000, v10
	v_add_f32_e32 v11, -0.5, v11
	v_mul_f32_e32 v10, 0x7800000, v10
	v_cmp_gt_u32_e32 vcc, s16, v6
	v_bfe_i32 v9, v9, 0, 16
	v_cndmask_b32_e32 v6, v10, v11, vcc
	v_and_or_b32 v9, v9, s17, v6
	v_bfe_u32 v6, v6, 16, 1
	v_add3_u32 v6, v9, v6, s18
	v_lshrrev_b32_e32 v6, 16, v6
	v_cmp_o_f32_e32 vcc, v9, v9
	v_cndmask_b32_e32 v6, v8, v6, vcc
.LBB47_1617:
	s_mov_b64 s[20:21], -1
	s_mov_b64 s[16:17], 0
	s_cbranch_execnz .LBB47_1628
.LBB47_1618:
	v_mov_b32_e32 v6, 14
	v_cmp_gt_i16_sdwa s[16:17], v5, v6 src0_sel:BYTE_0 src1_sel:DWORD
	s_and_b64 vcc, exec, s[16:17]
	s_cbranch_vccz .LBB47_1621
; %bb.1619:
	v_mov_b32_e32 v6, 15
	v_cmp_eq_u16_sdwa s[0:1], v5, v6 src0_sel:BYTE_0 src1_sel:DWORD
	s_and_b64 vcc, exec, s[0:1]
	s_cbranch_vccz .LBB47_1624
; %bb.1620:
	global_load_ushort v6, v[0:1], off
	s_mov_b64 s[0:1], 0
	s_mov_b64 s[20:21], -1
	s_branch .LBB47_1625
.LBB47_1621:
	s_mov_b64 s[18:19], -1
                                        ; implicit-def: $vgpr6
	s_branch .LBB47_1626
.LBB47_1622:
	s_or_saveexec_b64 s[18:19], s[18:19]
	v_mov_b32_e32 v8, s15
	s_xor_b64 exec, exec, s[18:19]
	s_cbranch_execz .LBB47_1604
.LBB47_1623:
	v_cmp_ne_u16_e32 vcc, 0, v6
	s_andn2_b64 s[16:17], s[16:17], exec
	s_and_b64 s[20:21], vcc, exec
	v_mov_b32_e32 v8, 0
	s_or_b64 s[16:17], s[16:17], s[20:21]
	s_or_b64 exec, exec, s[18:19]
	s_and_saveexec_b64 s[18:19], s[16:17]
	s_cbranch_execnz .LBB47_1605
	s_branch .LBB47_1606
.LBB47_1624:
	s_mov_b64 s[0:1], -1
                                        ; implicit-def: $vgpr6
.LBB47_1625:
	s_mov_b64 s[18:19], 0
.LBB47_1626:
	s_mov_b64 s[16:17], 0
	s_and_b64 vcc, exec, s[18:19]
	s_cbranch_vccz .LBB47_1628
; %bb.1627:
	s_waitcnt vmcnt(0)
	v_mov_b32_e32 v6, 11
	v_cmp_ne_u16_sdwa s[0:1], v5, v6 src0_sel:BYTE_0 src1_sel:DWORD
	s_mov_b64 s[16:17], -1
                                        ; implicit-def: $vgpr6
.LBB47_1628:
	s_and_b64 vcc, exec, s[0:1]
	s_mov_b64 s[18:19], s[6:7]
	s_cbranch_vccnz .LBB47_1689
; %bb.1629:
	s_andn2_b64 vcc, exec, s[16:17]
	s_cbranch_vccnz .LBB47_1631
.LBB47_1630:
	global_load_ubyte v6, v[0:1], off
	s_mov_b64 s[20:21], -1
	s_waitcnt vmcnt(0)
	v_cmp_ne_u16_e32 vcc, 0, v6
	v_cndmask_b32_e64 v6, 0, 1.0, vcc
	v_lshrrev_b32_e32 v6, 16, v6
.LBB47_1631:
	s_branch .LBB47_1561
.LBB47_1632:
	s_waitcnt vmcnt(0)
	v_mov_b32_e32 v6, 5
	v_cmp_lt_i16_sdwa s[0:1], v5, v6 src0_sel:BYTE_0 src1_sel:DWORD
	s_and_b64 vcc, exec, s[0:1]
	s_cbranch_vccnz .LBB47_1637
; %bb.1633:
	v_mov_b32_e32 v6, 8
	v_cmp_lt_i16_sdwa s[0:1], v5, v6 src0_sel:BYTE_0 src1_sel:DWORD
	s_and_b64 vcc, exec, s[0:1]
	s_cbranch_vccnz .LBB47_1638
; %bb.1634:
	;; [unrolled: 5-line block ×3, first 2 shown]
	v_cmp_gt_i16_sdwa s[0:1], v5, v6 src0_sel:BYTE_0 src1_sel:DWORD
	s_and_b64 vcc, exec, s[0:1]
	s_cbranch_vccz .LBB47_1640
; %bb.1636:
	global_load_dwordx2 v[8:9], v[0:1], off
	s_movk_i32 s0, 0x7fff
	v_mov_b32_e32 v6, 0x7fc0
	s_waitcnt vmcnt(0)
	v_cvt_f32_f64_e32 v8, v[8:9]
	v_bfe_u32 v9, v8, 16, 1
	v_add3_u32 v9, v8, v9, s0
	v_lshrrev_b32_e32 v9, 16, v9
	v_cmp_o_f32_e32 vcc, v8, v8
	v_cndmask_b32_e32 v6, v6, v9, vcc
	s_mov_b64 s[0:1], 0
	s_branch .LBB47_1641
.LBB47_1637:
                                        ; implicit-def: $vgpr6
	s_branch .LBB47_1658
.LBB47_1638:
                                        ; implicit-def: $vgpr6
	s_branch .LBB47_1647
.LBB47_1639:
	s_mov_b64 s[0:1], -1
                                        ; implicit-def: $vgpr6
	s_branch .LBB47_1644
.LBB47_1640:
	s_mov_b64 s[0:1], -1
                                        ; implicit-def: $vgpr6
.LBB47_1641:
	s_andn2_b64 vcc, exec, s[0:1]
	s_cbranch_vccnz .LBB47_1643
; %bb.1642:
	global_load_dword v6, v[0:1], off
	s_movk_i32 s0, 0x7fff
	v_mov_b32_e32 v8, 0x7fc0
	s_waitcnt vmcnt(0)
	v_bfe_u32 v9, v6, 16, 1
	v_add3_u32 v9, v6, v9, s0
	v_lshrrev_b32_e32 v9, 16, v9
	v_cmp_o_f32_e32 vcc, v6, v6
	v_cndmask_b32_e32 v6, v8, v9, vcc
.LBB47_1643:
	s_mov_b64 s[0:1], 0
.LBB47_1644:
	s_andn2_b64 vcc, exec, s[0:1]
	s_cbranch_vccnz .LBB47_1646
; %bb.1645:
	global_load_dword v6, v[0:1], off
	s_movk_i32 s0, 0x7fff
	v_mov_b32_e32 v9, 0x7fc0
	s_waitcnt vmcnt(0)
	v_cvt_f32_f16_e32 v8, v6
	v_cmp_o_f16_e32 vcc, v6, v6
	v_bfe_u32 v10, v8, 16, 1
	v_add3_u32 v8, v8, v10, s0
	v_lshrrev_b32_e32 v8, 16, v8
	v_cndmask_b32_e32 v6, v9, v8, vcc
.LBB47_1646:
	s_cbranch_execnz .LBB47_1657
.LBB47_1647:
	v_mov_b32_e32 v6, 6
	v_cmp_lt_i16_sdwa s[0:1], v5, v6 src0_sel:BYTE_0 src1_sel:DWORD
	s_and_b64 vcc, exec, s[0:1]
	s_cbranch_vccnz .LBB47_1650
; %bb.1648:
	v_cmp_gt_i16_sdwa s[0:1], v5, v6 src0_sel:BYTE_0 src1_sel:DWORD
	s_and_b64 vcc, exec, s[0:1]
	s_cbranch_vccz .LBB47_1651
; %bb.1649:
	global_load_dwordx2 v[8:9], v[0:1], off
	s_movk_i32 s0, 0x7fff
	v_mov_b32_e32 v6, 0x7fc0
	s_waitcnt vmcnt(0)
	v_cvt_f32_f64_e32 v8, v[8:9]
	v_bfe_u32 v9, v8, 16, 1
	v_add3_u32 v9, v8, v9, s0
	v_lshrrev_b32_e32 v9, 16, v9
	v_cmp_o_f32_e32 vcc, v8, v8
	v_cndmask_b32_e32 v6, v6, v9, vcc
	s_mov_b64 s[0:1], 0
	s_branch .LBB47_1652
.LBB47_1650:
	s_mov_b64 s[0:1], -1
                                        ; implicit-def: $vgpr6
	s_branch .LBB47_1655
.LBB47_1651:
	s_mov_b64 s[0:1], -1
                                        ; implicit-def: $vgpr6
.LBB47_1652:
	s_andn2_b64 vcc, exec, s[0:1]
	s_cbranch_vccnz .LBB47_1654
; %bb.1653:
	global_load_dword v6, v[0:1], off
	s_movk_i32 s0, 0x7fff
	v_mov_b32_e32 v8, 0x7fc0
	s_waitcnt vmcnt(0)
	v_bfe_u32 v9, v6, 16, 1
	v_add3_u32 v9, v6, v9, s0
	v_lshrrev_b32_e32 v9, 16, v9
	v_cmp_o_f32_e32 vcc, v6, v6
	v_cndmask_b32_e32 v6, v8, v9, vcc
.LBB47_1654:
	s_mov_b64 s[0:1], 0
.LBB47_1655:
	s_andn2_b64 vcc, exec, s[0:1]
	s_cbranch_vccnz .LBB47_1657
; %bb.1656:
	global_load_ushort v6, v[0:1], off
	s_movk_i32 s0, 0x7fff
	v_mov_b32_e32 v9, 0x7fc0
	s_waitcnt vmcnt(0)
	v_cvt_f32_f16_e32 v8, v6
	v_cmp_o_f16_e32 vcc, v6, v6
	v_bfe_u32 v10, v8, 16, 1
	v_add3_u32 v8, v8, v10, s0
	v_lshrrev_b32_e32 v8, 16, v8
	v_cndmask_b32_e32 v6, v9, v8, vcc
.LBB47_1657:
	s_cbranch_execnz .LBB47_1676
.LBB47_1658:
	v_mov_b32_e32 v6, 2
	v_cmp_lt_i16_sdwa s[0:1], v5, v6 src0_sel:BYTE_0 src1_sel:DWORD
	s_and_b64 vcc, exec, s[0:1]
	s_cbranch_vccnz .LBB47_1662
; %bb.1659:
	v_mov_b32_e32 v6, 3
	v_cmp_lt_i16_sdwa s[0:1], v5, v6 src0_sel:BYTE_0 src1_sel:DWORD
	s_and_b64 vcc, exec, s[0:1]
	s_cbranch_vccnz .LBB47_1663
; %bb.1660:
	v_cmp_gt_i16_sdwa s[0:1], v5, v6 src0_sel:BYTE_0 src1_sel:DWORD
	s_and_b64 vcc, exec, s[0:1]
	s_cbranch_vccz .LBB47_1664
; %bb.1661:
	global_load_dwordx2 v[8:9], v[0:1], off
	s_movk_i32 s0, 0x7fff
	s_waitcnt vmcnt(0)
	v_xor_b32_e32 v10, v8, v9
	v_ffbh_i32_e32 v6, v9
	v_ashrrev_i32_e32 v10, 31, v10
	v_add_u32_e32 v6, -1, v6
	v_add_u32_e32 v10, 32, v10
	v_min_u32_e32 v6, v6, v10
	v_lshlrev_b64 v[8:9], v6, v[8:9]
	v_min_u32_e32 v8, 1, v8
	v_or_b32_e32 v8, v9, v8
	v_cvt_f32_i32_e32 v8, v8
	v_sub_u32_e32 v6, 32, v6
	v_ldexp_f32 v6, v8, v6
	v_bfe_u32 v8, v6, 16, 1
	v_add3_u32 v6, v6, v8, s0
	v_lshrrev_b32_e32 v6, 16, v6
	s_mov_b64 s[0:1], 0
	s_branch .LBB47_1665
.LBB47_1662:
                                        ; implicit-def: $vgpr6
	s_branch .LBB47_1671
.LBB47_1663:
	s_mov_b64 s[0:1], -1
                                        ; implicit-def: $vgpr6
	s_branch .LBB47_1668
.LBB47_1664:
	s_mov_b64 s[0:1], -1
                                        ; implicit-def: $vgpr6
.LBB47_1665:
	s_andn2_b64 vcc, exec, s[0:1]
	s_cbranch_vccnz .LBB47_1667
; %bb.1666:
	global_load_dword v6, v[0:1], off
	s_movk_i32 s0, 0x7fff
	s_waitcnt vmcnt(0)
	v_cvt_f32_i32_e32 v6, v6
	v_bfe_u32 v8, v6, 16, 1
	v_add3_u32 v6, v6, v8, s0
	v_lshrrev_b32_e32 v6, 16, v6
.LBB47_1667:
	s_mov_b64 s[0:1], 0
.LBB47_1668:
	s_andn2_b64 vcc, exec, s[0:1]
	s_cbranch_vccnz .LBB47_1670
; %bb.1669:
	global_load_sshort v6, v[0:1], off
	s_movk_i32 s0, 0x7fff
	s_waitcnt vmcnt(0)
	v_cvt_f32_i32_e32 v6, v6
	v_bfe_u32 v8, v6, 16, 1
	v_add3_u32 v6, v6, v8, s0
	v_lshrrev_b32_e32 v6, 16, v6
.LBB47_1670:
	s_cbranch_execnz .LBB47_1676
.LBB47_1671:
	v_mov_b32_e32 v6, 0
	v_cmp_gt_i16_sdwa s[0:1], v5, v6 src0_sel:BYTE_0 src1_sel:DWORD
	s_and_b64 vcc, exec, s[0:1]
	s_cbranch_vccz .LBB47_1673
; %bb.1672:
	global_load_sbyte v6, v[0:1], off
	s_movk_i32 s0, 0x7fff
	s_waitcnt vmcnt(0)
	v_cvt_f32_i32_e32 v6, v6
	v_bfe_u32 v8, v6, 16, 1
	v_add3_u32 v6, v6, v8, s0
	v_lshrrev_b32_e32 v6, 16, v6
	s_mov_b64 s[0:1], 0
	s_branch .LBB47_1674
.LBB47_1673:
	s_mov_b64 s[0:1], -1
                                        ; implicit-def: $vgpr6
.LBB47_1674:
	s_andn2_b64 vcc, exec, s[0:1]
	s_cbranch_vccnz .LBB47_1676
; %bb.1675:
	global_load_ubyte v0, v[0:1], off
	s_movk_i32 s0, 0x7fff
	s_waitcnt vmcnt(0)
	v_cvt_f32_ubyte0_e32 v0, v0
	v_bfe_u32 v1, v0, 16, 1
	v_add3_u32 v0, v0, v1, s0
	v_lshrrev_b32_e32 v6, 16, v0
.LBB47_1676:
.LBB47_1677:
	v_mul_lo_u32 v8, s14, v3
	v_ashrrev_i32_e32 v1, 31, v8
	v_mov_b32_e32 v9, s3
	v_add_co_u32_e32 v0, vcc, s2, v8
	v_addc_co_u32_e32 v1, vcc, v9, v1, vcc
	v_mov_b32_e32 v9, 11
	v_cmp_lt_i16_sdwa s[0:1], v4, v9 src0_sel:BYTE_0 src1_sel:DWORD
	s_and_b64 vcc, exec, s[0:1]
	s_cbranch_vccnz .LBB47_1684
; %bb.1678:
	v_mov_b32_e32 v9, 25
	v_cmp_gt_i16_sdwa s[0:1], v4, v9 src0_sel:BYTE_0 src1_sel:DWORD
	s_mov_b64 s[16:17], 0
	s_and_b64 vcc, exec, s[0:1]
	s_cbranch_vccz .LBB47_1686
; %bb.1679:
	v_mov_b32_e32 v9, 28
	v_cmp_gt_i16_sdwa s[0:1], v4, v9 src0_sel:BYTE_0 src1_sel:DWORD
	s_and_b64 vcc, exec, s[0:1]
	s_cbranch_vccz .LBB47_1687
; %bb.1680:
	v_mov_b32_e32 v9, 43
	v_cmp_gt_i16_sdwa s[0:1], v4, v9 src0_sel:BYTE_0 src1_sel:DWORD
	;; [unrolled: 5-line block ×3, first 2 shown]
	s_and_b64 vcc, exec, s[0:1]
	s_cbranch_vccz .LBB47_1690
; %bb.1682:
	v_mov_b32_e32 v9, 46
	v_cmp_eq_u16_sdwa s[0:1], v4, v9 src0_sel:BYTE_0 src1_sel:DWORD
	s_mov_b64 s[22:23], 0
	s_and_b64 vcc, exec, s[0:1]
	s_cbranch_vccz .LBB47_1693
; %bb.1683:
	global_load_dword v9, v[0:1], off
	s_mov_b64 s[0:1], 0
	s_mov_b64 s[20:21], -1
	s_branch .LBB47_1694
.LBB47_1684:
	s_mov_b64 s[20:21], 0
                                        ; implicit-def: $vgpr9
	s_cbranch_execnz .LBB47_1759
.LBB47_1685:
	s_andn2_b64 vcc, exec, s[20:21]
	s_cbranch_vccnz .LBB47_2602
	s_branch .LBB47_1806
.LBB47_1686:
	s_mov_b64 s[20:21], 0
	s_mov_b64 s[0:1], 0
                                        ; implicit-def: $vgpr9
	s_cbranch_execnz .LBB47_1723
	s_branch .LBB47_1755
.LBB47_1687:
	s_mov_b64 s[22:23], -1
	s_mov_b64 s[20:21], 0
	s_mov_b64 s[0:1], 0
                                        ; implicit-def: $vgpr9
	s_branch .LBB47_1704
.LBB47_1688:
	s_mov_b64 s[22:23], -1
	s_mov_b64 s[20:21], 0
	s_mov_b64 s[0:1], 0
                                        ; implicit-def: $vgpr9
	s_branch .LBB47_1699
.LBB47_1689:
	s_or_b64 s[18:19], s[6:7], exec
	s_trap 2
                                        ; implicit-def: $vgpr6
	s_cbranch_execz .LBB47_1630
	s_branch .LBB47_1631
.LBB47_1690:
	s_mov_b64 s[22:23], -1
	s_mov_b64 s[20:21], 0
	s_mov_b64 s[0:1], 0
                                        ; implicit-def: $vgpr9
	s_branch .LBB47_1694
.LBB47_1691:
	s_or_saveexec_b64 s[28:29], s[28:29]
                                        ; implicit-def: $sgpr15
	s_xor_b64 exec, exec, s[28:29]
	s_cbranch_execz .LBB47_1477
.LBB47_1692:
	s_mov_b32 s15, 0x42800000
	v_add_f32_e64 v3, |v5|, s15
	v_and_b32_e32 v3, 0xff, v3
	v_cmp_ne_u32_e32 vcc, 0, v3
	s_andn2_b64 s[26:27], s[26:27], exec
	s_and_b64 s[30:31], vcc, exec
	s_mov_b32 s15, 0
	s_or_b64 s[26:27], s[26:27], s[30:31]
	s_or_b64 exec, exec, s[28:29]
	v_mov_b32_e32 v7, s15
	s_and_saveexec_b64 s[28:29], s[26:27]
	s_cbranch_execnz .LBB47_1478
	s_branch .LBB47_1479
.LBB47_1693:
	s_mov_b64 s[0:1], -1
                                        ; implicit-def: $vgpr9
	s_mov_b64 s[20:21], 0
.LBB47_1694:
	s_and_b64 vcc, exec, s[22:23]
	s_cbranch_vccz .LBB47_1698
; %bb.1695:
	s_waitcnt vmcnt(0)
	v_mov_b32_e32 v9, 44
	v_cmp_eq_u16_sdwa s[0:1], v4, v9 src0_sel:BYTE_0 src1_sel:DWORD
	s_and_b64 vcc, exec, s[0:1]
	s_cbranch_vccz .LBB47_1697
; %bb.1696:
	global_load_ubyte v9, v[0:1], off
	s_movk_i32 s15, 0xff
	v_mov_b32_e32 v10, 0x7f800001
	v_mov_b32_e32 v11, 0x400000
	;; [unrolled: 1-line block ×3, first 2 shown]
	s_mov_b64 s[0:1], 0
	s_mov_b64 s[20:21], -1
	s_waitcnt vmcnt(0)
	v_lshlrev_b32_e32 v13, 23, v9
	v_cmp_ne_u32_e32 vcc, s15, v9
	v_cndmask_b32_e32 v10, v10, v13, vcc
	v_cmp_ne_u32_e32 vcc, 0, v9
	v_cndmask_b32_e32 v9, v11, v10, vcc
	v_add_u32_e32 v10, 0x7fff, v9
	v_lshrrev_b32_e32 v10, 16, v10
	v_cmp_o_f32_e32 vcc, v9, v9
	v_cndmask_b32_e32 v9, v12, v10, vcc
	s_branch .LBB47_1698
.LBB47_1697:
	s_mov_b64 s[0:1], -1
                                        ; implicit-def: $vgpr9
.LBB47_1698:
	s_mov_b64 s[22:23], 0
.LBB47_1699:
	s_and_b64 vcc, exec, s[22:23]
	s_cbranch_vccz .LBB47_1703
; %bb.1700:
	s_waitcnt vmcnt(0)
	v_mov_b32_e32 v9, 29
	v_cmp_eq_u16_sdwa s[0:1], v4, v9 src0_sel:BYTE_0 src1_sel:DWORD
	s_and_b64 vcc, exec, s[0:1]
	s_cbranch_vccz .LBB47_1702
; %bb.1701:
	global_load_dwordx2 v[10:11], v[0:1], off
	s_movk_i32 s15, 0x7fff
	s_mov_b64 s[0:1], 0
	s_mov_b64 s[20:21], -1
	s_mov_b64 s[22:23], 0
	s_waitcnt vmcnt(0)
	v_ffbh_u32_e32 v9, v11
	v_min_u32_e32 v9, 32, v9
	v_lshlrev_b64 v[10:11], v9, v[10:11]
	v_min_u32_e32 v10, 1, v10
	v_or_b32_e32 v10, v11, v10
	v_cvt_f32_u32_e32 v10, v10
	v_sub_u32_e32 v9, 32, v9
	v_ldexp_f32 v9, v10, v9
	v_bfe_u32 v10, v9, 16, 1
	v_add3_u32 v9, v9, v10, s15
	v_lshrrev_b32_e32 v9, 16, v9
	s_branch .LBB47_1704
.LBB47_1702:
	s_mov_b64 s[0:1], -1
                                        ; implicit-def: $vgpr9
.LBB47_1703:
	s_mov_b64 s[22:23], 0
.LBB47_1704:
	s_and_b64 vcc, exec, s[22:23]
	s_cbranch_vccz .LBB47_1722
; %bb.1705:
	s_waitcnt vmcnt(0)
	v_mov_b32_e32 v9, 27
	v_cmp_lt_i16_sdwa s[20:21], v4, v9 src0_sel:BYTE_0 src1_sel:DWORD
	s_and_b64 vcc, exec, s[20:21]
	s_cbranch_vccnz .LBB47_1708
; %bb.1706:
	v_cmp_gt_i16_sdwa s[20:21], v4, v9 src0_sel:BYTE_0 src1_sel:DWORD
	s_and_b64 vcc, exec, s[20:21]
	s_cbranch_vccz .LBB47_1709
; %bb.1707:
	global_load_dword v9, v[0:1], off
	s_movk_i32 s15, 0x7fff
	s_mov_b64 s[20:21], 0
	s_waitcnt vmcnt(0)
	v_cvt_f32_u32_e32 v9, v9
	v_bfe_u32 v10, v9, 16, 1
	v_add3_u32 v9, v9, v10, s15
	v_lshrrev_b32_e32 v9, 16, v9
	s_branch .LBB47_1710
.LBB47_1708:
	s_mov_b64 s[20:21], -1
                                        ; implicit-def: $vgpr9
	s_branch .LBB47_1713
.LBB47_1709:
	s_mov_b64 s[20:21], -1
                                        ; implicit-def: $vgpr9
.LBB47_1710:
	s_andn2_b64 vcc, exec, s[20:21]
	s_cbranch_vccnz .LBB47_1712
; %bb.1711:
	global_load_ushort v9, v[0:1], off
	s_movk_i32 s15, 0x7fff
	s_waitcnt vmcnt(0)
	v_cvt_f32_u32_e32 v9, v9
	v_bfe_u32 v10, v9, 16, 1
	v_add3_u32 v9, v9, v10, s15
	v_lshrrev_b32_e32 v9, 16, v9
.LBB47_1712:
	s_mov_b64 s[20:21], 0
.LBB47_1713:
	s_andn2_b64 vcc, exec, s[20:21]
	s_cbranch_vccnz .LBB47_1721
; %bb.1714:
	global_load_ubyte v9, v[0:1], off
	s_movk_i32 s15, 0x7f
	s_mov_b64 s[20:21], 0
	s_waitcnt vmcnt(0)
	v_cmp_lt_i16_e32 vcc, s15, v9
                                        ; implicit-def: $sgpr15
	s_and_saveexec_b64 s[22:23], vcc
	s_xor_b64 s[22:23], exec, s[22:23]
	s_cbranch_execz .LBB47_1734
; %bb.1715:
	s_movk_i32 s15, 0x80
	v_cmp_eq_u16_e32 vcc, s15, v9
	s_mov_b64 s[20:21], -1
                                        ; implicit-def: $sgpr15
	s_and_saveexec_b64 s[24:25], vcc
; %bb.1716:
	s_mov_b32 s15, 0x7f800001
	s_xor_b64 s[20:21], exec, -1
; %bb.1717:
	s_or_b64 exec, exec, s[24:25]
	s_and_b64 s[20:21], s[20:21], exec
	s_or_saveexec_b64 s[22:23], s[22:23]
	v_mov_b32_e32 v10, s15
	s_xor_b64 exec, exec, s[22:23]
	s_cbranch_execnz .LBB47_1735
.LBB47_1718:
	s_or_b64 exec, exec, s[22:23]
	s_and_saveexec_b64 s[22:23], s[20:21]
	s_cbranch_execz .LBB47_1720
.LBB47_1719:
	v_lshlrev_b32_e32 v10, 24, v9
	v_and_b32_e32 v9, 0xffff, v9
	v_and_b32_e32 v11, 7, v9
	v_ffbh_u32_e32 v13, v11
	v_min_u32_e32 v13, 32, v13
	v_subrev_u32_e32 v14, 28, v13
	v_bfe_u32 v12, v9, 3, 4
	v_lshlrev_b32_e32 v9, v14, v9
	v_sub_u32_e32 v13, 29, v13
	v_and_b32_e32 v9, 7, v9
	v_cmp_eq_u32_e32 vcc, 0, v12
	v_cndmask_b32_e32 v12, v12, v13, vcc
	v_cndmask_b32_e32 v9, v11, v9, vcc
	v_mov_b32_e32 v11, 0x3b800000
	v_lshlrev_b32_e32 v9, 20, v9
	v_and_b32_e32 v10, 0x80000000, v10
	v_lshl_add_u32 v11, v12, 23, v11
	v_or3_b32 v10, v10, v11, v9
.LBB47_1720:
	s_or_b64 exec, exec, s[22:23]
	v_bfe_u32 v9, v10, 16, 1
	s_movk_i32 s15, 0x7fff
	v_add3_u32 v9, v10, v9, s15
	v_lshrrev_b32_e32 v9, 16, v9
	v_mov_b32_e32 v11, 0x7fc0
	v_cmp_o_f32_e32 vcc, v10, v10
	v_cndmask_b32_e32 v9, v11, v9, vcc
.LBB47_1721:
	s_mov_b64 s[20:21], -1
.LBB47_1722:
	s_branch .LBB47_1755
.LBB47_1723:
	s_waitcnt vmcnt(0)
	v_mov_b32_e32 v9, 22
	v_cmp_gt_i16_sdwa s[16:17], v4, v9 src0_sel:BYTE_0 src1_sel:DWORD
	s_and_b64 vcc, exec, s[16:17]
	s_cbranch_vccz .LBB47_1733
; %bb.1724:
	v_mov_b32_e32 v9, 24
	v_cmp_lt_i16_sdwa s[16:17], v4, v9 src0_sel:BYTE_0 src1_sel:DWORD
	s_and_b64 vcc, exec, s[16:17]
	s_cbranch_vccnz .LBB47_1736
; %bb.1725:
	v_cmp_gt_i16_sdwa s[16:17], v4, v9 src0_sel:BYTE_0 src1_sel:DWORD
	s_and_b64 vcc, exec, s[16:17]
	s_cbranch_vccz .LBB47_1737
; %bb.1726:
	global_load_ubyte v9, v[0:1], off
	s_movk_i32 s15, 0x7f
	s_mov_b64 s[16:17], 0
	s_waitcnt vmcnt(0)
	v_cmp_lt_i16_e32 vcc, s15, v9
                                        ; implicit-def: $sgpr15
	s_and_saveexec_b64 s[20:21], vcc
	s_xor_b64 s[20:21], exec, s[20:21]
	s_cbranch_execz .LBB47_1749
; %bb.1727:
	s_movk_i32 s15, 0x80
	v_cmp_eq_u16_e32 vcc, s15, v9
	s_mov_b64 s[16:17], -1
                                        ; implicit-def: $sgpr15
	s_and_saveexec_b64 s[22:23], vcc
; %bb.1728:
	s_mov_b32 s15, 0x7f800001
	s_xor_b64 s[16:17], exec, -1
; %bb.1729:
	s_or_b64 exec, exec, s[22:23]
	s_and_b64 s[16:17], s[16:17], exec
	s_or_saveexec_b64 s[20:21], s[20:21]
	v_mov_b32_e32 v10, s15
	s_xor_b64 exec, exec, s[20:21]
	s_cbranch_execnz .LBB47_1750
.LBB47_1730:
	s_or_b64 exec, exec, s[20:21]
	s_and_saveexec_b64 s[20:21], s[16:17]
	s_cbranch_execz .LBB47_1732
.LBB47_1731:
	v_lshlrev_b32_e32 v10, 24, v9
	v_and_b32_e32 v9, 0xffff, v9
	v_and_b32_e32 v11, 3, v9
	v_ffbh_u32_e32 v13, v11
	v_min_u32_e32 v13, 32, v13
	v_subrev_u32_e32 v14, 29, v13
	v_bfe_u32 v12, v9, 2, 5
	v_lshlrev_b32_e32 v9, v14, v9
	v_sub_u32_e32 v13, 30, v13
	v_and_b32_e32 v9, 3, v9
	v_cmp_eq_u32_e32 vcc, 0, v12
	v_cndmask_b32_e32 v12, v12, v13, vcc
	v_cndmask_b32_e32 v9, v11, v9, vcc
	v_mov_b32_e32 v11, 0x37800000
	v_lshlrev_b32_e32 v9, 21, v9
	v_and_b32_e32 v10, 0x80000000, v10
	v_lshl_add_u32 v11, v12, 23, v11
	v_or3_b32 v10, v10, v11, v9
.LBB47_1732:
	s_or_b64 exec, exec, s[20:21]
	v_bfe_u32 v9, v10, 16, 1
	s_movk_i32 s15, 0x7fff
	v_add3_u32 v9, v10, v9, s15
	v_lshrrev_b32_e32 v9, 16, v9
	v_mov_b32_e32 v11, 0x7fc0
	v_cmp_o_f32_e32 vcc, v10, v10
	v_cndmask_b32_e32 v9, v11, v9, vcc
	s_mov_b64 s[16:17], 0
	s_branch .LBB47_1738
.LBB47_1733:
	s_mov_b64 s[16:17], -1
                                        ; implicit-def: $vgpr9
	s_branch .LBB47_1744
.LBB47_1734:
	s_or_saveexec_b64 s[22:23], s[22:23]
	v_mov_b32_e32 v10, s15
	s_xor_b64 exec, exec, s[22:23]
	s_cbranch_execz .LBB47_1718
.LBB47_1735:
	v_cmp_ne_u16_e32 vcc, 0, v9
	s_andn2_b64 s[20:21], s[20:21], exec
	s_and_b64 s[24:25], vcc, exec
	v_mov_b32_e32 v10, 0
	s_or_b64 s[20:21], s[20:21], s[24:25]
	s_or_b64 exec, exec, s[22:23]
	s_and_saveexec_b64 s[22:23], s[20:21]
	s_cbranch_execnz .LBB47_1719
	s_branch .LBB47_1720
.LBB47_1736:
	s_mov_b64 s[16:17], -1
                                        ; implicit-def: $vgpr9
	s_branch .LBB47_1741
.LBB47_1737:
	s_mov_b64 s[16:17], -1
                                        ; implicit-def: $vgpr9
.LBB47_1738:
	s_and_b64 vcc, exec, s[16:17]
	s_cbranch_vccz .LBB47_1740
; %bb.1739:
	global_load_ubyte v9, v[0:1], off
	s_mov_b32 s15, 0x7f800000
	s_brev_b32 s16, 1
	s_movk_i32 s17, 0x7fff
	v_mov_b32_e32 v10, 0x7fc0
	s_waitcnt vmcnt(0)
	v_lshlrev_b32_e32 v9, 24, v9
	v_and_b32_e32 v11, 0x7f000000, v9
	v_ffbh_u32_e32 v12, v11
	v_min_u32_e32 v12, 32, v12
	v_sub_u32_e64 v12, v12, 4 clamp
	v_lshlrev_b32_e32 v14, v12, v11
	v_lshlrev_b32_e32 v12, 23, v12
	v_lshrrev_b32_e32 v14, 4, v14
	v_add_u32_e32 v13, 0x1000000, v11
	v_sub_u32_e32 v12, v14, v12
	v_ashrrev_i32_e32 v13, 8, v13
	v_add_u32_e32 v12, 0x3c000000, v12
	v_and_or_b32 v12, v13, s15, v12
	v_cmp_ne_u32_e32 vcc, 0, v11
	v_cndmask_b32_e32 v11, 0, v12, vcc
	v_and_or_b32 v9, v9, s16, v11
	v_bfe_u32 v11, v11, 16, 1
	v_add3_u32 v11, v9, v11, s17
	v_lshrrev_b32_e32 v11, 16, v11
	v_cmp_o_f32_e32 vcc, v9, v9
	v_cndmask_b32_e32 v9, v10, v11, vcc
.LBB47_1740:
	s_mov_b64 s[16:17], 0
.LBB47_1741:
	s_andn2_b64 vcc, exec, s[16:17]
	s_cbranch_vccnz .LBB47_1743
; %bb.1742:
	global_load_ubyte v9, v[0:1], off
	s_movk_i32 s15, 0x7f00
	s_brev_b32 s16, 16
	s_brev_b32 s17, 1
	s_movk_i32 s20, 0x7fff
	v_mov_b32_e32 v10, 0x7fc0
	s_waitcnt vmcnt(0)
	v_lshlrev_b16_e32 v11, 8, v9
	v_lshlrev_b32_e32 v9, 25, v9
	v_lshrrev_b32_e32 v12, 4, v9
	v_and_or_b32 v13, v11, s15, 0.5
	v_or_b32_e32 v12, 0x70000000, v12
	v_add_f32_e32 v13, -0.5, v13
	v_mul_f32_e32 v12, 0x7800000, v12
	v_cmp_gt_u32_e32 vcc, s16, v9
	v_bfe_i32 v11, v11, 0, 16
	v_cndmask_b32_e32 v9, v12, v13, vcc
	v_and_or_b32 v11, v11, s17, v9
	v_bfe_u32 v9, v9, 16, 1
	v_add3_u32 v9, v11, v9, s20
	v_lshrrev_b32_e32 v9, 16, v9
	v_cmp_o_f32_e32 vcc, v11, v11
	v_cndmask_b32_e32 v9, v10, v9, vcc
.LBB47_1743:
	s_mov_b64 s[16:17], 0
	s_mov_b64 s[20:21], -1
.LBB47_1744:
	s_andn2_b64 vcc, exec, s[16:17]
	s_mov_b64 s[16:17], 0
	s_cbranch_vccnz .LBB47_1755
; %bb.1745:
	v_mov_b32_e32 v9, 14
	v_cmp_gt_i16_sdwa s[16:17], v4, v9 src0_sel:BYTE_0 src1_sel:DWORD
	s_and_b64 vcc, exec, s[16:17]
	s_cbranch_vccz .LBB47_1748
; %bb.1746:
	v_mov_b32_e32 v9, 15
	v_cmp_eq_u16_sdwa s[0:1], v4, v9 src0_sel:BYTE_0 src1_sel:DWORD
	s_and_b64 vcc, exec, s[0:1]
	s_cbranch_vccz .LBB47_1751
; %bb.1747:
	global_load_ushort v9, v[0:1], off
	s_mov_b64 s[0:1], 0
	s_mov_b64 s[20:21], -1
	s_branch .LBB47_1752
.LBB47_1748:
	s_mov_b64 s[22:23], -1
                                        ; implicit-def: $vgpr9
	s_branch .LBB47_1753
.LBB47_1749:
	s_or_saveexec_b64 s[20:21], s[20:21]
	v_mov_b32_e32 v10, s15
	s_xor_b64 exec, exec, s[20:21]
	s_cbranch_execz .LBB47_1730
.LBB47_1750:
	v_cmp_ne_u16_e32 vcc, 0, v9
	s_andn2_b64 s[16:17], s[16:17], exec
	s_and_b64 s[22:23], vcc, exec
	v_mov_b32_e32 v10, 0
	s_or_b64 s[16:17], s[16:17], s[22:23]
	s_or_b64 exec, exec, s[20:21]
	s_and_saveexec_b64 s[20:21], s[16:17]
	s_cbranch_execnz .LBB47_1731
	s_branch .LBB47_1732
.LBB47_1751:
	s_mov_b64 s[0:1], -1
                                        ; implicit-def: $vgpr9
.LBB47_1752:
	s_mov_b64 s[22:23], 0
.LBB47_1753:
	s_mov_b64 s[16:17], 0
	s_and_b64 vcc, exec, s[22:23]
	s_cbranch_vccz .LBB47_1755
; %bb.1754:
	s_waitcnt vmcnt(0)
	v_mov_b32_e32 v9, 11
	v_cmp_ne_u16_sdwa s[0:1], v4, v9 src0_sel:BYTE_0 src1_sel:DWORD
	s_mov_b64 s[16:17], -1
                                        ; implicit-def: $vgpr9
.LBB47_1755:
	s_and_b64 vcc, exec, s[0:1]
	s_cbranch_vccnz .LBB47_1820
; %bb.1756:
	s_andn2_b64 vcc, exec, s[16:17]
	s_cbranch_vccnz .LBB47_1758
.LBB47_1757:
	global_load_ubyte v9, v[0:1], off
	s_mov_b64 s[20:21], -1
	s_waitcnt vmcnt(0)
	v_cmp_ne_u16_e32 vcc, 0, v9
	v_cndmask_b32_e64 v9, 0, 1.0, vcc
	v_lshrrev_b32_e32 v9, 16, v9
.LBB47_1758:
	s_branch .LBB47_1685
.LBB47_1759:
	s_waitcnt vmcnt(0)
	v_mov_b32_e32 v9, 5
	v_cmp_lt_i16_sdwa s[0:1], v4, v9 src0_sel:BYTE_0 src1_sel:DWORD
	s_and_b64 vcc, exec, s[0:1]
	s_cbranch_vccnz .LBB47_1764
; %bb.1760:
	v_mov_b32_e32 v9, 8
	v_cmp_lt_i16_sdwa s[0:1], v4, v9 src0_sel:BYTE_0 src1_sel:DWORD
	s_and_b64 vcc, exec, s[0:1]
	s_cbranch_vccnz .LBB47_1765
; %bb.1761:
	v_mov_b32_e32 v9, 9
	v_cmp_lt_i16_sdwa s[0:1], v4, v9 src0_sel:BYTE_0 src1_sel:DWORD
	s_and_b64 vcc, exec, s[0:1]
	s_cbranch_vccnz .LBB47_1766
; %bb.1762:
	v_cmp_gt_i16_sdwa s[0:1], v4, v9 src0_sel:BYTE_0 src1_sel:DWORD
	s_and_b64 vcc, exec, s[0:1]
	s_cbranch_vccz .LBB47_1767
; %bb.1763:
	global_load_dwordx2 v[10:11], v[0:1], off
	s_movk_i32 s0, 0x7fff
	v_mov_b32_e32 v9, 0x7fc0
	s_waitcnt vmcnt(0)
	v_cvt_f32_f64_e32 v10, v[10:11]
	v_bfe_u32 v11, v10, 16, 1
	v_add3_u32 v11, v10, v11, s0
	v_lshrrev_b32_e32 v11, 16, v11
	v_cmp_o_f32_e32 vcc, v10, v10
	v_cndmask_b32_e32 v9, v9, v11, vcc
	s_mov_b64 s[0:1], 0
	s_branch .LBB47_1768
.LBB47_1764:
                                        ; implicit-def: $vgpr9
	s_branch .LBB47_1786
.LBB47_1765:
	s_mov_b64 s[0:1], -1
                                        ; implicit-def: $vgpr9
	s_branch .LBB47_1774
.LBB47_1766:
	s_mov_b64 s[0:1], -1
                                        ; implicit-def: $vgpr9
	s_branch .LBB47_1771
.LBB47_1767:
	s_mov_b64 s[0:1], -1
                                        ; implicit-def: $vgpr9
.LBB47_1768:
	s_andn2_b64 vcc, exec, s[0:1]
	s_cbranch_vccnz .LBB47_1770
; %bb.1769:
	global_load_dword v9, v[0:1], off
	s_movk_i32 s0, 0x7fff
	v_mov_b32_e32 v10, 0x7fc0
	s_waitcnt vmcnt(0)
	v_bfe_u32 v11, v9, 16, 1
	v_add3_u32 v11, v9, v11, s0
	v_lshrrev_b32_e32 v11, 16, v11
	v_cmp_o_f32_e32 vcc, v9, v9
	v_cndmask_b32_e32 v9, v10, v11, vcc
.LBB47_1770:
	s_mov_b64 s[0:1], 0
.LBB47_1771:
	s_andn2_b64 vcc, exec, s[0:1]
	s_cbranch_vccnz .LBB47_1773
; %bb.1772:
	global_load_dword v9, v[0:1], off
	s_movk_i32 s0, 0x7fff
	v_mov_b32_e32 v11, 0x7fc0
	s_waitcnt vmcnt(0)
	v_cvt_f32_f16_e32 v10, v9
	v_cmp_o_f16_e32 vcc, v9, v9
	v_bfe_u32 v12, v10, 16, 1
	v_add3_u32 v10, v10, v12, s0
	v_lshrrev_b32_e32 v10, 16, v10
	v_cndmask_b32_e32 v9, v11, v10, vcc
.LBB47_1773:
	s_mov_b64 s[0:1], 0
.LBB47_1774:
	s_andn2_b64 vcc, exec, s[0:1]
	s_cbranch_vccnz .LBB47_1785
; %bb.1775:
	v_mov_b32_e32 v9, 6
	v_cmp_lt_i16_sdwa s[0:1], v4, v9 src0_sel:BYTE_0 src1_sel:DWORD
	s_and_b64 vcc, exec, s[0:1]
	s_cbranch_vccnz .LBB47_1778
; %bb.1776:
	v_cmp_gt_i16_sdwa s[0:1], v4, v9 src0_sel:BYTE_0 src1_sel:DWORD
	s_and_b64 vcc, exec, s[0:1]
	s_cbranch_vccz .LBB47_1779
; %bb.1777:
	global_load_dwordx2 v[10:11], v[0:1], off
	s_movk_i32 s0, 0x7fff
	v_mov_b32_e32 v9, 0x7fc0
	s_waitcnt vmcnt(0)
	v_cvt_f32_f64_e32 v10, v[10:11]
	v_bfe_u32 v11, v10, 16, 1
	v_add3_u32 v11, v10, v11, s0
	v_lshrrev_b32_e32 v11, 16, v11
	v_cmp_o_f32_e32 vcc, v10, v10
	v_cndmask_b32_e32 v9, v9, v11, vcc
	s_mov_b64 s[0:1], 0
	s_branch .LBB47_1780
.LBB47_1778:
	s_mov_b64 s[0:1], -1
                                        ; implicit-def: $vgpr9
	s_branch .LBB47_1783
.LBB47_1779:
	s_mov_b64 s[0:1], -1
                                        ; implicit-def: $vgpr9
.LBB47_1780:
	s_andn2_b64 vcc, exec, s[0:1]
	s_cbranch_vccnz .LBB47_1782
; %bb.1781:
	global_load_dword v9, v[0:1], off
	s_movk_i32 s0, 0x7fff
	v_mov_b32_e32 v10, 0x7fc0
	s_waitcnt vmcnt(0)
	v_bfe_u32 v11, v9, 16, 1
	v_add3_u32 v11, v9, v11, s0
	v_lshrrev_b32_e32 v11, 16, v11
	v_cmp_o_f32_e32 vcc, v9, v9
	v_cndmask_b32_e32 v9, v10, v11, vcc
.LBB47_1782:
	s_mov_b64 s[0:1], 0
.LBB47_1783:
	s_andn2_b64 vcc, exec, s[0:1]
	s_cbranch_vccnz .LBB47_1785
; %bb.1784:
	global_load_ushort v9, v[0:1], off
	s_movk_i32 s0, 0x7fff
	v_mov_b32_e32 v11, 0x7fc0
	s_waitcnt vmcnt(0)
	v_cvt_f32_f16_e32 v10, v9
	v_cmp_o_f16_e32 vcc, v9, v9
	v_bfe_u32 v12, v10, 16, 1
	v_add3_u32 v10, v10, v12, s0
	v_lshrrev_b32_e32 v10, 16, v10
	v_cndmask_b32_e32 v9, v11, v10, vcc
.LBB47_1785:
	s_cbranch_execnz .LBB47_1805
.LBB47_1786:
	v_mov_b32_e32 v9, 2
	v_cmp_lt_i16_sdwa s[0:1], v4, v9 src0_sel:BYTE_0 src1_sel:DWORD
	s_and_b64 vcc, exec, s[0:1]
	s_cbranch_vccnz .LBB47_1790
; %bb.1787:
	v_mov_b32_e32 v9, 3
	v_cmp_lt_i16_sdwa s[0:1], v4, v9 src0_sel:BYTE_0 src1_sel:DWORD
	s_and_b64 vcc, exec, s[0:1]
	s_cbranch_vccnz .LBB47_1791
; %bb.1788:
	v_cmp_gt_i16_sdwa s[0:1], v4, v9 src0_sel:BYTE_0 src1_sel:DWORD
	s_and_b64 vcc, exec, s[0:1]
	s_cbranch_vccz .LBB47_1792
; %bb.1789:
	global_load_dwordx2 v[10:11], v[0:1], off
	s_movk_i32 s0, 0x7fff
	s_waitcnt vmcnt(0)
	v_xor_b32_e32 v12, v10, v11
	v_ffbh_i32_e32 v9, v11
	v_ashrrev_i32_e32 v12, 31, v12
	v_add_u32_e32 v9, -1, v9
	v_add_u32_e32 v12, 32, v12
	v_min_u32_e32 v9, v9, v12
	v_lshlrev_b64 v[10:11], v9, v[10:11]
	v_min_u32_e32 v10, 1, v10
	v_or_b32_e32 v10, v11, v10
	v_cvt_f32_i32_e32 v10, v10
	v_sub_u32_e32 v9, 32, v9
	v_ldexp_f32 v9, v10, v9
	v_bfe_u32 v10, v9, 16, 1
	v_add3_u32 v9, v9, v10, s0
	v_lshrrev_b32_e32 v9, 16, v9
	s_mov_b64 s[0:1], 0
	s_branch .LBB47_1793
.LBB47_1790:
	s_mov_b64 s[0:1], -1
                                        ; implicit-def: $vgpr9
	s_branch .LBB47_1799
.LBB47_1791:
	s_mov_b64 s[0:1], -1
                                        ; implicit-def: $vgpr9
	s_branch .LBB47_1796
.LBB47_1792:
	s_mov_b64 s[0:1], -1
                                        ; implicit-def: $vgpr9
.LBB47_1793:
	s_andn2_b64 vcc, exec, s[0:1]
	s_cbranch_vccnz .LBB47_1795
; %bb.1794:
	global_load_dword v9, v[0:1], off
	s_movk_i32 s0, 0x7fff
	s_waitcnt vmcnt(0)
	v_cvt_f32_i32_e32 v9, v9
	v_bfe_u32 v10, v9, 16, 1
	v_add3_u32 v9, v9, v10, s0
	v_lshrrev_b32_e32 v9, 16, v9
.LBB47_1795:
	s_mov_b64 s[0:1], 0
.LBB47_1796:
	s_andn2_b64 vcc, exec, s[0:1]
	s_cbranch_vccnz .LBB47_1798
; %bb.1797:
	global_load_sshort v9, v[0:1], off
	s_movk_i32 s0, 0x7fff
	s_waitcnt vmcnt(0)
	v_cvt_f32_i32_e32 v9, v9
	v_bfe_u32 v10, v9, 16, 1
	v_add3_u32 v9, v9, v10, s0
	v_lshrrev_b32_e32 v9, 16, v9
.LBB47_1798:
	s_mov_b64 s[0:1], 0
.LBB47_1799:
	s_andn2_b64 vcc, exec, s[0:1]
	s_cbranch_vccnz .LBB47_1805
; %bb.1800:
	v_mov_b32_e32 v9, 0
	v_cmp_gt_i16_sdwa s[0:1], v4, v9 src0_sel:BYTE_0 src1_sel:DWORD
	s_and_b64 vcc, exec, s[0:1]
	s_cbranch_vccz .LBB47_1802
; %bb.1801:
	global_load_sbyte v9, v[0:1], off
	s_movk_i32 s0, 0x7fff
	s_waitcnt vmcnt(0)
	v_cvt_f32_i32_e32 v9, v9
	v_bfe_u32 v10, v9, 16, 1
	v_add3_u32 v9, v9, v10, s0
	v_lshrrev_b32_e32 v9, 16, v9
	s_mov_b64 s[0:1], 0
	s_branch .LBB47_1803
.LBB47_1802:
	s_mov_b64 s[0:1], -1
                                        ; implicit-def: $vgpr9
.LBB47_1803:
	s_andn2_b64 vcc, exec, s[0:1]
	s_cbranch_vccnz .LBB47_1805
; %bb.1804:
	global_load_ubyte v0, v[0:1], off
	s_movk_i32 s0, 0x7fff
	s_waitcnt vmcnt(0)
	v_cvt_f32_ubyte0_e32 v0, v0
	v_bfe_u32 v1, v0, 16, 1
	v_add3_u32 v0, v0, v1, s0
	v_lshrrev_b32_e32 v9, 16, v0
.LBB47_1805:
.LBB47_1806:
	s_waitcnt vmcnt(0)
	v_lshlrev_b32_e32 v0, 16, v6
	v_cmp_nlt_f32_e32 vcc, 0, v0
	s_and_saveexec_b64 s[0:1], vcc
; %bb.1807:
	v_lshlrev_b32_e32 v1, 16, v9
	v_mul_f32_e32 v0, v0, v1
	v_bfe_u32 v1, v0, 16, 1
	s_movk_i32 s15, 0x7fff
	v_add3_u32 v1, v0, v1, s15
	v_lshrrev_b32_e32 v1, 16, v1
	v_mov_b32_e32 v6, 0x7fc0
	v_cmp_o_f32_e32 vcc, v0, v0
	v_cndmask_b32_e32 v6, v6, v1, vcc
; %bb.1808:
	s_or_b64 exec, exec, s[0:1]
	s_lshl_b32 s13, s13, 7
	v_add_u32_e32 v9, s13, v7
	v_ashrrev_i32_e32 v1, 31, v9
	v_mov_b32_e32 v7, s11
	v_add_co_u32_e32 v0, vcc, s10, v9
	v_addc_co_u32_e32 v1, vcc, v7, v1, vcc
	v_mov_b32_e32 v7, 11
	v_cmp_lt_i16_sdwa s[0:1], v5, v7 src0_sel:BYTE_0 src1_sel:DWORD
	s_and_b64 vcc, exec, s[0:1]
	s_cbranch_vccnz .LBB47_1815
; %bb.1809:
	v_mov_b32_e32 v7, 25
	v_cmp_gt_i16_sdwa s[0:1], v5, v7 src0_sel:BYTE_0 src1_sel:DWORD
	s_mov_b64 s[16:17], 0
	s_and_b64 vcc, exec, s[0:1]
	s_cbranch_vccz .LBB47_1817
; %bb.1810:
	v_mov_b32_e32 v7, 28
	v_cmp_gt_i16_sdwa s[0:1], v5, v7 src0_sel:BYTE_0 src1_sel:DWORD
	s_and_b64 vcc, exec, s[0:1]
	s_cbranch_vccz .LBB47_1818
; %bb.1811:
	v_mov_b32_e32 v7, 43
	v_cmp_gt_i16_sdwa s[0:1], v5, v7 src0_sel:BYTE_0 src1_sel:DWORD
	;; [unrolled: 5-line block ×3, first 2 shown]
	s_and_b64 vcc, exec, s[0:1]
	s_cbranch_vccz .LBB47_1821
; %bb.1813:
	v_mov_b32_e32 v7, 46
	v_cmp_eq_u16_sdwa s[0:1], v5, v7 src0_sel:BYTE_0 src1_sel:DWORD
	s_mov_b64 s[22:23], 0
	s_and_b64 vcc, exec, s[0:1]
	s_cbranch_vccz .LBB47_1822
; %bb.1814:
	global_load_dword v7, v[0:1], off
	s_mov_b64 s[0:1], 0
	s_mov_b64 s[20:21], -1
	s_branch .LBB47_1823
.LBB47_1815:
	s_mov_b64 s[20:21], 0
                                        ; implicit-def: $vgpr7
	s_cbranch_execnz .LBB47_1889
.LBB47_1816:
	s_andn2_b64 vcc, exec, s[20:21]
	s_cbranch_vccnz .LBB47_2602
	s_branch .LBB47_1937
.LBB47_1817:
	s_mov_b64 s[22:23], -1
	s_mov_b64 s[20:21], 0
	s_mov_b64 s[0:1], 0
                                        ; implicit-def: $vgpr7
	s_branch .LBB47_1852
.LBB47_1818:
	s_mov_b64 s[22:23], -1
	s_mov_b64 s[20:21], 0
	s_mov_b64 s[0:1], 0
                                        ; implicit-def: $vgpr7
	s_branch .LBB47_1833
.LBB47_1819:
	s_mov_b64 s[22:23], -1
	s_mov_b64 s[20:21], 0
	s_mov_b64 s[0:1], 0
                                        ; implicit-def: $vgpr7
	s_branch .LBB47_1828
.LBB47_1820:
	s_trap 2
	s_or_b64 s[18:19], s[18:19], exec
                                        ; implicit-def: $vgpr9
	s_cbranch_execz .LBB47_1757
	s_branch .LBB47_1758
.LBB47_1821:
	s_mov_b64 s[22:23], -1
	s_mov_b64 s[20:21], 0
	s_mov_b64 s[0:1], 0
                                        ; implicit-def: $vgpr7
	s_branch .LBB47_1823
.LBB47_1822:
	s_mov_b64 s[0:1], -1
                                        ; implicit-def: $vgpr7
	s_mov_b64 s[20:21], 0
.LBB47_1823:
	s_and_b64 vcc, exec, s[22:23]
	s_cbranch_vccz .LBB47_1827
; %bb.1824:
	s_waitcnt vmcnt(0)
	v_mov_b32_e32 v7, 44
	v_cmp_eq_u16_sdwa s[0:1], v5, v7 src0_sel:BYTE_0 src1_sel:DWORD
	s_and_b64 vcc, exec, s[0:1]
	s_cbranch_vccz .LBB47_1826
; %bb.1825:
	global_load_ubyte v7, v[0:1], off
	s_movk_i32 s15, 0xff
	v_mov_b32_e32 v10, 0x7f800001
	v_mov_b32_e32 v11, 0x400000
	;; [unrolled: 1-line block ×3, first 2 shown]
	s_mov_b64 s[0:1], 0
	s_mov_b64 s[20:21], -1
	s_waitcnt vmcnt(0)
	v_lshlrev_b32_e32 v13, 23, v7
	v_cmp_ne_u32_e32 vcc, s15, v7
	v_cndmask_b32_e32 v10, v10, v13, vcc
	v_cmp_ne_u32_e32 vcc, 0, v7
	v_cndmask_b32_e32 v7, v11, v10, vcc
	v_add_u32_e32 v10, 0x7fff, v7
	v_lshrrev_b32_e32 v10, 16, v10
	v_cmp_o_f32_e32 vcc, v7, v7
	v_cndmask_b32_e32 v7, v12, v10, vcc
	s_branch .LBB47_1827
.LBB47_1826:
	s_mov_b64 s[0:1], -1
                                        ; implicit-def: $vgpr7
.LBB47_1827:
	s_mov_b64 s[22:23], 0
.LBB47_1828:
	s_and_b64 vcc, exec, s[22:23]
	s_cbranch_vccz .LBB47_1832
; %bb.1829:
	s_waitcnt vmcnt(0)
	v_mov_b32_e32 v7, 29
	v_cmp_eq_u16_sdwa s[0:1], v5, v7 src0_sel:BYTE_0 src1_sel:DWORD
	s_and_b64 vcc, exec, s[0:1]
	s_cbranch_vccz .LBB47_1831
; %bb.1830:
	global_load_dwordx2 v[10:11], v[0:1], off
	s_movk_i32 s15, 0x7fff
	s_mov_b64 s[0:1], 0
	s_mov_b64 s[20:21], -1
	s_mov_b64 s[22:23], 0
	s_waitcnt vmcnt(0)
	v_ffbh_u32_e32 v7, v11
	v_min_u32_e32 v7, 32, v7
	v_lshlrev_b64 v[10:11], v7, v[10:11]
	v_min_u32_e32 v10, 1, v10
	v_or_b32_e32 v10, v11, v10
	v_cvt_f32_u32_e32 v10, v10
	v_sub_u32_e32 v7, 32, v7
	v_ldexp_f32 v7, v10, v7
	v_bfe_u32 v10, v7, 16, 1
	v_add3_u32 v7, v7, v10, s15
	v_lshrrev_b32_e32 v7, 16, v7
	s_branch .LBB47_1833
.LBB47_1831:
	s_mov_b64 s[0:1], -1
                                        ; implicit-def: $vgpr7
.LBB47_1832:
	s_mov_b64 s[22:23], 0
.LBB47_1833:
	s_and_b64 vcc, exec, s[22:23]
	s_cbranch_vccz .LBB47_1851
; %bb.1834:
	s_waitcnt vmcnt(0)
	v_mov_b32_e32 v7, 27
	v_cmp_lt_i16_sdwa s[20:21], v5, v7 src0_sel:BYTE_0 src1_sel:DWORD
	s_and_b64 vcc, exec, s[20:21]
	s_cbranch_vccnz .LBB47_1837
; %bb.1835:
	v_cmp_gt_i16_sdwa s[20:21], v5, v7 src0_sel:BYTE_0 src1_sel:DWORD
	s_and_b64 vcc, exec, s[20:21]
	s_cbranch_vccz .LBB47_1838
; %bb.1836:
	global_load_dword v7, v[0:1], off
	s_movk_i32 s15, 0x7fff
	s_mov_b64 s[20:21], 0
	s_waitcnt vmcnt(0)
	v_cvt_f32_u32_e32 v7, v7
	v_bfe_u32 v10, v7, 16, 1
	v_add3_u32 v7, v7, v10, s15
	v_lshrrev_b32_e32 v7, 16, v7
	s_branch .LBB47_1839
.LBB47_1837:
	s_mov_b64 s[20:21], -1
                                        ; implicit-def: $vgpr7
	s_branch .LBB47_1842
.LBB47_1838:
	s_mov_b64 s[20:21], -1
                                        ; implicit-def: $vgpr7
.LBB47_1839:
	s_andn2_b64 vcc, exec, s[20:21]
	s_cbranch_vccnz .LBB47_1841
; %bb.1840:
	global_load_ushort v7, v[0:1], off
	s_movk_i32 s15, 0x7fff
	s_waitcnt vmcnt(0)
	v_cvt_f32_u32_e32 v7, v7
	v_bfe_u32 v10, v7, 16, 1
	v_add3_u32 v7, v7, v10, s15
	v_lshrrev_b32_e32 v7, 16, v7
.LBB47_1841:
	s_mov_b64 s[20:21], 0
.LBB47_1842:
	s_andn2_b64 vcc, exec, s[20:21]
	s_cbranch_vccnz .LBB47_1850
; %bb.1843:
	global_load_ubyte v7, v[0:1], off
	s_movk_i32 s15, 0x7f
	s_mov_b64 s[20:21], 0
	s_waitcnt vmcnt(0)
	v_cmp_lt_i16_e32 vcc, s15, v7
                                        ; implicit-def: $sgpr15
	s_and_saveexec_b64 s[22:23], vcc
	s_xor_b64 s[22:23], exec, s[22:23]
	s_cbranch_execz .LBB47_1864
; %bb.1844:
	s_movk_i32 s15, 0x80
	v_cmp_eq_u16_e32 vcc, s15, v7
	s_mov_b64 s[20:21], -1
                                        ; implicit-def: $sgpr15
	s_and_saveexec_b64 s[24:25], vcc
; %bb.1845:
	s_mov_b32 s15, 0x7f800001
	s_xor_b64 s[20:21], exec, -1
; %bb.1846:
	s_or_b64 exec, exec, s[24:25]
	s_and_b64 s[20:21], s[20:21], exec
	s_or_saveexec_b64 s[22:23], s[22:23]
	v_mov_b32_e32 v10, s15
	s_xor_b64 exec, exec, s[22:23]
	s_cbranch_execnz .LBB47_1865
.LBB47_1847:
	s_or_b64 exec, exec, s[22:23]
	s_and_saveexec_b64 s[22:23], s[20:21]
	s_cbranch_execz .LBB47_1849
.LBB47_1848:
	v_lshlrev_b32_e32 v10, 24, v7
	v_and_b32_e32 v7, 0xffff, v7
	v_and_b32_e32 v11, 7, v7
	v_ffbh_u32_e32 v13, v11
	v_min_u32_e32 v13, 32, v13
	v_subrev_u32_e32 v14, 28, v13
	v_bfe_u32 v12, v7, 3, 4
	v_lshlrev_b32_e32 v7, v14, v7
	v_sub_u32_e32 v13, 29, v13
	v_and_b32_e32 v7, 7, v7
	v_cmp_eq_u32_e32 vcc, 0, v12
	v_cndmask_b32_e32 v12, v12, v13, vcc
	v_cndmask_b32_e32 v7, v11, v7, vcc
	v_mov_b32_e32 v11, 0x3b800000
	v_lshlrev_b32_e32 v7, 20, v7
	v_and_b32_e32 v10, 0x80000000, v10
	v_lshl_add_u32 v11, v12, 23, v11
	v_or3_b32 v10, v10, v11, v7
.LBB47_1849:
	s_or_b64 exec, exec, s[22:23]
	v_bfe_u32 v7, v10, 16, 1
	s_movk_i32 s15, 0x7fff
	v_add3_u32 v7, v10, v7, s15
	v_lshrrev_b32_e32 v7, 16, v7
	v_mov_b32_e32 v11, 0x7fc0
	v_cmp_o_f32_e32 vcc, v10, v10
	v_cndmask_b32_e32 v7, v11, v7, vcc
.LBB47_1850:
	s_mov_b64 s[20:21], -1
.LBB47_1851:
	s_mov_b64 s[22:23], 0
.LBB47_1852:
	s_and_b64 vcc, exec, s[22:23]
	s_cbranch_vccz .LBB47_1885
; %bb.1853:
	s_waitcnt vmcnt(0)
	v_mov_b32_e32 v7, 22
	v_cmp_gt_i16_sdwa s[16:17], v5, v7 src0_sel:BYTE_0 src1_sel:DWORD
	s_and_b64 vcc, exec, s[16:17]
	s_cbranch_vccz .LBB47_1863
; %bb.1854:
	v_mov_b32_e32 v7, 24
	v_cmp_lt_i16_sdwa s[16:17], v5, v7 src0_sel:BYTE_0 src1_sel:DWORD
	s_and_b64 vcc, exec, s[16:17]
	s_cbranch_vccnz .LBB47_1866
; %bb.1855:
	v_cmp_gt_i16_sdwa s[16:17], v5, v7 src0_sel:BYTE_0 src1_sel:DWORD
	s_and_b64 vcc, exec, s[16:17]
	s_cbranch_vccz .LBB47_1867
; %bb.1856:
	global_load_ubyte v7, v[0:1], off
	s_movk_i32 s15, 0x7f
	s_mov_b64 s[16:17], 0
	s_waitcnt vmcnt(0)
	v_cmp_lt_i16_e32 vcc, s15, v7
                                        ; implicit-def: $sgpr15
	s_and_saveexec_b64 s[20:21], vcc
	s_xor_b64 s[20:21], exec, s[20:21]
	s_cbranch_execz .LBB47_1879
; %bb.1857:
	s_movk_i32 s15, 0x80
	v_cmp_eq_u16_e32 vcc, s15, v7
	s_mov_b64 s[16:17], -1
                                        ; implicit-def: $sgpr15
	s_and_saveexec_b64 s[22:23], vcc
; %bb.1858:
	s_mov_b32 s15, 0x7f800001
	s_xor_b64 s[16:17], exec, -1
; %bb.1859:
	s_or_b64 exec, exec, s[22:23]
	s_and_b64 s[16:17], s[16:17], exec
	s_or_saveexec_b64 s[20:21], s[20:21]
	v_mov_b32_e32 v10, s15
	s_xor_b64 exec, exec, s[20:21]
	s_cbranch_execnz .LBB47_1880
.LBB47_1860:
	s_or_b64 exec, exec, s[20:21]
	s_and_saveexec_b64 s[20:21], s[16:17]
	s_cbranch_execz .LBB47_1862
.LBB47_1861:
	v_lshlrev_b32_e32 v10, 24, v7
	v_and_b32_e32 v7, 0xffff, v7
	v_and_b32_e32 v11, 3, v7
	v_ffbh_u32_e32 v13, v11
	v_min_u32_e32 v13, 32, v13
	v_subrev_u32_e32 v14, 29, v13
	v_bfe_u32 v12, v7, 2, 5
	v_lshlrev_b32_e32 v7, v14, v7
	v_sub_u32_e32 v13, 30, v13
	v_and_b32_e32 v7, 3, v7
	v_cmp_eq_u32_e32 vcc, 0, v12
	v_cndmask_b32_e32 v12, v12, v13, vcc
	v_cndmask_b32_e32 v7, v11, v7, vcc
	v_mov_b32_e32 v11, 0x37800000
	v_lshlrev_b32_e32 v7, 21, v7
	v_and_b32_e32 v10, 0x80000000, v10
	v_lshl_add_u32 v11, v12, 23, v11
	v_or3_b32 v10, v10, v11, v7
.LBB47_1862:
	s_or_b64 exec, exec, s[20:21]
	v_bfe_u32 v7, v10, 16, 1
	s_movk_i32 s15, 0x7fff
	v_add3_u32 v7, v10, v7, s15
	v_lshrrev_b32_e32 v7, 16, v7
	v_mov_b32_e32 v11, 0x7fc0
	v_cmp_o_f32_e32 vcc, v10, v10
	v_cndmask_b32_e32 v7, v11, v7, vcc
	s_mov_b64 s[16:17], 0
	s_branch .LBB47_1868
.LBB47_1863:
	s_mov_b64 s[16:17], -1
                                        ; implicit-def: $vgpr7
	s_branch .LBB47_1874
.LBB47_1864:
	s_or_saveexec_b64 s[22:23], s[22:23]
	v_mov_b32_e32 v10, s15
	s_xor_b64 exec, exec, s[22:23]
	s_cbranch_execz .LBB47_1847
.LBB47_1865:
	v_cmp_ne_u16_e32 vcc, 0, v7
	s_andn2_b64 s[20:21], s[20:21], exec
	s_and_b64 s[24:25], vcc, exec
	v_mov_b32_e32 v10, 0
	s_or_b64 s[20:21], s[20:21], s[24:25]
	s_or_b64 exec, exec, s[22:23]
	s_and_saveexec_b64 s[22:23], s[20:21]
	s_cbranch_execnz .LBB47_1848
	s_branch .LBB47_1849
.LBB47_1866:
	s_mov_b64 s[16:17], -1
                                        ; implicit-def: $vgpr7
	s_branch .LBB47_1871
.LBB47_1867:
	s_mov_b64 s[16:17], -1
                                        ; implicit-def: $vgpr7
.LBB47_1868:
	s_and_b64 vcc, exec, s[16:17]
	s_cbranch_vccz .LBB47_1870
; %bb.1869:
	global_load_ubyte v7, v[0:1], off
	s_mov_b32 s15, 0x7f800000
	s_brev_b32 s16, 1
	s_movk_i32 s17, 0x7fff
	v_mov_b32_e32 v10, 0x7fc0
	s_waitcnt vmcnt(0)
	v_lshlrev_b32_e32 v7, 24, v7
	v_and_b32_e32 v11, 0x7f000000, v7
	v_ffbh_u32_e32 v12, v11
	v_min_u32_e32 v12, 32, v12
	v_sub_u32_e64 v12, v12, 4 clamp
	v_lshlrev_b32_e32 v14, v12, v11
	v_lshlrev_b32_e32 v12, 23, v12
	v_lshrrev_b32_e32 v14, 4, v14
	v_add_u32_e32 v13, 0x1000000, v11
	v_sub_u32_e32 v12, v14, v12
	v_ashrrev_i32_e32 v13, 8, v13
	v_add_u32_e32 v12, 0x3c000000, v12
	v_and_or_b32 v12, v13, s15, v12
	v_cmp_ne_u32_e32 vcc, 0, v11
	v_cndmask_b32_e32 v11, 0, v12, vcc
	v_and_or_b32 v7, v7, s16, v11
	v_bfe_u32 v11, v11, 16, 1
	v_add3_u32 v11, v7, v11, s17
	v_lshrrev_b32_e32 v11, 16, v11
	v_cmp_o_f32_e32 vcc, v7, v7
	v_cndmask_b32_e32 v7, v10, v11, vcc
.LBB47_1870:
	s_mov_b64 s[16:17], 0
.LBB47_1871:
	s_andn2_b64 vcc, exec, s[16:17]
	s_cbranch_vccnz .LBB47_1873
; %bb.1872:
	global_load_ubyte v7, v[0:1], off
	s_movk_i32 s15, 0x7f00
	s_brev_b32 s16, 16
	s_brev_b32 s17, 1
	s_movk_i32 s20, 0x7fff
	v_mov_b32_e32 v10, 0x7fc0
	s_waitcnt vmcnt(0)
	v_lshlrev_b16_e32 v11, 8, v7
	v_lshlrev_b32_e32 v7, 25, v7
	v_lshrrev_b32_e32 v12, 4, v7
	v_and_or_b32 v13, v11, s15, 0.5
	v_or_b32_e32 v12, 0x70000000, v12
	v_add_f32_e32 v13, -0.5, v13
	v_mul_f32_e32 v12, 0x7800000, v12
	v_cmp_gt_u32_e32 vcc, s16, v7
	v_bfe_i32 v11, v11, 0, 16
	v_cndmask_b32_e32 v7, v12, v13, vcc
	v_and_or_b32 v11, v11, s17, v7
	v_bfe_u32 v7, v7, 16, 1
	v_add3_u32 v7, v11, v7, s20
	v_lshrrev_b32_e32 v7, 16, v7
	v_cmp_o_f32_e32 vcc, v11, v11
	v_cndmask_b32_e32 v7, v10, v7, vcc
.LBB47_1873:
	s_mov_b64 s[16:17], 0
	s_mov_b64 s[20:21], -1
.LBB47_1874:
	s_andn2_b64 vcc, exec, s[16:17]
	s_mov_b64 s[16:17], 0
	s_cbranch_vccnz .LBB47_1885
; %bb.1875:
	v_mov_b32_e32 v7, 14
	v_cmp_gt_i16_sdwa s[16:17], v5, v7 src0_sel:BYTE_0 src1_sel:DWORD
	s_and_b64 vcc, exec, s[16:17]
	s_cbranch_vccz .LBB47_1878
; %bb.1876:
	v_mov_b32_e32 v7, 15
	v_cmp_eq_u16_sdwa s[0:1], v5, v7 src0_sel:BYTE_0 src1_sel:DWORD
	s_and_b64 vcc, exec, s[0:1]
	s_cbranch_vccz .LBB47_1881
; %bb.1877:
	global_load_ushort v7, v[0:1], off
	s_mov_b64 s[0:1], 0
	s_mov_b64 s[20:21], -1
	s_branch .LBB47_1882
.LBB47_1878:
	s_mov_b64 s[22:23], -1
                                        ; implicit-def: $vgpr7
	s_branch .LBB47_1883
.LBB47_1879:
	s_or_saveexec_b64 s[20:21], s[20:21]
	v_mov_b32_e32 v10, s15
	s_xor_b64 exec, exec, s[20:21]
	s_cbranch_execz .LBB47_1860
.LBB47_1880:
	v_cmp_ne_u16_e32 vcc, 0, v7
	s_andn2_b64 s[16:17], s[16:17], exec
	s_and_b64 s[22:23], vcc, exec
	v_mov_b32_e32 v10, 0
	s_or_b64 s[16:17], s[16:17], s[22:23]
	s_or_b64 exec, exec, s[20:21]
	s_and_saveexec_b64 s[20:21], s[16:17]
	s_cbranch_execnz .LBB47_1861
	s_branch .LBB47_1862
.LBB47_1881:
	s_mov_b64 s[0:1], -1
                                        ; implicit-def: $vgpr7
.LBB47_1882:
	s_mov_b64 s[22:23], 0
.LBB47_1883:
	s_mov_b64 s[16:17], 0
	s_and_b64 vcc, exec, s[22:23]
	s_cbranch_vccz .LBB47_1885
; %bb.1884:
	s_waitcnt vmcnt(0)
	v_mov_b32_e32 v7, 11
	v_cmp_ne_u16_sdwa s[0:1], v5, v7 src0_sel:BYTE_0 src1_sel:DWORD
	s_mov_b64 s[16:17], -1
                                        ; implicit-def: $vgpr7
.LBB47_1885:
	s_and_b64 vcc, exec, s[0:1]
	s_cbranch_vccnz .LBB47_1948
; %bb.1886:
	s_andn2_b64 vcc, exec, s[16:17]
	s_cbranch_vccnz .LBB47_1888
.LBB47_1887:
	global_load_ubyte v7, v[0:1], off
	s_mov_b64 s[20:21], -1
	s_waitcnt vmcnt(0)
	v_cmp_ne_u16_e32 vcc, 0, v7
	v_cndmask_b32_e64 v7, 0, 1.0, vcc
	v_lshrrev_b32_e32 v7, 16, v7
.LBB47_1888:
	s_branch .LBB47_1816
.LBB47_1889:
	s_waitcnt vmcnt(0)
	v_mov_b32_e32 v7, 5
	v_cmp_lt_i16_sdwa s[0:1], v5, v7 src0_sel:BYTE_0 src1_sel:DWORD
	s_and_b64 vcc, exec, s[0:1]
	s_cbranch_vccnz .LBB47_1894
; %bb.1890:
	v_mov_b32_e32 v7, 8
	v_cmp_lt_i16_sdwa s[0:1], v5, v7 src0_sel:BYTE_0 src1_sel:DWORD
	s_and_b64 vcc, exec, s[0:1]
	s_cbranch_vccnz .LBB47_1895
; %bb.1891:
	;; [unrolled: 5-line block ×3, first 2 shown]
	v_cmp_gt_i16_sdwa s[0:1], v5, v7 src0_sel:BYTE_0 src1_sel:DWORD
	s_and_b64 vcc, exec, s[0:1]
	s_cbranch_vccz .LBB47_1897
; %bb.1893:
	global_load_dwordx2 v[10:11], v[0:1], off
	s_movk_i32 s0, 0x7fff
	v_mov_b32_e32 v7, 0x7fc0
	s_waitcnt vmcnt(0)
	v_cvt_f32_f64_e32 v10, v[10:11]
	v_bfe_u32 v11, v10, 16, 1
	v_add3_u32 v11, v10, v11, s0
	v_lshrrev_b32_e32 v11, 16, v11
	v_cmp_o_f32_e32 vcc, v10, v10
	v_cndmask_b32_e32 v7, v7, v11, vcc
	s_mov_b64 s[0:1], 0
	s_branch .LBB47_1898
.LBB47_1894:
	s_mov_b64 s[0:1], -1
                                        ; implicit-def: $vgpr7
	s_branch .LBB47_1916
.LBB47_1895:
	s_mov_b64 s[0:1], -1
                                        ; implicit-def: $vgpr7
	s_branch .LBB47_1904
.LBB47_1896:
	s_mov_b64 s[0:1], -1
                                        ; implicit-def: $vgpr7
	s_branch .LBB47_1901
.LBB47_1897:
	s_mov_b64 s[0:1], -1
                                        ; implicit-def: $vgpr7
.LBB47_1898:
	s_andn2_b64 vcc, exec, s[0:1]
	s_cbranch_vccnz .LBB47_1900
; %bb.1899:
	global_load_dword v7, v[0:1], off
	s_movk_i32 s0, 0x7fff
	v_mov_b32_e32 v10, 0x7fc0
	s_waitcnt vmcnt(0)
	v_bfe_u32 v11, v7, 16, 1
	v_add3_u32 v11, v7, v11, s0
	v_lshrrev_b32_e32 v11, 16, v11
	v_cmp_o_f32_e32 vcc, v7, v7
	v_cndmask_b32_e32 v7, v10, v11, vcc
.LBB47_1900:
	s_mov_b64 s[0:1], 0
.LBB47_1901:
	s_andn2_b64 vcc, exec, s[0:1]
	s_cbranch_vccnz .LBB47_1903
; %bb.1902:
	global_load_dword v7, v[0:1], off
	s_movk_i32 s0, 0x7fff
	v_mov_b32_e32 v11, 0x7fc0
	s_waitcnt vmcnt(0)
	v_cvt_f32_f16_e32 v10, v7
	v_cmp_o_f16_e32 vcc, v7, v7
	v_bfe_u32 v12, v10, 16, 1
	v_add3_u32 v10, v10, v12, s0
	v_lshrrev_b32_e32 v10, 16, v10
	v_cndmask_b32_e32 v7, v11, v10, vcc
.LBB47_1903:
	s_mov_b64 s[0:1], 0
.LBB47_1904:
	s_andn2_b64 vcc, exec, s[0:1]
	s_cbranch_vccnz .LBB47_1915
; %bb.1905:
	v_mov_b32_e32 v7, 6
	v_cmp_lt_i16_sdwa s[0:1], v5, v7 src0_sel:BYTE_0 src1_sel:DWORD
	s_and_b64 vcc, exec, s[0:1]
	s_cbranch_vccnz .LBB47_1908
; %bb.1906:
	v_cmp_gt_i16_sdwa s[0:1], v5, v7 src0_sel:BYTE_0 src1_sel:DWORD
	s_and_b64 vcc, exec, s[0:1]
	s_cbranch_vccz .LBB47_1909
; %bb.1907:
	global_load_dwordx2 v[10:11], v[0:1], off
	s_movk_i32 s0, 0x7fff
	v_mov_b32_e32 v7, 0x7fc0
	s_waitcnt vmcnt(0)
	v_cvt_f32_f64_e32 v10, v[10:11]
	v_bfe_u32 v11, v10, 16, 1
	v_add3_u32 v11, v10, v11, s0
	v_lshrrev_b32_e32 v11, 16, v11
	v_cmp_o_f32_e32 vcc, v10, v10
	v_cndmask_b32_e32 v7, v7, v11, vcc
	s_mov_b64 s[0:1], 0
	s_branch .LBB47_1910
.LBB47_1908:
	s_mov_b64 s[0:1], -1
                                        ; implicit-def: $vgpr7
	s_branch .LBB47_1913
.LBB47_1909:
	s_mov_b64 s[0:1], -1
                                        ; implicit-def: $vgpr7
.LBB47_1910:
	s_andn2_b64 vcc, exec, s[0:1]
	s_cbranch_vccnz .LBB47_1912
; %bb.1911:
	global_load_dword v7, v[0:1], off
	s_movk_i32 s0, 0x7fff
	v_mov_b32_e32 v10, 0x7fc0
	s_waitcnt vmcnt(0)
	v_bfe_u32 v11, v7, 16, 1
	v_add3_u32 v11, v7, v11, s0
	v_lshrrev_b32_e32 v11, 16, v11
	v_cmp_o_f32_e32 vcc, v7, v7
	v_cndmask_b32_e32 v7, v10, v11, vcc
.LBB47_1912:
	s_mov_b64 s[0:1], 0
.LBB47_1913:
	s_andn2_b64 vcc, exec, s[0:1]
	s_cbranch_vccnz .LBB47_1915
; %bb.1914:
	global_load_ushort v7, v[0:1], off
	s_movk_i32 s0, 0x7fff
	v_mov_b32_e32 v11, 0x7fc0
	s_waitcnt vmcnt(0)
	v_cvt_f32_f16_e32 v10, v7
	v_cmp_o_f16_e32 vcc, v7, v7
	v_bfe_u32 v12, v10, 16, 1
	v_add3_u32 v10, v10, v12, s0
	v_lshrrev_b32_e32 v10, 16, v10
	v_cndmask_b32_e32 v7, v11, v10, vcc
.LBB47_1915:
	s_mov_b64 s[0:1], 0
.LBB47_1916:
	s_andn2_b64 vcc, exec, s[0:1]
	s_cbranch_vccnz .LBB47_1936
; %bb.1917:
	v_mov_b32_e32 v7, 2
	v_cmp_lt_i16_sdwa s[0:1], v5, v7 src0_sel:BYTE_0 src1_sel:DWORD
	s_and_b64 vcc, exec, s[0:1]
	s_cbranch_vccnz .LBB47_1921
; %bb.1918:
	v_mov_b32_e32 v7, 3
	v_cmp_lt_i16_sdwa s[0:1], v5, v7 src0_sel:BYTE_0 src1_sel:DWORD
	s_and_b64 vcc, exec, s[0:1]
	s_cbranch_vccnz .LBB47_1922
; %bb.1919:
	v_cmp_gt_i16_sdwa s[0:1], v5, v7 src0_sel:BYTE_0 src1_sel:DWORD
	s_and_b64 vcc, exec, s[0:1]
	s_cbranch_vccz .LBB47_1923
; %bb.1920:
	global_load_dwordx2 v[10:11], v[0:1], off
	s_movk_i32 s0, 0x7fff
	s_waitcnt vmcnt(0)
	v_xor_b32_e32 v12, v10, v11
	v_ffbh_i32_e32 v7, v11
	v_ashrrev_i32_e32 v12, 31, v12
	v_add_u32_e32 v7, -1, v7
	v_add_u32_e32 v12, 32, v12
	v_min_u32_e32 v7, v7, v12
	v_lshlrev_b64 v[10:11], v7, v[10:11]
	v_min_u32_e32 v10, 1, v10
	v_or_b32_e32 v10, v11, v10
	v_cvt_f32_i32_e32 v10, v10
	v_sub_u32_e32 v7, 32, v7
	v_ldexp_f32 v7, v10, v7
	v_bfe_u32 v10, v7, 16, 1
	v_add3_u32 v7, v7, v10, s0
	v_lshrrev_b32_e32 v7, 16, v7
	s_mov_b64 s[0:1], 0
	s_branch .LBB47_1924
.LBB47_1921:
	s_mov_b64 s[0:1], -1
                                        ; implicit-def: $vgpr7
	s_branch .LBB47_1930
.LBB47_1922:
	s_mov_b64 s[0:1], -1
                                        ; implicit-def: $vgpr7
	s_branch .LBB47_1927
.LBB47_1923:
	s_mov_b64 s[0:1], -1
                                        ; implicit-def: $vgpr7
.LBB47_1924:
	s_andn2_b64 vcc, exec, s[0:1]
	s_cbranch_vccnz .LBB47_1926
; %bb.1925:
	global_load_dword v7, v[0:1], off
	s_movk_i32 s0, 0x7fff
	s_waitcnt vmcnt(0)
	v_cvt_f32_i32_e32 v7, v7
	v_bfe_u32 v10, v7, 16, 1
	v_add3_u32 v7, v7, v10, s0
	v_lshrrev_b32_e32 v7, 16, v7
.LBB47_1926:
	s_mov_b64 s[0:1], 0
.LBB47_1927:
	s_andn2_b64 vcc, exec, s[0:1]
	s_cbranch_vccnz .LBB47_1929
; %bb.1928:
	global_load_sshort v7, v[0:1], off
	s_movk_i32 s0, 0x7fff
	s_waitcnt vmcnt(0)
	v_cvt_f32_i32_e32 v7, v7
	v_bfe_u32 v10, v7, 16, 1
	v_add3_u32 v7, v7, v10, s0
	v_lshrrev_b32_e32 v7, 16, v7
.LBB47_1929:
	s_mov_b64 s[0:1], 0
.LBB47_1930:
	s_andn2_b64 vcc, exec, s[0:1]
	s_cbranch_vccnz .LBB47_1936
; %bb.1931:
	v_mov_b32_e32 v7, 0
	v_cmp_gt_i16_sdwa s[0:1], v5, v7 src0_sel:BYTE_0 src1_sel:DWORD
	s_and_b64 vcc, exec, s[0:1]
	s_cbranch_vccz .LBB47_1933
; %bb.1932:
	global_load_sbyte v7, v[0:1], off
	s_movk_i32 s0, 0x7fff
	s_waitcnt vmcnt(0)
	v_cvt_f32_i32_e32 v7, v7
	v_bfe_u32 v10, v7, 16, 1
	v_add3_u32 v7, v7, v10, s0
	v_lshrrev_b32_e32 v7, 16, v7
	s_mov_b64 s[0:1], 0
	s_branch .LBB47_1934
.LBB47_1933:
	s_mov_b64 s[0:1], -1
                                        ; implicit-def: $vgpr7
.LBB47_1934:
	s_andn2_b64 vcc, exec, s[0:1]
	s_cbranch_vccnz .LBB47_1936
; %bb.1935:
	global_load_ubyte v0, v[0:1], off
	s_movk_i32 s0, 0x7fff
	s_waitcnt vmcnt(0)
	v_cvt_f32_ubyte0_e32 v0, v0
	v_bfe_u32 v1, v0, 16, 1
	v_add3_u32 v0, v0, v1, s0
	v_lshrrev_b32_e32 v7, 16, v0
.LBB47_1936:
.LBB47_1937:
	s_lshl_b32 s24, s14, 7
	v_add_u32_e32 v10, s24, v8
	v_ashrrev_i32_e32 v1, 31, v10
	v_mov_b32_e32 v8, s3
	v_add_co_u32_e32 v0, vcc, s2, v10
	v_addc_co_u32_e32 v1, vcc, v8, v1, vcc
	v_mov_b32_e32 v8, 11
	v_cmp_lt_i16_sdwa s[0:1], v4, v8 src0_sel:BYTE_0 src1_sel:DWORD
	s_and_b64 vcc, exec, s[0:1]
	s_cbranch_vccnz .LBB47_1944
; %bb.1938:
	v_mov_b32_e32 v8, 25
	v_cmp_gt_i16_sdwa s[0:1], v4, v8 src0_sel:BYTE_0 src1_sel:DWORD
	s_mov_b64 s[14:15], 0
	s_and_b64 vcc, exec, s[0:1]
	s_cbranch_vccz .LBB47_1945
; %bb.1939:
	v_mov_b32_e32 v8, 28
	v_cmp_gt_i16_sdwa s[0:1], v4, v8 src0_sel:BYTE_0 src1_sel:DWORD
	s_and_b64 vcc, exec, s[0:1]
	s_cbranch_vccz .LBB47_1946
; %bb.1940:
	v_mov_b32_e32 v8, 43
	v_cmp_gt_i16_sdwa s[0:1], v4, v8 src0_sel:BYTE_0 src1_sel:DWORD
	;; [unrolled: 5-line block ×3, first 2 shown]
	s_and_b64 vcc, exec, s[0:1]
	s_cbranch_vccz .LBB47_1949
; %bb.1942:
	v_mov_b32_e32 v8, 46
	v_cmp_eq_u16_sdwa s[0:1], v4, v8 src0_sel:BYTE_0 src1_sel:DWORD
	s_mov_b64 s[20:21], 0
	s_and_b64 vcc, exec, s[0:1]
	s_cbranch_vccz .LBB47_1950
; %bb.1943:
	global_load_dword v8, v[0:1], off
	s_mov_b64 s[0:1], 0
	s_mov_b64 s[16:17], -1
	s_branch .LBB47_1951
.LBB47_1944:
	s_mov_b64 s[0:1], -1
	s_mov_b64 s[16:17], 0
                                        ; implicit-def: $vgpr8
	s_branch .LBB47_2017
.LBB47_1945:
	s_mov_b64 s[20:21], -1
	s_mov_b64 s[16:17], 0
	s_mov_b64 s[0:1], 0
                                        ; implicit-def: $vgpr8
	s_branch .LBB47_1980
.LBB47_1946:
	s_mov_b64 s[20:21], -1
	s_mov_b64 s[16:17], 0
	s_mov_b64 s[0:1], 0
                                        ; implicit-def: $vgpr8
	s_branch .LBB47_1961
.LBB47_1947:
	s_mov_b64 s[20:21], -1
	s_mov_b64 s[16:17], 0
	s_mov_b64 s[0:1], 0
                                        ; implicit-def: $vgpr8
	s_branch .LBB47_1956
.LBB47_1948:
	s_trap 2
	s_or_b64 s[18:19], s[18:19], exec
                                        ; implicit-def: $vgpr7
	s_cbranch_execz .LBB47_1887
	s_branch .LBB47_1888
.LBB47_1949:
	s_mov_b64 s[20:21], -1
	s_mov_b64 s[16:17], 0
	s_mov_b64 s[0:1], 0
                                        ; implicit-def: $vgpr8
	s_branch .LBB47_1951
.LBB47_1950:
	s_mov_b64 s[0:1], -1
                                        ; implicit-def: $vgpr8
	s_mov_b64 s[16:17], 0
.LBB47_1951:
	s_and_b64 vcc, exec, s[20:21]
	s_cbranch_vccz .LBB47_1955
; %bb.1952:
	s_waitcnt vmcnt(0)
	v_mov_b32_e32 v8, 44
	v_cmp_eq_u16_sdwa s[0:1], v4, v8 src0_sel:BYTE_0 src1_sel:DWORD
	s_and_b64 vcc, exec, s[0:1]
	s_cbranch_vccz .LBB47_1954
; %bb.1953:
	global_load_ubyte v8, v[0:1], off
	s_movk_i32 s16, 0xff
	v_mov_b32_e32 v11, 0x7f800001
	v_mov_b32_e32 v12, 0x400000
	;; [unrolled: 1-line block ×3, first 2 shown]
	s_mov_b64 s[0:1], 0
	s_waitcnt vmcnt(0)
	v_lshlrev_b32_e32 v14, 23, v8
	v_cmp_ne_u32_e32 vcc, s16, v8
	v_cndmask_b32_e32 v11, v11, v14, vcc
	v_cmp_ne_u32_e32 vcc, 0, v8
	v_cndmask_b32_e32 v8, v12, v11, vcc
	v_add_u32_e32 v11, 0x7fff, v8
	v_lshrrev_b32_e32 v11, 16, v11
	v_cmp_o_f32_e32 vcc, v8, v8
	v_cndmask_b32_e32 v8, v13, v11, vcc
	s_mov_b64 s[16:17], -1
	s_branch .LBB47_1955
.LBB47_1954:
	s_mov_b64 s[0:1], -1
                                        ; implicit-def: $vgpr8
.LBB47_1955:
	s_mov_b64 s[20:21], 0
.LBB47_1956:
	s_and_b64 vcc, exec, s[20:21]
	s_cbranch_vccz .LBB47_1960
; %bb.1957:
	s_waitcnt vmcnt(0)
	v_mov_b32_e32 v8, 29
	v_cmp_eq_u16_sdwa s[0:1], v4, v8 src0_sel:BYTE_0 src1_sel:DWORD
	s_and_b64 vcc, exec, s[0:1]
	s_cbranch_vccz .LBB47_1959
; %bb.1958:
	global_load_dwordx2 v[12:13], v[0:1], off
	s_movk_i32 s16, 0x7fff
	s_mov_b64 s[0:1], 0
	s_mov_b64 s[20:21], 0
	s_waitcnt vmcnt(0)
	v_ffbh_u32_e32 v8, v13
	v_min_u32_e32 v8, 32, v8
	v_lshlrev_b64 v[12:13], v8, v[12:13]
	v_min_u32_e32 v11, 1, v12
	v_or_b32_e32 v11, v13, v11
	v_cvt_f32_u32_e32 v11, v11
	v_sub_u32_e32 v8, 32, v8
	v_ldexp_f32 v8, v11, v8
	v_bfe_u32 v11, v8, 16, 1
	v_add3_u32 v8, v8, v11, s16
	v_lshrrev_b32_e32 v8, 16, v8
	s_mov_b64 s[16:17], -1
	s_branch .LBB47_1961
.LBB47_1959:
	s_mov_b64 s[0:1], -1
                                        ; implicit-def: $vgpr8
.LBB47_1960:
	s_mov_b64 s[20:21], 0
.LBB47_1961:
	s_and_b64 vcc, exec, s[20:21]
	s_cbranch_vccz .LBB47_1979
; %bb.1962:
	s_waitcnt vmcnt(0)
	v_mov_b32_e32 v8, 27
	v_cmp_lt_i16_sdwa s[16:17], v4, v8 src0_sel:BYTE_0 src1_sel:DWORD
	s_and_b64 vcc, exec, s[16:17]
	s_cbranch_vccnz .LBB47_1965
; %bb.1963:
	v_cmp_gt_i16_sdwa s[16:17], v4, v8 src0_sel:BYTE_0 src1_sel:DWORD
	s_and_b64 vcc, exec, s[16:17]
	s_cbranch_vccz .LBB47_1966
; %bb.1964:
	global_load_dword v8, v[0:1], off
	s_movk_i32 s16, 0x7fff
	s_waitcnt vmcnt(0)
	v_cvt_f32_u32_e32 v8, v8
	v_bfe_u32 v11, v8, 16, 1
	v_add3_u32 v8, v8, v11, s16
	v_lshrrev_b32_e32 v8, 16, v8
	s_mov_b64 s[16:17], 0
	s_branch .LBB47_1967
.LBB47_1965:
	s_mov_b64 s[16:17], -1
                                        ; implicit-def: $vgpr8
	s_branch .LBB47_1970
.LBB47_1966:
	s_mov_b64 s[16:17], -1
                                        ; implicit-def: $vgpr8
.LBB47_1967:
	s_andn2_b64 vcc, exec, s[16:17]
	s_cbranch_vccnz .LBB47_1969
; %bb.1968:
	global_load_ushort v8, v[0:1], off
	s_movk_i32 s16, 0x7fff
	s_waitcnt vmcnt(0)
	v_cvt_f32_u32_e32 v8, v8
	v_bfe_u32 v11, v8, 16, 1
	v_add3_u32 v8, v8, v11, s16
	v_lshrrev_b32_e32 v8, 16, v8
.LBB47_1969:
	s_mov_b64 s[16:17], 0
.LBB47_1970:
	s_andn2_b64 vcc, exec, s[16:17]
	s_cbranch_vccnz .LBB47_1978
; %bb.1971:
	global_load_ubyte v8, v[0:1], off
	s_movk_i32 s16, 0x7f
                                        ; implicit-def: $sgpr25
	s_waitcnt vmcnt(0)
	v_cmp_lt_i16_e32 vcc, s16, v8
	s_mov_b64 s[16:17], 0
	s_and_saveexec_b64 s[20:21], vcc
	s_xor_b64 s[20:21], exec, s[20:21]
	s_cbranch_execz .LBB47_1992
; %bb.1972:
	s_movk_i32 s16, 0x80
	v_cmp_eq_u16_e32 vcc, s16, v8
	s_mov_b64 s[16:17], -1
                                        ; implicit-def: $sgpr25
	s_and_saveexec_b64 s[22:23], vcc
; %bb.1973:
	s_mov_b32 s25, 0x7f800001
	s_xor_b64 s[16:17], exec, -1
; %bb.1974:
	s_or_b64 exec, exec, s[22:23]
	s_and_b64 s[16:17], s[16:17], exec
	s_or_saveexec_b64 s[20:21], s[20:21]
	v_mov_b32_e32 v11, s25
	s_xor_b64 exec, exec, s[20:21]
	s_cbranch_execnz .LBB47_1993
.LBB47_1975:
	s_or_b64 exec, exec, s[20:21]
	s_and_saveexec_b64 s[20:21], s[16:17]
	s_cbranch_execz .LBB47_1977
.LBB47_1976:
	v_lshlrev_b32_e32 v11, 24, v8
	v_and_b32_e32 v8, 0xffff, v8
	v_and_b32_e32 v12, 7, v8
	v_ffbh_u32_e32 v14, v12
	v_min_u32_e32 v14, 32, v14
	v_subrev_u32_e32 v15, 28, v14
	v_bfe_u32 v13, v8, 3, 4
	v_lshlrev_b32_e32 v8, v15, v8
	v_sub_u32_e32 v14, 29, v14
	v_and_b32_e32 v8, 7, v8
	v_cmp_eq_u32_e32 vcc, 0, v13
	v_cndmask_b32_e32 v13, v13, v14, vcc
	v_cndmask_b32_e32 v8, v12, v8, vcc
	v_mov_b32_e32 v12, 0x3b800000
	v_lshlrev_b32_e32 v8, 20, v8
	v_and_b32_e32 v11, 0x80000000, v11
	v_lshl_add_u32 v12, v13, 23, v12
	v_or3_b32 v11, v11, v12, v8
.LBB47_1977:
	s_or_b64 exec, exec, s[20:21]
	v_bfe_u32 v8, v11, 16, 1
	s_movk_i32 s16, 0x7fff
	v_add3_u32 v8, v11, v8, s16
	v_lshrrev_b32_e32 v8, 16, v8
	v_mov_b32_e32 v12, 0x7fc0
	v_cmp_o_f32_e32 vcc, v11, v11
	v_cndmask_b32_e32 v8, v12, v8, vcc
.LBB47_1978:
	s_mov_b64 s[16:17], -1
.LBB47_1979:
	s_mov_b64 s[20:21], 0
.LBB47_1980:
	s_and_b64 vcc, exec, s[20:21]
	s_cbranch_vccz .LBB47_2013
; %bb.1981:
	s_waitcnt vmcnt(0)
	v_mov_b32_e32 v8, 22
	v_cmp_gt_i16_sdwa s[14:15], v4, v8 src0_sel:BYTE_0 src1_sel:DWORD
	s_and_b64 vcc, exec, s[14:15]
	s_cbranch_vccz .LBB47_1991
; %bb.1982:
	v_mov_b32_e32 v8, 24
	v_cmp_lt_i16_sdwa s[14:15], v4, v8 src0_sel:BYTE_0 src1_sel:DWORD
	s_and_b64 vcc, exec, s[14:15]
	s_cbranch_vccnz .LBB47_1994
; %bb.1983:
	v_cmp_gt_i16_sdwa s[14:15], v4, v8 src0_sel:BYTE_0 src1_sel:DWORD
	s_and_b64 vcc, exec, s[14:15]
	s_cbranch_vccz .LBB47_1995
; %bb.1984:
	global_load_ubyte v8, v[0:1], off
	s_movk_i32 s14, 0x7f
                                        ; implicit-def: $sgpr22
	s_waitcnt vmcnt(0)
	v_cmp_lt_i16_e32 vcc, s14, v8
	s_mov_b64 s[14:15], 0
	s_and_saveexec_b64 s[16:17], vcc
	s_xor_b64 s[16:17], exec, s[16:17]
	s_cbranch_execz .LBB47_2007
; %bb.1985:
	s_movk_i32 s14, 0x80
	v_cmp_eq_u16_e32 vcc, s14, v8
	s_mov_b64 s[14:15], -1
                                        ; implicit-def: $sgpr22
	s_and_saveexec_b64 s[20:21], vcc
; %bb.1986:
	s_mov_b32 s22, 0x7f800001
	s_xor_b64 s[14:15], exec, -1
; %bb.1987:
	s_or_b64 exec, exec, s[20:21]
	s_and_b64 s[14:15], s[14:15], exec
	s_or_saveexec_b64 s[16:17], s[16:17]
	v_mov_b32_e32 v11, s22
	s_xor_b64 exec, exec, s[16:17]
	s_cbranch_execnz .LBB47_2008
.LBB47_1988:
	s_or_b64 exec, exec, s[16:17]
	s_and_saveexec_b64 s[16:17], s[14:15]
	s_cbranch_execz .LBB47_1990
.LBB47_1989:
	v_lshlrev_b32_e32 v11, 24, v8
	v_and_b32_e32 v8, 0xffff, v8
	v_and_b32_e32 v12, 3, v8
	v_ffbh_u32_e32 v14, v12
	v_min_u32_e32 v14, 32, v14
	v_subrev_u32_e32 v15, 29, v14
	v_bfe_u32 v13, v8, 2, 5
	v_lshlrev_b32_e32 v8, v15, v8
	v_sub_u32_e32 v14, 30, v14
	v_and_b32_e32 v8, 3, v8
	v_cmp_eq_u32_e32 vcc, 0, v13
	v_cndmask_b32_e32 v13, v13, v14, vcc
	v_cndmask_b32_e32 v8, v12, v8, vcc
	v_mov_b32_e32 v12, 0x37800000
	v_lshlrev_b32_e32 v8, 21, v8
	v_and_b32_e32 v11, 0x80000000, v11
	v_lshl_add_u32 v12, v13, 23, v12
	v_or3_b32 v11, v11, v12, v8
.LBB47_1990:
	s_or_b64 exec, exec, s[16:17]
	v_bfe_u32 v8, v11, 16, 1
	s_movk_i32 s14, 0x7fff
	v_add3_u32 v8, v11, v8, s14
	v_lshrrev_b32_e32 v8, 16, v8
	v_mov_b32_e32 v12, 0x7fc0
	v_cmp_o_f32_e32 vcc, v11, v11
	v_cndmask_b32_e32 v8, v12, v8, vcc
	s_mov_b64 s[14:15], 0
	s_branch .LBB47_1996
.LBB47_1991:
	s_mov_b64 s[14:15], -1
                                        ; implicit-def: $vgpr8
	s_branch .LBB47_2002
.LBB47_1992:
	s_or_saveexec_b64 s[20:21], s[20:21]
	v_mov_b32_e32 v11, s25
	s_xor_b64 exec, exec, s[20:21]
	s_cbranch_execz .LBB47_1975
.LBB47_1993:
	v_cmp_ne_u16_e32 vcc, 0, v8
	s_andn2_b64 s[16:17], s[16:17], exec
	s_and_b64 s[22:23], vcc, exec
	v_mov_b32_e32 v11, 0
	s_or_b64 s[16:17], s[16:17], s[22:23]
	s_or_b64 exec, exec, s[20:21]
	s_and_saveexec_b64 s[20:21], s[16:17]
	s_cbranch_execnz .LBB47_1976
	s_branch .LBB47_1977
.LBB47_1994:
	s_mov_b64 s[14:15], -1
                                        ; implicit-def: $vgpr8
	s_branch .LBB47_1999
.LBB47_1995:
	s_mov_b64 s[14:15], -1
                                        ; implicit-def: $vgpr8
.LBB47_1996:
	s_and_b64 vcc, exec, s[14:15]
	s_cbranch_vccz .LBB47_1998
; %bb.1997:
	global_load_ubyte v8, v[0:1], off
	s_mov_b32 s14, 0x7f800000
	s_brev_b32 s15, 1
	s_movk_i32 s16, 0x7fff
	v_mov_b32_e32 v11, 0x7fc0
	s_waitcnt vmcnt(0)
	v_lshlrev_b32_e32 v8, 24, v8
	v_and_b32_e32 v12, 0x7f000000, v8
	v_ffbh_u32_e32 v13, v12
	v_min_u32_e32 v13, 32, v13
	v_sub_u32_e64 v13, v13, 4 clamp
	v_lshlrev_b32_e32 v15, v13, v12
	v_lshlrev_b32_e32 v13, 23, v13
	v_lshrrev_b32_e32 v15, 4, v15
	v_add_u32_e32 v14, 0x1000000, v12
	v_sub_u32_e32 v13, v15, v13
	v_ashrrev_i32_e32 v14, 8, v14
	v_add_u32_e32 v13, 0x3c000000, v13
	v_and_or_b32 v13, v14, s14, v13
	v_cmp_ne_u32_e32 vcc, 0, v12
	v_cndmask_b32_e32 v12, 0, v13, vcc
	v_and_or_b32 v8, v8, s15, v12
	v_bfe_u32 v12, v12, 16, 1
	v_add3_u32 v12, v8, v12, s16
	v_lshrrev_b32_e32 v12, 16, v12
	v_cmp_o_f32_e32 vcc, v8, v8
	v_cndmask_b32_e32 v8, v11, v12, vcc
.LBB47_1998:
	s_mov_b64 s[14:15], 0
.LBB47_1999:
	s_andn2_b64 vcc, exec, s[14:15]
	s_cbranch_vccnz .LBB47_2001
; %bb.2000:
	global_load_ubyte v8, v[0:1], off
	s_movk_i32 s14, 0x7f00
	s_brev_b32 s15, 16
	s_brev_b32 s16, 1
	s_movk_i32 s17, 0x7fff
	v_mov_b32_e32 v11, 0x7fc0
	s_waitcnt vmcnt(0)
	v_lshlrev_b16_e32 v12, 8, v8
	v_lshlrev_b32_e32 v8, 25, v8
	v_lshrrev_b32_e32 v13, 4, v8
	v_and_or_b32 v14, v12, s14, 0.5
	v_or_b32_e32 v13, 0x70000000, v13
	v_add_f32_e32 v14, -0.5, v14
	v_mul_f32_e32 v13, 0x7800000, v13
	v_cmp_gt_u32_e32 vcc, s15, v8
	v_bfe_i32 v12, v12, 0, 16
	v_cndmask_b32_e32 v8, v13, v14, vcc
	v_and_or_b32 v12, v12, s16, v8
	v_bfe_u32 v8, v8, 16, 1
	v_add3_u32 v8, v12, v8, s17
	v_lshrrev_b32_e32 v8, 16, v8
	v_cmp_o_f32_e32 vcc, v12, v12
	v_cndmask_b32_e32 v8, v11, v8, vcc
.LBB47_2001:
	s_mov_b64 s[14:15], 0
	s_mov_b64 s[16:17], -1
.LBB47_2002:
	s_andn2_b64 vcc, exec, s[14:15]
	s_mov_b64 s[14:15], 0
	s_cbranch_vccnz .LBB47_2013
; %bb.2003:
	v_mov_b32_e32 v8, 14
	v_cmp_gt_i16_sdwa s[14:15], v4, v8 src0_sel:BYTE_0 src1_sel:DWORD
	s_and_b64 vcc, exec, s[14:15]
	s_cbranch_vccz .LBB47_2006
; %bb.2004:
	v_mov_b32_e32 v8, 15
	v_cmp_eq_u16_sdwa s[0:1], v4, v8 src0_sel:BYTE_0 src1_sel:DWORD
	s_and_b64 vcc, exec, s[0:1]
	s_cbranch_vccz .LBB47_2009
; %bb.2005:
	global_load_ushort v8, v[0:1], off
	s_mov_b64 s[0:1], 0
	s_mov_b64 s[16:17], -1
	s_branch .LBB47_2010
.LBB47_2006:
	s_mov_b64 s[20:21], -1
                                        ; implicit-def: $vgpr8
	s_branch .LBB47_2011
.LBB47_2007:
	s_or_saveexec_b64 s[16:17], s[16:17]
	v_mov_b32_e32 v11, s22
	s_xor_b64 exec, exec, s[16:17]
	s_cbranch_execz .LBB47_1988
.LBB47_2008:
	v_cmp_ne_u16_e32 vcc, 0, v8
	s_andn2_b64 s[14:15], s[14:15], exec
	s_and_b64 s[20:21], vcc, exec
	v_mov_b32_e32 v11, 0
	s_or_b64 s[14:15], s[14:15], s[20:21]
	s_or_b64 exec, exec, s[16:17]
	s_and_saveexec_b64 s[16:17], s[14:15]
	s_cbranch_execnz .LBB47_1989
	s_branch .LBB47_1990
.LBB47_2009:
	s_mov_b64 s[0:1], -1
                                        ; implicit-def: $vgpr8
.LBB47_2010:
	s_mov_b64 s[20:21], 0
.LBB47_2011:
	s_mov_b64 s[14:15], 0
	s_and_b64 vcc, exec, s[20:21]
	s_cbranch_vccz .LBB47_2013
; %bb.2012:
	s_waitcnt vmcnt(0)
	v_mov_b32_e32 v8, 11
	v_cmp_ne_u16_sdwa s[0:1], v4, v8 src0_sel:BYTE_0 src1_sel:DWORD
	s_mov_b64 s[14:15], -1
                                        ; implicit-def: $vgpr8
.LBB47_2013:
	s_and_b64 vcc, exec, s[0:1]
	s_cbranch_vccnz .LBB47_2080
; %bb.2014:
	s_andn2_b64 vcc, exec, s[14:15]
	s_cbranch_vccnz .LBB47_2016
.LBB47_2015:
	global_load_ubyte v8, v[0:1], off
	s_mov_b64 s[16:17], -1
	s_waitcnt vmcnt(0)
	v_cmp_ne_u16_e32 vcc, 0, v8
	v_cndmask_b32_e64 v8, 0, 1.0, vcc
	v_lshrrev_b32_e32 v8, 16, v8
.LBB47_2016:
	s_mov_b64 s[0:1], 0
.LBB47_2017:
	s_and_b64 vcc, exec, s[0:1]
	s_cbranch_vccz .LBB47_2066
; %bb.2018:
	s_waitcnt vmcnt(0)
	v_mov_b32_e32 v8, 5
	v_cmp_lt_i16_sdwa s[0:1], v4, v8 src0_sel:BYTE_0 src1_sel:DWORD
	s_and_b64 vcc, exec, s[0:1]
	s_cbranch_vccnz .LBB47_2023
; %bb.2019:
	v_mov_b32_e32 v8, 8
	v_cmp_lt_i16_sdwa s[0:1], v4, v8 src0_sel:BYTE_0 src1_sel:DWORD
	s_and_b64 vcc, exec, s[0:1]
	s_cbranch_vccnz .LBB47_2024
; %bb.2020:
	v_mov_b32_e32 v8, 9
	v_cmp_lt_i16_sdwa s[0:1], v4, v8 src0_sel:BYTE_0 src1_sel:DWORD
	s_and_b64 vcc, exec, s[0:1]
	s_cbranch_vccnz .LBB47_2025
; %bb.2021:
	v_cmp_gt_i16_sdwa s[0:1], v4, v8 src0_sel:BYTE_0 src1_sel:DWORD
	s_and_b64 vcc, exec, s[0:1]
	s_cbranch_vccz .LBB47_2026
; %bb.2022:
	global_load_dwordx2 v[12:13], v[0:1], off
	s_movk_i32 s0, 0x7fff
	v_mov_b32_e32 v8, 0x7fc0
	s_waitcnt vmcnt(0)
	v_cvt_f32_f64_e32 v11, v[12:13]
	v_bfe_u32 v12, v11, 16, 1
	v_add3_u32 v12, v11, v12, s0
	v_lshrrev_b32_e32 v12, 16, v12
	v_cmp_o_f32_e32 vcc, v11, v11
	v_cndmask_b32_e32 v8, v8, v12, vcc
	s_mov_b64 s[0:1], 0
	s_branch .LBB47_2027
.LBB47_2023:
	s_mov_b64 s[0:1], -1
                                        ; implicit-def: $vgpr8
	s_branch .LBB47_2045
.LBB47_2024:
	s_mov_b64 s[0:1], -1
                                        ; implicit-def: $vgpr8
	s_branch .LBB47_2033
.LBB47_2025:
	s_mov_b64 s[0:1], -1
                                        ; implicit-def: $vgpr8
	s_branch .LBB47_2030
.LBB47_2026:
	s_mov_b64 s[0:1], -1
                                        ; implicit-def: $vgpr8
.LBB47_2027:
	s_andn2_b64 vcc, exec, s[0:1]
	s_cbranch_vccnz .LBB47_2029
; %bb.2028:
	global_load_dword v8, v[0:1], off
	s_movk_i32 s0, 0x7fff
	v_mov_b32_e32 v11, 0x7fc0
	s_waitcnt vmcnt(0)
	v_bfe_u32 v12, v8, 16, 1
	v_add3_u32 v12, v8, v12, s0
	v_lshrrev_b32_e32 v12, 16, v12
	v_cmp_o_f32_e32 vcc, v8, v8
	v_cndmask_b32_e32 v8, v11, v12, vcc
.LBB47_2029:
	s_mov_b64 s[0:1], 0
.LBB47_2030:
	s_andn2_b64 vcc, exec, s[0:1]
	s_cbranch_vccnz .LBB47_2032
; %bb.2031:
	global_load_dword v8, v[0:1], off
	s_movk_i32 s0, 0x7fff
	v_mov_b32_e32 v12, 0x7fc0
	s_waitcnt vmcnt(0)
	v_cvt_f32_f16_e32 v11, v8
	v_cmp_o_f16_e32 vcc, v8, v8
	v_bfe_u32 v13, v11, 16, 1
	v_add3_u32 v11, v11, v13, s0
	v_lshrrev_b32_e32 v11, 16, v11
	v_cndmask_b32_e32 v8, v12, v11, vcc
.LBB47_2032:
	s_mov_b64 s[0:1], 0
.LBB47_2033:
	s_andn2_b64 vcc, exec, s[0:1]
	s_cbranch_vccnz .LBB47_2044
; %bb.2034:
	v_mov_b32_e32 v8, 6
	v_cmp_lt_i16_sdwa s[0:1], v4, v8 src0_sel:BYTE_0 src1_sel:DWORD
	s_and_b64 vcc, exec, s[0:1]
	s_cbranch_vccnz .LBB47_2037
; %bb.2035:
	v_cmp_gt_i16_sdwa s[0:1], v4, v8 src0_sel:BYTE_0 src1_sel:DWORD
	s_and_b64 vcc, exec, s[0:1]
	s_cbranch_vccz .LBB47_2038
; %bb.2036:
	global_load_dwordx2 v[12:13], v[0:1], off
	s_movk_i32 s0, 0x7fff
	v_mov_b32_e32 v8, 0x7fc0
	s_waitcnt vmcnt(0)
	v_cvt_f32_f64_e32 v11, v[12:13]
	v_bfe_u32 v12, v11, 16, 1
	v_add3_u32 v12, v11, v12, s0
	v_lshrrev_b32_e32 v12, 16, v12
	v_cmp_o_f32_e32 vcc, v11, v11
	v_cndmask_b32_e32 v8, v8, v12, vcc
	s_mov_b64 s[0:1], 0
	s_branch .LBB47_2039
.LBB47_2037:
	s_mov_b64 s[0:1], -1
                                        ; implicit-def: $vgpr8
	s_branch .LBB47_2042
.LBB47_2038:
	s_mov_b64 s[0:1], -1
                                        ; implicit-def: $vgpr8
.LBB47_2039:
	s_andn2_b64 vcc, exec, s[0:1]
	s_cbranch_vccnz .LBB47_2041
; %bb.2040:
	global_load_dword v8, v[0:1], off
	s_movk_i32 s0, 0x7fff
	v_mov_b32_e32 v11, 0x7fc0
	s_waitcnt vmcnt(0)
	v_bfe_u32 v12, v8, 16, 1
	v_add3_u32 v12, v8, v12, s0
	v_lshrrev_b32_e32 v12, 16, v12
	v_cmp_o_f32_e32 vcc, v8, v8
	v_cndmask_b32_e32 v8, v11, v12, vcc
.LBB47_2041:
	s_mov_b64 s[0:1], 0
.LBB47_2042:
	s_andn2_b64 vcc, exec, s[0:1]
	s_cbranch_vccnz .LBB47_2044
; %bb.2043:
	global_load_ushort v8, v[0:1], off
	s_movk_i32 s0, 0x7fff
	v_mov_b32_e32 v12, 0x7fc0
	s_waitcnt vmcnt(0)
	v_cvt_f32_f16_e32 v11, v8
	v_cmp_o_f16_e32 vcc, v8, v8
	v_bfe_u32 v13, v11, 16, 1
	v_add3_u32 v11, v11, v13, s0
	v_lshrrev_b32_e32 v11, 16, v11
	v_cndmask_b32_e32 v8, v12, v11, vcc
.LBB47_2044:
	s_mov_b64 s[0:1], 0
.LBB47_2045:
	s_andn2_b64 vcc, exec, s[0:1]
	s_cbranch_vccnz .LBB47_2065
; %bb.2046:
	v_mov_b32_e32 v8, 2
	v_cmp_lt_i16_sdwa s[0:1], v4, v8 src0_sel:BYTE_0 src1_sel:DWORD
	s_and_b64 vcc, exec, s[0:1]
	s_cbranch_vccnz .LBB47_2050
; %bb.2047:
	v_mov_b32_e32 v8, 3
	v_cmp_lt_i16_sdwa s[0:1], v4, v8 src0_sel:BYTE_0 src1_sel:DWORD
	s_and_b64 vcc, exec, s[0:1]
	s_cbranch_vccnz .LBB47_2051
; %bb.2048:
	v_cmp_gt_i16_sdwa s[0:1], v4, v8 src0_sel:BYTE_0 src1_sel:DWORD
	s_and_b64 vcc, exec, s[0:1]
	s_cbranch_vccz .LBB47_2052
; %bb.2049:
	global_load_dwordx2 v[12:13], v[0:1], off
	s_movk_i32 s0, 0x7fff
	s_waitcnt vmcnt(0)
	v_xor_b32_e32 v11, v12, v13
	v_ffbh_i32_e32 v8, v13
	v_ashrrev_i32_e32 v11, 31, v11
	v_add_u32_e32 v8, -1, v8
	v_add_u32_e32 v11, 32, v11
	v_min_u32_e32 v8, v8, v11
	v_lshlrev_b64 v[12:13], v8, v[12:13]
	v_min_u32_e32 v11, 1, v12
	v_or_b32_e32 v11, v13, v11
	v_cvt_f32_i32_e32 v11, v11
	v_sub_u32_e32 v8, 32, v8
	v_ldexp_f32 v8, v11, v8
	v_bfe_u32 v11, v8, 16, 1
	v_add3_u32 v8, v8, v11, s0
	v_lshrrev_b32_e32 v8, 16, v8
	s_mov_b64 s[0:1], 0
	s_branch .LBB47_2053
.LBB47_2050:
	s_mov_b64 s[0:1], -1
                                        ; implicit-def: $vgpr8
	s_branch .LBB47_2059
.LBB47_2051:
	s_mov_b64 s[0:1], -1
                                        ; implicit-def: $vgpr8
	s_branch .LBB47_2056
.LBB47_2052:
	s_mov_b64 s[0:1], -1
                                        ; implicit-def: $vgpr8
.LBB47_2053:
	s_andn2_b64 vcc, exec, s[0:1]
	s_cbranch_vccnz .LBB47_2055
; %bb.2054:
	global_load_dword v8, v[0:1], off
	s_movk_i32 s0, 0x7fff
	s_waitcnt vmcnt(0)
	v_cvt_f32_i32_e32 v8, v8
	v_bfe_u32 v11, v8, 16, 1
	v_add3_u32 v8, v8, v11, s0
	v_lshrrev_b32_e32 v8, 16, v8
.LBB47_2055:
	s_mov_b64 s[0:1], 0
.LBB47_2056:
	s_andn2_b64 vcc, exec, s[0:1]
	s_cbranch_vccnz .LBB47_2058
; %bb.2057:
	global_load_sshort v8, v[0:1], off
	s_movk_i32 s0, 0x7fff
	s_waitcnt vmcnt(0)
	v_cvt_f32_i32_e32 v8, v8
	v_bfe_u32 v11, v8, 16, 1
	v_add3_u32 v8, v8, v11, s0
	v_lshrrev_b32_e32 v8, 16, v8
.LBB47_2058:
	s_mov_b64 s[0:1], 0
.LBB47_2059:
	s_andn2_b64 vcc, exec, s[0:1]
	s_cbranch_vccnz .LBB47_2065
; %bb.2060:
	v_mov_b32_e32 v8, 0
	v_cmp_gt_i16_sdwa s[0:1], v4, v8 src0_sel:BYTE_0 src1_sel:DWORD
	s_and_b64 vcc, exec, s[0:1]
	s_cbranch_vccz .LBB47_2062
; %bb.2061:
	global_load_sbyte v8, v[0:1], off
	s_movk_i32 s0, 0x7fff
	s_waitcnt vmcnt(0)
	v_cvt_f32_i32_e32 v8, v8
	v_bfe_u32 v11, v8, 16, 1
	v_add3_u32 v8, v8, v11, s0
	v_lshrrev_b32_e32 v8, 16, v8
	s_mov_b64 s[0:1], 0
	s_branch .LBB47_2063
.LBB47_2062:
	s_mov_b64 s[0:1], -1
                                        ; implicit-def: $vgpr8
.LBB47_2063:
	s_andn2_b64 vcc, exec, s[0:1]
	s_cbranch_vccnz .LBB47_2065
; %bb.2064:
	global_load_ubyte v0, v[0:1], off
	s_movk_i32 s0, 0x7fff
	s_waitcnt vmcnt(0)
	v_cvt_f32_ubyte0_e32 v0, v0
	v_bfe_u32 v1, v0, 16, 1
	v_add3_u32 v0, v0, v1, s0
	v_lshrrev_b32_e32 v8, 16, v0
.LBB47_2065:
	s_mov_b64 s[16:17], -1
.LBB47_2066:
	s_andn2_b64 vcc, exec, s[16:17]
	s_cbranch_vccnz .LBB47_2602
; %bb.2067:
	s_waitcnt vmcnt(0)
	v_lshlrev_b32_e32 v0, 16, v7
	v_cmp_nlt_f32_e32 vcc, 0, v0
	s_and_saveexec_b64 s[0:1], vcc
; %bb.2068:
	v_lshlrev_b32_e32 v1, 16, v8
	v_mul_f32_e32 v0, v0, v1
	v_bfe_u32 v1, v0, 16, 1
	s_movk_i32 s14, 0x7fff
	v_add3_u32 v1, v0, v1, s14
	v_lshrrev_b32_e32 v1, 16, v1
	v_mov_b32_e32 v7, 0x7fc0
	v_cmp_o_f32_e32 vcc, v0, v0
	v_cndmask_b32_e32 v7, v7, v1, vcc
; %bb.2069:
	s_or_b64 exec, exec, s[0:1]
	v_add_u32_e32 v9, s13, v9
	v_ashrrev_i32_e32 v1, 31, v9
	v_mov_b32_e32 v8, s11
	v_add_co_u32_e32 v0, vcc, s10, v9
	v_addc_co_u32_e32 v1, vcc, v8, v1, vcc
	v_mov_b32_e32 v8, 11
	v_cmp_lt_i16_sdwa s[0:1], v5, v8 src0_sel:BYTE_0 src1_sel:DWORD
	s_and_b64 vcc, exec, s[0:1]
	s_cbranch_vccnz .LBB47_2076
; %bb.2070:
	v_mov_b32_e32 v8, 25
	v_cmp_gt_i16_sdwa s[0:1], v5, v8 src0_sel:BYTE_0 src1_sel:DWORD
	s_mov_b64 s[14:15], 0
	s_and_b64 vcc, exec, s[0:1]
	s_cbranch_vccz .LBB47_2077
; %bb.2071:
	v_mov_b32_e32 v8, 28
	v_cmp_gt_i16_sdwa s[0:1], v5, v8 src0_sel:BYTE_0 src1_sel:DWORD
	s_and_b64 vcc, exec, s[0:1]
	s_cbranch_vccz .LBB47_2078
; %bb.2072:
	v_mov_b32_e32 v8, 43
	v_cmp_gt_i16_sdwa s[0:1], v5, v8 src0_sel:BYTE_0 src1_sel:DWORD
	s_and_b64 vcc, exec, s[0:1]
	s_cbranch_vccz .LBB47_2079
; %bb.2073:
	v_mov_b32_e32 v8, 45
	v_cmp_gt_i16_sdwa s[0:1], v5, v8 src0_sel:BYTE_0 src1_sel:DWORD
	s_and_b64 vcc, exec, s[0:1]
	s_cbranch_vccz .LBB47_2081
; %bb.2074:
	v_mov_b32_e32 v8, 46
	v_cmp_eq_u16_sdwa s[0:1], v5, v8 src0_sel:BYTE_0 src1_sel:DWORD
	s_mov_b64 s[20:21], 0
	s_and_b64 vcc, exec, s[0:1]
	s_cbranch_vccz .LBB47_2082
; %bb.2075:
	global_load_dword v8, v[0:1], off
	s_mov_b64 s[0:1], 0
	s_mov_b64 s[16:17], -1
	s_branch .LBB47_2083
.LBB47_2076:
	s_mov_b64 s[0:1], -1
	s_mov_b64 s[16:17], 0
                                        ; implicit-def: $vgpr8
	s_branch .LBB47_2149
.LBB47_2077:
	s_mov_b64 s[20:21], -1
	s_mov_b64 s[16:17], 0
	s_mov_b64 s[0:1], 0
                                        ; implicit-def: $vgpr8
	s_branch .LBB47_2112
.LBB47_2078:
	s_mov_b64 s[20:21], -1
	s_mov_b64 s[16:17], 0
	s_mov_b64 s[0:1], 0
                                        ; implicit-def: $vgpr8
	s_branch .LBB47_2093
.LBB47_2079:
	s_mov_b64 s[20:21], -1
	s_mov_b64 s[16:17], 0
	s_mov_b64 s[0:1], 0
                                        ; implicit-def: $vgpr8
	s_branch .LBB47_2088
.LBB47_2080:
	s_trap 2
	s_or_b64 s[18:19], s[18:19], exec
                                        ; implicit-def: $vgpr8
	s_cbranch_execz .LBB47_2015
	s_branch .LBB47_2016
.LBB47_2081:
	s_mov_b64 s[20:21], -1
	s_mov_b64 s[16:17], 0
	s_mov_b64 s[0:1], 0
                                        ; implicit-def: $vgpr8
	s_branch .LBB47_2083
.LBB47_2082:
	s_mov_b64 s[0:1], -1
                                        ; implicit-def: $vgpr8
	s_mov_b64 s[16:17], 0
.LBB47_2083:
	s_and_b64 vcc, exec, s[20:21]
	s_cbranch_vccz .LBB47_2087
; %bb.2084:
	s_waitcnt vmcnt(0)
	v_mov_b32_e32 v8, 44
	v_cmp_eq_u16_sdwa s[0:1], v5, v8 src0_sel:BYTE_0 src1_sel:DWORD
	s_and_b64 vcc, exec, s[0:1]
	s_cbranch_vccz .LBB47_2086
; %bb.2085:
	global_load_ubyte v8, v[0:1], off
	s_movk_i32 s16, 0xff
	v_mov_b32_e32 v11, 0x7f800001
	v_mov_b32_e32 v12, 0x400000
	;; [unrolled: 1-line block ×3, first 2 shown]
	s_mov_b64 s[0:1], 0
	s_waitcnt vmcnt(0)
	v_lshlrev_b32_e32 v14, 23, v8
	v_cmp_ne_u32_e32 vcc, s16, v8
	v_cndmask_b32_e32 v11, v11, v14, vcc
	v_cmp_ne_u32_e32 vcc, 0, v8
	v_cndmask_b32_e32 v8, v12, v11, vcc
	v_add_u32_e32 v11, 0x7fff, v8
	v_lshrrev_b32_e32 v11, 16, v11
	v_cmp_o_f32_e32 vcc, v8, v8
	v_cndmask_b32_e32 v8, v13, v11, vcc
	s_mov_b64 s[16:17], -1
	s_branch .LBB47_2087
.LBB47_2086:
	s_mov_b64 s[0:1], -1
                                        ; implicit-def: $vgpr8
.LBB47_2087:
	s_mov_b64 s[20:21], 0
.LBB47_2088:
	s_and_b64 vcc, exec, s[20:21]
	s_cbranch_vccz .LBB47_2092
; %bb.2089:
	s_waitcnt vmcnt(0)
	v_mov_b32_e32 v8, 29
	v_cmp_eq_u16_sdwa s[0:1], v5, v8 src0_sel:BYTE_0 src1_sel:DWORD
	s_and_b64 vcc, exec, s[0:1]
	s_cbranch_vccz .LBB47_2091
; %bb.2090:
	global_load_dwordx2 v[12:13], v[0:1], off
	s_movk_i32 s16, 0x7fff
	s_mov_b64 s[0:1], 0
	s_mov_b64 s[20:21], 0
	s_waitcnt vmcnt(0)
	v_ffbh_u32_e32 v8, v13
	v_min_u32_e32 v8, 32, v8
	v_lshlrev_b64 v[12:13], v8, v[12:13]
	v_min_u32_e32 v11, 1, v12
	v_or_b32_e32 v11, v13, v11
	v_cvt_f32_u32_e32 v11, v11
	v_sub_u32_e32 v8, 32, v8
	v_ldexp_f32 v8, v11, v8
	v_bfe_u32 v11, v8, 16, 1
	v_add3_u32 v8, v8, v11, s16
	v_lshrrev_b32_e32 v8, 16, v8
	s_mov_b64 s[16:17], -1
	s_branch .LBB47_2093
.LBB47_2091:
	s_mov_b64 s[0:1], -1
                                        ; implicit-def: $vgpr8
.LBB47_2092:
	s_mov_b64 s[20:21], 0
.LBB47_2093:
	s_and_b64 vcc, exec, s[20:21]
	s_cbranch_vccz .LBB47_2111
; %bb.2094:
	s_waitcnt vmcnt(0)
	v_mov_b32_e32 v8, 27
	v_cmp_lt_i16_sdwa s[16:17], v5, v8 src0_sel:BYTE_0 src1_sel:DWORD
	s_and_b64 vcc, exec, s[16:17]
	s_cbranch_vccnz .LBB47_2097
; %bb.2095:
	v_cmp_gt_i16_sdwa s[16:17], v5, v8 src0_sel:BYTE_0 src1_sel:DWORD
	s_and_b64 vcc, exec, s[16:17]
	s_cbranch_vccz .LBB47_2098
; %bb.2096:
	global_load_dword v8, v[0:1], off
	s_movk_i32 s16, 0x7fff
	s_waitcnt vmcnt(0)
	v_cvt_f32_u32_e32 v8, v8
	v_bfe_u32 v11, v8, 16, 1
	v_add3_u32 v8, v8, v11, s16
	v_lshrrev_b32_e32 v8, 16, v8
	s_mov_b64 s[16:17], 0
	s_branch .LBB47_2099
.LBB47_2097:
	s_mov_b64 s[16:17], -1
                                        ; implicit-def: $vgpr8
	s_branch .LBB47_2102
.LBB47_2098:
	s_mov_b64 s[16:17], -1
                                        ; implicit-def: $vgpr8
.LBB47_2099:
	s_andn2_b64 vcc, exec, s[16:17]
	s_cbranch_vccnz .LBB47_2101
; %bb.2100:
	global_load_ushort v8, v[0:1], off
	s_movk_i32 s16, 0x7fff
	s_waitcnt vmcnt(0)
	v_cvt_f32_u32_e32 v8, v8
	v_bfe_u32 v11, v8, 16, 1
	v_add3_u32 v8, v8, v11, s16
	v_lshrrev_b32_e32 v8, 16, v8
.LBB47_2101:
	s_mov_b64 s[16:17], 0
.LBB47_2102:
	s_andn2_b64 vcc, exec, s[16:17]
	s_cbranch_vccnz .LBB47_2110
; %bb.2103:
	global_load_ubyte v8, v[0:1], off
	s_movk_i32 s16, 0x7f
                                        ; implicit-def: $sgpr25
	s_waitcnt vmcnt(0)
	v_cmp_lt_i16_e32 vcc, s16, v8
	s_mov_b64 s[16:17], 0
	s_and_saveexec_b64 s[20:21], vcc
	s_xor_b64 s[20:21], exec, s[20:21]
	s_cbranch_execz .LBB47_2124
; %bb.2104:
	s_movk_i32 s16, 0x80
	v_cmp_eq_u16_e32 vcc, s16, v8
	s_mov_b64 s[16:17], -1
                                        ; implicit-def: $sgpr25
	s_and_saveexec_b64 s[22:23], vcc
; %bb.2105:
	s_mov_b32 s25, 0x7f800001
	s_xor_b64 s[16:17], exec, -1
; %bb.2106:
	s_or_b64 exec, exec, s[22:23]
	s_and_b64 s[16:17], s[16:17], exec
	s_or_saveexec_b64 s[20:21], s[20:21]
	v_mov_b32_e32 v11, s25
	s_xor_b64 exec, exec, s[20:21]
	s_cbranch_execnz .LBB47_2125
.LBB47_2107:
	s_or_b64 exec, exec, s[20:21]
	s_and_saveexec_b64 s[20:21], s[16:17]
	s_cbranch_execz .LBB47_2109
.LBB47_2108:
	v_lshlrev_b32_e32 v11, 24, v8
	v_and_b32_e32 v8, 0xffff, v8
	v_and_b32_e32 v12, 7, v8
	v_ffbh_u32_e32 v14, v12
	v_min_u32_e32 v14, 32, v14
	v_subrev_u32_e32 v15, 28, v14
	v_bfe_u32 v13, v8, 3, 4
	v_lshlrev_b32_e32 v8, v15, v8
	v_sub_u32_e32 v14, 29, v14
	v_and_b32_e32 v8, 7, v8
	v_cmp_eq_u32_e32 vcc, 0, v13
	v_cndmask_b32_e32 v13, v13, v14, vcc
	v_cndmask_b32_e32 v8, v12, v8, vcc
	v_mov_b32_e32 v12, 0x3b800000
	v_lshlrev_b32_e32 v8, 20, v8
	v_and_b32_e32 v11, 0x80000000, v11
	v_lshl_add_u32 v12, v13, 23, v12
	v_or3_b32 v11, v11, v12, v8
.LBB47_2109:
	s_or_b64 exec, exec, s[20:21]
	v_bfe_u32 v8, v11, 16, 1
	s_movk_i32 s16, 0x7fff
	v_add3_u32 v8, v11, v8, s16
	v_lshrrev_b32_e32 v8, 16, v8
	v_mov_b32_e32 v12, 0x7fc0
	v_cmp_o_f32_e32 vcc, v11, v11
	v_cndmask_b32_e32 v8, v12, v8, vcc
.LBB47_2110:
	s_mov_b64 s[16:17], -1
.LBB47_2111:
	s_mov_b64 s[20:21], 0
.LBB47_2112:
	s_and_b64 vcc, exec, s[20:21]
	s_cbranch_vccz .LBB47_2145
; %bb.2113:
	s_waitcnt vmcnt(0)
	v_mov_b32_e32 v8, 22
	v_cmp_gt_i16_sdwa s[14:15], v5, v8 src0_sel:BYTE_0 src1_sel:DWORD
	s_and_b64 vcc, exec, s[14:15]
	s_cbranch_vccz .LBB47_2123
; %bb.2114:
	v_mov_b32_e32 v8, 24
	v_cmp_lt_i16_sdwa s[14:15], v5, v8 src0_sel:BYTE_0 src1_sel:DWORD
	s_and_b64 vcc, exec, s[14:15]
	s_cbranch_vccnz .LBB47_2126
; %bb.2115:
	v_cmp_gt_i16_sdwa s[14:15], v5, v8 src0_sel:BYTE_0 src1_sel:DWORD
	s_and_b64 vcc, exec, s[14:15]
	s_cbranch_vccz .LBB47_2127
; %bb.2116:
	global_load_ubyte v8, v[0:1], off
	s_movk_i32 s14, 0x7f
                                        ; implicit-def: $sgpr22
	s_waitcnt vmcnt(0)
	v_cmp_lt_i16_e32 vcc, s14, v8
	s_mov_b64 s[14:15], 0
	s_and_saveexec_b64 s[16:17], vcc
	s_xor_b64 s[16:17], exec, s[16:17]
	s_cbranch_execz .LBB47_2139
; %bb.2117:
	s_movk_i32 s14, 0x80
	v_cmp_eq_u16_e32 vcc, s14, v8
	s_mov_b64 s[14:15], -1
                                        ; implicit-def: $sgpr22
	s_and_saveexec_b64 s[20:21], vcc
; %bb.2118:
	s_mov_b32 s22, 0x7f800001
	s_xor_b64 s[14:15], exec, -1
; %bb.2119:
	s_or_b64 exec, exec, s[20:21]
	s_and_b64 s[14:15], s[14:15], exec
	s_or_saveexec_b64 s[16:17], s[16:17]
	v_mov_b32_e32 v11, s22
	s_xor_b64 exec, exec, s[16:17]
	s_cbranch_execnz .LBB47_2140
.LBB47_2120:
	s_or_b64 exec, exec, s[16:17]
	s_and_saveexec_b64 s[16:17], s[14:15]
	s_cbranch_execz .LBB47_2122
.LBB47_2121:
	v_lshlrev_b32_e32 v11, 24, v8
	v_and_b32_e32 v8, 0xffff, v8
	v_and_b32_e32 v12, 3, v8
	v_ffbh_u32_e32 v14, v12
	v_min_u32_e32 v14, 32, v14
	v_subrev_u32_e32 v15, 29, v14
	v_bfe_u32 v13, v8, 2, 5
	v_lshlrev_b32_e32 v8, v15, v8
	v_sub_u32_e32 v14, 30, v14
	v_and_b32_e32 v8, 3, v8
	v_cmp_eq_u32_e32 vcc, 0, v13
	v_cndmask_b32_e32 v13, v13, v14, vcc
	v_cndmask_b32_e32 v8, v12, v8, vcc
	v_mov_b32_e32 v12, 0x37800000
	v_lshlrev_b32_e32 v8, 21, v8
	v_and_b32_e32 v11, 0x80000000, v11
	v_lshl_add_u32 v12, v13, 23, v12
	v_or3_b32 v11, v11, v12, v8
.LBB47_2122:
	s_or_b64 exec, exec, s[16:17]
	v_bfe_u32 v8, v11, 16, 1
	s_movk_i32 s14, 0x7fff
	v_add3_u32 v8, v11, v8, s14
	v_lshrrev_b32_e32 v8, 16, v8
	v_mov_b32_e32 v12, 0x7fc0
	v_cmp_o_f32_e32 vcc, v11, v11
	v_cndmask_b32_e32 v8, v12, v8, vcc
	s_mov_b64 s[14:15], 0
	s_branch .LBB47_2128
.LBB47_2123:
	s_mov_b64 s[14:15], -1
                                        ; implicit-def: $vgpr8
	s_branch .LBB47_2134
.LBB47_2124:
	s_or_saveexec_b64 s[20:21], s[20:21]
	v_mov_b32_e32 v11, s25
	s_xor_b64 exec, exec, s[20:21]
	s_cbranch_execz .LBB47_2107
.LBB47_2125:
	v_cmp_ne_u16_e32 vcc, 0, v8
	s_andn2_b64 s[16:17], s[16:17], exec
	s_and_b64 s[22:23], vcc, exec
	v_mov_b32_e32 v11, 0
	s_or_b64 s[16:17], s[16:17], s[22:23]
	s_or_b64 exec, exec, s[20:21]
	s_and_saveexec_b64 s[20:21], s[16:17]
	s_cbranch_execnz .LBB47_2108
	s_branch .LBB47_2109
.LBB47_2126:
	s_mov_b64 s[14:15], -1
                                        ; implicit-def: $vgpr8
	s_branch .LBB47_2131
.LBB47_2127:
	s_mov_b64 s[14:15], -1
                                        ; implicit-def: $vgpr8
.LBB47_2128:
	s_and_b64 vcc, exec, s[14:15]
	s_cbranch_vccz .LBB47_2130
; %bb.2129:
	global_load_ubyte v8, v[0:1], off
	s_mov_b32 s14, 0x7f800000
	s_brev_b32 s15, 1
	s_movk_i32 s16, 0x7fff
	v_mov_b32_e32 v11, 0x7fc0
	s_waitcnt vmcnt(0)
	v_lshlrev_b32_e32 v8, 24, v8
	v_and_b32_e32 v12, 0x7f000000, v8
	v_ffbh_u32_e32 v13, v12
	v_min_u32_e32 v13, 32, v13
	v_sub_u32_e64 v13, v13, 4 clamp
	v_lshlrev_b32_e32 v15, v13, v12
	v_lshlrev_b32_e32 v13, 23, v13
	v_lshrrev_b32_e32 v15, 4, v15
	v_add_u32_e32 v14, 0x1000000, v12
	v_sub_u32_e32 v13, v15, v13
	v_ashrrev_i32_e32 v14, 8, v14
	v_add_u32_e32 v13, 0x3c000000, v13
	v_and_or_b32 v13, v14, s14, v13
	v_cmp_ne_u32_e32 vcc, 0, v12
	v_cndmask_b32_e32 v12, 0, v13, vcc
	v_and_or_b32 v8, v8, s15, v12
	v_bfe_u32 v12, v12, 16, 1
	v_add3_u32 v12, v8, v12, s16
	v_lshrrev_b32_e32 v12, 16, v12
	v_cmp_o_f32_e32 vcc, v8, v8
	v_cndmask_b32_e32 v8, v11, v12, vcc
.LBB47_2130:
	s_mov_b64 s[14:15], 0
.LBB47_2131:
	s_andn2_b64 vcc, exec, s[14:15]
	s_cbranch_vccnz .LBB47_2133
; %bb.2132:
	global_load_ubyte v8, v[0:1], off
	s_movk_i32 s14, 0x7f00
	s_brev_b32 s15, 16
	s_brev_b32 s16, 1
	s_movk_i32 s17, 0x7fff
	v_mov_b32_e32 v11, 0x7fc0
	s_waitcnt vmcnt(0)
	v_lshlrev_b16_e32 v12, 8, v8
	v_lshlrev_b32_e32 v8, 25, v8
	v_lshrrev_b32_e32 v13, 4, v8
	v_and_or_b32 v14, v12, s14, 0.5
	v_or_b32_e32 v13, 0x70000000, v13
	v_add_f32_e32 v14, -0.5, v14
	v_mul_f32_e32 v13, 0x7800000, v13
	v_cmp_gt_u32_e32 vcc, s15, v8
	v_bfe_i32 v12, v12, 0, 16
	v_cndmask_b32_e32 v8, v13, v14, vcc
	v_and_or_b32 v12, v12, s16, v8
	v_bfe_u32 v8, v8, 16, 1
	v_add3_u32 v8, v12, v8, s17
	v_lshrrev_b32_e32 v8, 16, v8
	v_cmp_o_f32_e32 vcc, v12, v12
	v_cndmask_b32_e32 v8, v11, v8, vcc
.LBB47_2133:
	s_mov_b64 s[14:15], 0
	s_mov_b64 s[16:17], -1
.LBB47_2134:
	s_andn2_b64 vcc, exec, s[14:15]
	s_mov_b64 s[14:15], 0
	s_cbranch_vccnz .LBB47_2145
; %bb.2135:
	v_mov_b32_e32 v8, 14
	v_cmp_gt_i16_sdwa s[14:15], v5, v8 src0_sel:BYTE_0 src1_sel:DWORD
	s_and_b64 vcc, exec, s[14:15]
	s_cbranch_vccz .LBB47_2138
; %bb.2136:
	v_mov_b32_e32 v8, 15
	v_cmp_eq_u16_sdwa s[0:1], v5, v8 src0_sel:BYTE_0 src1_sel:DWORD
	s_and_b64 vcc, exec, s[0:1]
	s_cbranch_vccz .LBB47_2141
; %bb.2137:
	global_load_ushort v8, v[0:1], off
	s_mov_b64 s[0:1], 0
	s_mov_b64 s[16:17], -1
	s_branch .LBB47_2142
.LBB47_2138:
	s_mov_b64 s[20:21], -1
                                        ; implicit-def: $vgpr8
	s_branch .LBB47_2143
.LBB47_2139:
	s_or_saveexec_b64 s[16:17], s[16:17]
	v_mov_b32_e32 v11, s22
	s_xor_b64 exec, exec, s[16:17]
	s_cbranch_execz .LBB47_2120
.LBB47_2140:
	v_cmp_ne_u16_e32 vcc, 0, v8
	s_andn2_b64 s[14:15], s[14:15], exec
	s_and_b64 s[20:21], vcc, exec
	v_mov_b32_e32 v11, 0
	s_or_b64 s[14:15], s[14:15], s[20:21]
	s_or_b64 exec, exec, s[16:17]
	s_and_saveexec_b64 s[16:17], s[14:15]
	s_cbranch_execnz .LBB47_2121
	s_branch .LBB47_2122
.LBB47_2141:
	s_mov_b64 s[0:1], -1
                                        ; implicit-def: $vgpr8
.LBB47_2142:
	s_mov_b64 s[20:21], 0
.LBB47_2143:
	s_mov_b64 s[14:15], 0
	s_and_b64 vcc, exec, s[20:21]
	s_cbranch_vccz .LBB47_2145
; %bb.2144:
	s_waitcnt vmcnt(0)
	v_mov_b32_e32 v8, 11
	v_cmp_ne_u16_sdwa s[0:1], v5, v8 src0_sel:BYTE_0 src1_sel:DWORD
	s_mov_b64 s[14:15], -1
                                        ; implicit-def: $vgpr8
.LBB47_2145:
	s_and_b64 vcc, exec, s[0:1]
	s_cbranch_vccnz .LBB47_2210
; %bb.2146:
	s_andn2_b64 vcc, exec, s[14:15]
	s_cbranch_vccnz .LBB47_2148
.LBB47_2147:
	global_load_ubyte v8, v[0:1], off
	s_mov_b64 s[16:17], -1
	s_waitcnt vmcnt(0)
	v_cmp_ne_u16_e32 vcc, 0, v8
	v_cndmask_b32_e64 v8, 0, 1.0, vcc
	v_lshrrev_b32_e32 v8, 16, v8
.LBB47_2148:
	s_mov_b64 s[0:1], 0
.LBB47_2149:
	s_and_b64 vcc, exec, s[0:1]
	s_cbranch_vccz .LBB47_2198
; %bb.2150:
	s_waitcnt vmcnt(0)
	v_mov_b32_e32 v8, 5
	v_cmp_lt_i16_sdwa s[0:1], v5, v8 src0_sel:BYTE_0 src1_sel:DWORD
	s_and_b64 vcc, exec, s[0:1]
	s_cbranch_vccnz .LBB47_2155
; %bb.2151:
	v_mov_b32_e32 v8, 8
	v_cmp_lt_i16_sdwa s[0:1], v5, v8 src0_sel:BYTE_0 src1_sel:DWORD
	s_and_b64 vcc, exec, s[0:1]
	s_cbranch_vccnz .LBB47_2156
; %bb.2152:
	;; [unrolled: 5-line block ×3, first 2 shown]
	v_cmp_gt_i16_sdwa s[0:1], v5, v8 src0_sel:BYTE_0 src1_sel:DWORD
	s_and_b64 vcc, exec, s[0:1]
	s_cbranch_vccz .LBB47_2158
; %bb.2154:
	global_load_dwordx2 v[12:13], v[0:1], off
	s_movk_i32 s0, 0x7fff
	v_mov_b32_e32 v8, 0x7fc0
	s_waitcnt vmcnt(0)
	v_cvt_f32_f64_e32 v11, v[12:13]
	v_bfe_u32 v12, v11, 16, 1
	v_add3_u32 v12, v11, v12, s0
	v_lshrrev_b32_e32 v12, 16, v12
	v_cmp_o_f32_e32 vcc, v11, v11
	v_cndmask_b32_e32 v8, v8, v12, vcc
	s_mov_b64 s[0:1], 0
	s_branch .LBB47_2159
.LBB47_2155:
	s_mov_b64 s[0:1], -1
                                        ; implicit-def: $vgpr8
	s_branch .LBB47_2177
.LBB47_2156:
	s_mov_b64 s[0:1], -1
                                        ; implicit-def: $vgpr8
	s_branch .LBB47_2165
.LBB47_2157:
	s_mov_b64 s[0:1], -1
                                        ; implicit-def: $vgpr8
	s_branch .LBB47_2162
.LBB47_2158:
	s_mov_b64 s[0:1], -1
                                        ; implicit-def: $vgpr8
.LBB47_2159:
	s_andn2_b64 vcc, exec, s[0:1]
	s_cbranch_vccnz .LBB47_2161
; %bb.2160:
	global_load_dword v8, v[0:1], off
	s_movk_i32 s0, 0x7fff
	v_mov_b32_e32 v11, 0x7fc0
	s_waitcnt vmcnt(0)
	v_bfe_u32 v12, v8, 16, 1
	v_add3_u32 v12, v8, v12, s0
	v_lshrrev_b32_e32 v12, 16, v12
	v_cmp_o_f32_e32 vcc, v8, v8
	v_cndmask_b32_e32 v8, v11, v12, vcc
.LBB47_2161:
	s_mov_b64 s[0:1], 0
.LBB47_2162:
	s_andn2_b64 vcc, exec, s[0:1]
	s_cbranch_vccnz .LBB47_2164
; %bb.2163:
	global_load_dword v8, v[0:1], off
	s_movk_i32 s0, 0x7fff
	v_mov_b32_e32 v12, 0x7fc0
	s_waitcnt vmcnt(0)
	v_cvt_f32_f16_e32 v11, v8
	v_cmp_o_f16_e32 vcc, v8, v8
	v_bfe_u32 v13, v11, 16, 1
	v_add3_u32 v11, v11, v13, s0
	v_lshrrev_b32_e32 v11, 16, v11
	v_cndmask_b32_e32 v8, v12, v11, vcc
.LBB47_2164:
	s_mov_b64 s[0:1], 0
.LBB47_2165:
	s_andn2_b64 vcc, exec, s[0:1]
	s_cbranch_vccnz .LBB47_2176
; %bb.2166:
	v_mov_b32_e32 v8, 6
	v_cmp_lt_i16_sdwa s[0:1], v5, v8 src0_sel:BYTE_0 src1_sel:DWORD
	s_and_b64 vcc, exec, s[0:1]
	s_cbranch_vccnz .LBB47_2169
; %bb.2167:
	v_cmp_gt_i16_sdwa s[0:1], v5, v8 src0_sel:BYTE_0 src1_sel:DWORD
	s_and_b64 vcc, exec, s[0:1]
	s_cbranch_vccz .LBB47_2170
; %bb.2168:
	global_load_dwordx2 v[12:13], v[0:1], off
	s_movk_i32 s0, 0x7fff
	v_mov_b32_e32 v8, 0x7fc0
	s_waitcnt vmcnt(0)
	v_cvt_f32_f64_e32 v11, v[12:13]
	v_bfe_u32 v12, v11, 16, 1
	v_add3_u32 v12, v11, v12, s0
	v_lshrrev_b32_e32 v12, 16, v12
	v_cmp_o_f32_e32 vcc, v11, v11
	v_cndmask_b32_e32 v8, v8, v12, vcc
	s_mov_b64 s[0:1], 0
	s_branch .LBB47_2171
.LBB47_2169:
	s_mov_b64 s[0:1], -1
                                        ; implicit-def: $vgpr8
	s_branch .LBB47_2174
.LBB47_2170:
	s_mov_b64 s[0:1], -1
                                        ; implicit-def: $vgpr8
.LBB47_2171:
	s_andn2_b64 vcc, exec, s[0:1]
	s_cbranch_vccnz .LBB47_2173
; %bb.2172:
	global_load_dword v8, v[0:1], off
	s_movk_i32 s0, 0x7fff
	v_mov_b32_e32 v11, 0x7fc0
	s_waitcnt vmcnt(0)
	v_bfe_u32 v12, v8, 16, 1
	v_add3_u32 v12, v8, v12, s0
	v_lshrrev_b32_e32 v12, 16, v12
	v_cmp_o_f32_e32 vcc, v8, v8
	v_cndmask_b32_e32 v8, v11, v12, vcc
.LBB47_2173:
	s_mov_b64 s[0:1], 0
.LBB47_2174:
	s_andn2_b64 vcc, exec, s[0:1]
	s_cbranch_vccnz .LBB47_2176
; %bb.2175:
	global_load_ushort v8, v[0:1], off
	s_movk_i32 s0, 0x7fff
	v_mov_b32_e32 v12, 0x7fc0
	s_waitcnt vmcnt(0)
	v_cvt_f32_f16_e32 v11, v8
	v_cmp_o_f16_e32 vcc, v8, v8
	v_bfe_u32 v13, v11, 16, 1
	v_add3_u32 v11, v11, v13, s0
	v_lshrrev_b32_e32 v11, 16, v11
	v_cndmask_b32_e32 v8, v12, v11, vcc
.LBB47_2176:
	s_mov_b64 s[0:1], 0
.LBB47_2177:
	s_andn2_b64 vcc, exec, s[0:1]
	s_cbranch_vccnz .LBB47_2197
; %bb.2178:
	v_mov_b32_e32 v8, 2
	v_cmp_lt_i16_sdwa s[0:1], v5, v8 src0_sel:BYTE_0 src1_sel:DWORD
	s_and_b64 vcc, exec, s[0:1]
	s_cbranch_vccnz .LBB47_2182
; %bb.2179:
	v_mov_b32_e32 v8, 3
	v_cmp_lt_i16_sdwa s[0:1], v5, v8 src0_sel:BYTE_0 src1_sel:DWORD
	s_and_b64 vcc, exec, s[0:1]
	s_cbranch_vccnz .LBB47_2183
; %bb.2180:
	v_cmp_gt_i16_sdwa s[0:1], v5, v8 src0_sel:BYTE_0 src1_sel:DWORD
	s_and_b64 vcc, exec, s[0:1]
	s_cbranch_vccz .LBB47_2184
; %bb.2181:
	global_load_dwordx2 v[12:13], v[0:1], off
	s_movk_i32 s0, 0x7fff
	s_waitcnt vmcnt(0)
	v_xor_b32_e32 v11, v12, v13
	v_ffbh_i32_e32 v8, v13
	v_ashrrev_i32_e32 v11, 31, v11
	v_add_u32_e32 v8, -1, v8
	v_add_u32_e32 v11, 32, v11
	v_min_u32_e32 v8, v8, v11
	v_lshlrev_b64 v[12:13], v8, v[12:13]
	v_min_u32_e32 v11, 1, v12
	v_or_b32_e32 v11, v13, v11
	v_cvt_f32_i32_e32 v11, v11
	v_sub_u32_e32 v8, 32, v8
	v_ldexp_f32 v8, v11, v8
	v_bfe_u32 v11, v8, 16, 1
	v_add3_u32 v8, v8, v11, s0
	v_lshrrev_b32_e32 v8, 16, v8
	s_mov_b64 s[0:1], 0
	s_branch .LBB47_2185
.LBB47_2182:
	s_mov_b64 s[0:1], -1
                                        ; implicit-def: $vgpr8
	s_branch .LBB47_2191
.LBB47_2183:
	s_mov_b64 s[0:1], -1
                                        ; implicit-def: $vgpr8
	s_branch .LBB47_2188
.LBB47_2184:
	s_mov_b64 s[0:1], -1
                                        ; implicit-def: $vgpr8
.LBB47_2185:
	s_andn2_b64 vcc, exec, s[0:1]
	s_cbranch_vccnz .LBB47_2187
; %bb.2186:
	global_load_dword v8, v[0:1], off
	s_movk_i32 s0, 0x7fff
	s_waitcnt vmcnt(0)
	v_cvt_f32_i32_e32 v8, v8
	v_bfe_u32 v11, v8, 16, 1
	v_add3_u32 v8, v8, v11, s0
	v_lshrrev_b32_e32 v8, 16, v8
.LBB47_2187:
	s_mov_b64 s[0:1], 0
.LBB47_2188:
	s_andn2_b64 vcc, exec, s[0:1]
	s_cbranch_vccnz .LBB47_2190
; %bb.2189:
	global_load_sshort v8, v[0:1], off
	s_movk_i32 s0, 0x7fff
	s_waitcnt vmcnt(0)
	v_cvt_f32_i32_e32 v8, v8
	v_bfe_u32 v11, v8, 16, 1
	v_add3_u32 v8, v8, v11, s0
	v_lshrrev_b32_e32 v8, 16, v8
.LBB47_2190:
	s_mov_b64 s[0:1], 0
.LBB47_2191:
	s_andn2_b64 vcc, exec, s[0:1]
	s_cbranch_vccnz .LBB47_2197
; %bb.2192:
	v_mov_b32_e32 v8, 0
	v_cmp_gt_i16_sdwa s[0:1], v5, v8 src0_sel:BYTE_0 src1_sel:DWORD
	s_and_b64 vcc, exec, s[0:1]
	s_cbranch_vccz .LBB47_2194
; %bb.2193:
	global_load_sbyte v8, v[0:1], off
	s_movk_i32 s0, 0x7fff
	s_waitcnt vmcnt(0)
	v_cvt_f32_i32_e32 v8, v8
	v_bfe_u32 v11, v8, 16, 1
	v_add3_u32 v8, v8, v11, s0
	v_lshrrev_b32_e32 v8, 16, v8
	s_mov_b64 s[0:1], 0
	s_branch .LBB47_2195
.LBB47_2194:
	s_mov_b64 s[0:1], -1
                                        ; implicit-def: $vgpr8
.LBB47_2195:
	s_andn2_b64 vcc, exec, s[0:1]
	s_cbranch_vccnz .LBB47_2197
; %bb.2196:
	global_load_ubyte v0, v[0:1], off
	s_movk_i32 s0, 0x7fff
	s_waitcnt vmcnt(0)
	v_cvt_f32_ubyte0_e32 v0, v0
	v_bfe_u32 v1, v0, 16, 1
	v_add3_u32 v0, v0, v1, s0
	v_lshrrev_b32_e32 v8, 16, v0
.LBB47_2197:
	s_mov_b64 s[16:17], -1
.LBB47_2198:
	s_andn2_b64 vcc, exec, s[16:17]
	s_cbranch_vccnz .LBB47_2602
; %bb.2199:
	v_add_u32_e32 v10, s24, v10
	v_ashrrev_i32_e32 v1, 31, v10
	v_mov_b32_e32 v11, s3
	v_add_co_u32_e32 v0, vcc, s2, v10
	v_addc_co_u32_e32 v1, vcc, v11, v1, vcc
	v_mov_b32_e32 v11, 11
	v_cmp_lt_i16_sdwa s[0:1], v4, v11 src0_sel:BYTE_0 src1_sel:DWORD
	s_and_b64 vcc, exec, s[0:1]
	s_cbranch_vccnz .LBB47_2206
; %bb.2200:
	v_mov_b32_e32 v11, 25
	v_cmp_gt_i16_sdwa s[0:1], v4, v11 src0_sel:BYTE_0 src1_sel:DWORD
	s_mov_b64 s[14:15], 0
	s_and_b64 vcc, exec, s[0:1]
	s_cbranch_vccz .LBB47_2207
; %bb.2201:
	v_mov_b32_e32 v11, 28
	v_cmp_gt_i16_sdwa s[0:1], v4, v11 src0_sel:BYTE_0 src1_sel:DWORD
	s_and_b64 vcc, exec, s[0:1]
	s_cbranch_vccz .LBB47_2208
; %bb.2202:
	v_mov_b32_e32 v11, 43
	v_cmp_gt_i16_sdwa s[0:1], v4, v11 src0_sel:BYTE_0 src1_sel:DWORD
	;; [unrolled: 5-line block ×3, first 2 shown]
	s_and_b64 vcc, exec, s[0:1]
	s_cbranch_vccz .LBB47_2211
; %bb.2204:
	v_mov_b32_e32 v11, 46
	v_cmp_eq_u16_sdwa s[0:1], v4, v11 src0_sel:BYTE_0 src1_sel:DWORD
	s_mov_b64 s[20:21], 0
	s_and_b64 vcc, exec, s[0:1]
	s_cbranch_vccz .LBB47_2214
; %bb.2205:
	global_load_dword v11, v[0:1], off
	s_mov_b64 s[0:1], 0
	s_mov_b64 s[16:17], -1
	s_branch .LBB47_2215
.LBB47_2206:
	s_mov_b64 s[0:1], -1
	s_mov_b64 s[16:17], 0
                                        ; implicit-def: $vgpr11
	s_branch .LBB47_2281
.LBB47_2207:
	s_mov_b64 s[20:21], -1
	s_mov_b64 s[16:17], 0
	s_mov_b64 s[0:1], 0
                                        ; implicit-def: $vgpr11
	s_branch .LBB47_2244
.LBB47_2208:
	s_mov_b64 s[20:21], -1
	s_mov_b64 s[16:17], 0
	s_mov_b64 s[0:1], 0
                                        ; implicit-def: $vgpr11
	s_branch .LBB47_2225
.LBB47_2209:
	s_mov_b64 s[20:21], -1
	s_mov_b64 s[16:17], 0
	s_mov_b64 s[0:1], 0
                                        ; implicit-def: $vgpr11
	s_branch .LBB47_2220
.LBB47_2210:
	s_trap 2
	s_or_b64 s[18:19], s[18:19], exec
                                        ; implicit-def: $vgpr8
	s_cbranch_execz .LBB47_2147
	s_branch .LBB47_2148
.LBB47_2211:
	s_mov_b64 s[20:21], -1
	s_mov_b64 s[16:17], 0
	s_mov_b64 s[0:1], 0
                                        ; implicit-def: $vgpr11
	s_branch .LBB47_2215
.LBB47_2212:
	s_or_saveexec_b64 s[44:45], s[44:45]
                                        ; implicit-def: $sgpr15
	s_xor_b64 exec, exec, s[44:45]
	s_cbranch_execz .LBB47_1091
.LBB47_2213:
	s_mov_b32 s15, 0x42800000
	v_add_f32_e64 v8, |v9|, s15
	v_and_b32_e32 v8, 0xff, v8
	v_cmp_ne_u32_e32 vcc, 0, v8
	s_andn2_b64 s[42:43], s[42:43], exec
	s_and_b64 s[46:47], vcc, exec
	s_mov_b32 s15, 0
	s_or_b64 s[42:43], s[42:43], s[46:47]
	s_or_b64 exec, exec, s[44:45]
	v_mov_b32_e32 v10, s15
	s_and_saveexec_b64 s[44:45], s[42:43]
	s_cbranch_execnz .LBB47_1092
	s_branch .LBB47_1093
.LBB47_2214:
	s_mov_b64 s[0:1], -1
                                        ; implicit-def: $vgpr11
	s_mov_b64 s[16:17], 0
.LBB47_2215:
	s_and_b64 vcc, exec, s[20:21]
	s_cbranch_vccz .LBB47_2219
; %bb.2216:
	s_waitcnt vmcnt(0)
	v_mov_b32_e32 v11, 44
	v_cmp_eq_u16_sdwa s[0:1], v4, v11 src0_sel:BYTE_0 src1_sel:DWORD
	s_and_b64 vcc, exec, s[0:1]
	s_cbranch_vccz .LBB47_2218
; %bb.2217:
	global_load_ubyte v11, v[0:1], off
	s_movk_i32 s16, 0xff
	v_mov_b32_e32 v12, 0x7f800001
	v_mov_b32_e32 v13, 0x400000
	;; [unrolled: 1-line block ×3, first 2 shown]
	s_mov_b64 s[0:1], 0
	s_waitcnt vmcnt(0)
	v_lshlrev_b32_e32 v15, 23, v11
	v_cmp_ne_u32_e32 vcc, s16, v11
	v_cndmask_b32_e32 v12, v12, v15, vcc
	v_cmp_ne_u32_e32 vcc, 0, v11
	v_cndmask_b32_e32 v11, v13, v12, vcc
	v_add_u32_e32 v12, 0x7fff, v11
	v_lshrrev_b32_e32 v12, 16, v12
	v_cmp_o_f32_e32 vcc, v11, v11
	v_cndmask_b32_e32 v11, v14, v12, vcc
	s_mov_b64 s[16:17], -1
	s_branch .LBB47_2219
.LBB47_2218:
	s_mov_b64 s[0:1], -1
                                        ; implicit-def: $vgpr11
.LBB47_2219:
	s_mov_b64 s[20:21], 0
.LBB47_2220:
	s_and_b64 vcc, exec, s[20:21]
	s_cbranch_vccz .LBB47_2224
; %bb.2221:
	s_waitcnt vmcnt(0)
	v_mov_b32_e32 v11, 29
	v_cmp_eq_u16_sdwa s[0:1], v4, v11 src0_sel:BYTE_0 src1_sel:DWORD
	s_and_b64 vcc, exec, s[0:1]
	s_cbranch_vccz .LBB47_2223
; %bb.2222:
	global_load_dwordx2 v[12:13], v[0:1], off
	s_movk_i32 s16, 0x7fff
	s_mov_b64 s[0:1], 0
	s_mov_b64 s[20:21], 0
	s_waitcnt vmcnt(0)
	v_ffbh_u32_e32 v11, v13
	v_min_u32_e32 v11, 32, v11
	v_lshlrev_b64 v[12:13], v11, v[12:13]
	v_min_u32_e32 v12, 1, v12
	v_or_b32_e32 v12, v13, v12
	v_cvt_f32_u32_e32 v12, v12
	v_sub_u32_e32 v11, 32, v11
	v_ldexp_f32 v11, v12, v11
	v_bfe_u32 v12, v11, 16, 1
	v_add3_u32 v11, v11, v12, s16
	v_lshrrev_b32_e32 v11, 16, v11
	s_mov_b64 s[16:17], -1
	s_branch .LBB47_2225
.LBB47_2223:
	s_mov_b64 s[0:1], -1
                                        ; implicit-def: $vgpr11
.LBB47_2224:
	s_mov_b64 s[20:21], 0
.LBB47_2225:
	s_and_b64 vcc, exec, s[20:21]
	s_cbranch_vccz .LBB47_2243
; %bb.2226:
	s_waitcnt vmcnt(0)
	v_mov_b32_e32 v11, 27
	v_cmp_lt_i16_sdwa s[16:17], v4, v11 src0_sel:BYTE_0 src1_sel:DWORD
	s_and_b64 vcc, exec, s[16:17]
	s_cbranch_vccnz .LBB47_2229
; %bb.2227:
	v_cmp_gt_i16_sdwa s[16:17], v4, v11 src0_sel:BYTE_0 src1_sel:DWORD
	s_and_b64 vcc, exec, s[16:17]
	s_cbranch_vccz .LBB47_2230
; %bb.2228:
	global_load_dword v11, v[0:1], off
	s_movk_i32 s16, 0x7fff
	s_waitcnt vmcnt(0)
	v_cvt_f32_u32_e32 v11, v11
	v_bfe_u32 v12, v11, 16, 1
	v_add3_u32 v11, v11, v12, s16
	v_lshrrev_b32_e32 v11, 16, v11
	s_mov_b64 s[16:17], 0
	s_branch .LBB47_2231
.LBB47_2229:
	s_mov_b64 s[16:17], -1
                                        ; implicit-def: $vgpr11
	s_branch .LBB47_2234
.LBB47_2230:
	s_mov_b64 s[16:17], -1
                                        ; implicit-def: $vgpr11
.LBB47_2231:
	s_andn2_b64 vcc, exec, s[16:17]
	s_cbranch_vccnz .LBB47_2233
; %bb.2232:
	global_load_ushort v11, v[0:1], off
	s_movk_i32 s16, 0x7fff
	s_waitcnt vmcnt(0)
	v_cvt_f32_u32_e32 v11, v11
	v_bfe_u32 v12, v11, 16, 1
	v_add3_u32 v11, v11, v12, s16
	v_lshrrev_b32_e32 v11, 16, v11
.LBB47_2233:
	s_mov_b64 s[16:17], 0
.LBB47_2234:
	s_andn2_b64 vcc, exec, s[16:17]
	s_cbranch_vccnz .LBB47_2242
; %bb.2235:
	global_load_ubyte v11, v[0:1], off
	s_movk_i32 s16, 0x7f
                                        ; implicit-def: $sgpr25
	s_waitcnt vmcnt(0)
	v_cmp_lt_i16_e32 vcc, s16, v11
	s_mov_b64 s[16:17], 0
	s_and_saveexec_b64 s[20:21], vcc
	s_xor_b64 s[20:21], exec, s[20:21]
	s_cbranch_execz .LBB47_2256
; %bb.2236:
	s_movk_i32 s16, 0x80
	v_cmp_eq_u16_e32 vcc, s16, v11
	s_mov_b64 s[16:17], -1
                                        ; implicit-def: $sgpr25
	s_and_saveexec_b64 s[22:23], vcc
; %bb.2237:
	s_mov_b32 s25, 0x7f800001
	s_xor_b64 s[16:17], exec, -1
; %bb.2238:
	s_or_b64 exec, exec, s[22:23]
	s_and_b64 s[16:17], s[16:17], exec
	s_or_saveexec_b64 s[20:21], s[20:21]
	v_mov_b32_e32 v12, s25
	s_xor_b64 exec, exec, s[20:21]
	s_cbranch_execnz .LBB47_2257
.LBB47_2239:
	s_or_b64 exec, exec, s[20:21]
	s_and_saveexec_b64 s[20:21], s[16:17]
	s_cbranch_execz .LBB47_2241
.LBB47_2240:
	v_lshlrev_b32_e32 v12, 24, v11
	v_and_b32_e32 v11, 0xffff, v11
	v_and_b32_e32 v13, 7, v11
	v_ffbh_u32_e32 v15, v13
	v_min_u32_e32 v15, 32, v15
	v_subrev_u32_e32 v16, 28, v15
	v_bfe_u32 v14, v11, 3, 4
	v_lshlrev_b32_e32 v11, v16, v11
	v_sub_u32_e32 v15, 29, v15
	v_and_b32_e32 v11, 7, v11
	v_cmp_eq_u32_e32 vcc, 0, v14
	v_cndmask_b32_e32 v14, v14, v15, vcc
	v_cndmask_b32_e32 v11, v13, v11, vcc
	v_mov_b32_e32 v13, 0x3b800000
	v_lshlrev_b32_e32 v11, 20, v11
	v_and_b32_e32 v12, 0x80000000, v12
	v_lshl_add_u32 v13, v14, 23, v13
	v_or3_b32 v12, v12, v13, v11
.LBB47_2241:
	s_or_b64 exec, exec, s[20:21]
	v_bfe_u32 v11, v12, 16, 1
	s_movk_i32 s16, 0x7fff
	v_add3_u32 v11, v12, v11, s16
	v_lshrrev_b32_e32 v11, 16, v11
	v_mov_b32_e32 v13, 0x7fc0
	v_cmp_o_f32_e32 vcc, v12, v12
	v_cndmask_b32_e32 v11, v13, v11, vcc
.LBB47_2242:
	s_mov_b64 s[16:17], -1
.LBB47_2243:
	s_mov_b64 s[20:21], 0
.LBB47_2244:
	s_and_b64 vcc, exec, s[20:21]
	s_cbranch_vccz .LBB47_2277
; %bb.2245:
	s_waitcnt vmcnt(0)
	v_mov_b32_e32 v11, 22
	v_cmp_gt_i16_sdwa s[14:15], v4, v11 src0_sel:BYTE_0 src1_sel:DWORD
	s_and_b64 vcc, exec, s[14:15]
	s_cbranch_vccz .LBB47_2255
; %bb.2246:
	v_mov_b32_e32 v11, 24
	v_cmp_lt_i16_sdwa s[14:15], v4, v11 src0_sel:BYTE_0 src1_sel:DWORD
	s_and_b64 vcc, exec, s[14:15]
	s_cbranch_vccnz .LBB47_2258
; %bb.2247:
	v_cmp_gt_i16_sdwa s[14:15], v4, v11 src0_sel:BYTE_0 src1_sel:DWORD
	s_and_b64 vcc, exec, s[14:15]
	s_cbranch_vccz .LBB47_2259
; %bb.2248:
	global_load_ubyte v11, v[0:1], off
	s_movk_i32 s14, 0x7f
                                        ; implicit-def: $sgpr22
	s_waitcnt vmcnt(0)
	v_cmp_lt_i16_e32 vcc, s14, v11
	s_mov_b64 s[14:15], 0
	s_and_saveexec_b64 s[16:17], vcc
	s_xor_b64 s[16:17], exec, s[16:17]
	s_cbranch_execz .LBB47_2271
; %bb.2249:
	s_movk_i32 s14, 0x80
	v_cmp_eq_u16_e32 vcc, s14, v11
	s_mov_b64 s[14:15], -1
                                        ; implicit-def: $sgpr22
	s_and_saveexec_b64 s[20:21], vcc
; %bb.2250:
	s_mov_b32 s22, 0x7f800001
	s_xor_b64 s[14:15], exec, -1
; %bb.2251:
	s_or_b64 exec, exec, s[20:21]
	s_and_b64 s[14:15], s[14:15], exec
	s_or_saveexec_b64 s[16:17], s[16:17]
	v_mov_b32_e32 v12, s22
	s_xor_b64 exec, exec, s[16:17]
	s_cbranch_execnz .LBB47_2272
.LBB47_2252:
	s_or_b64 exec, exec, s[16:17]
	s_and_saveexec_b64 s[16:17], s[14:15]
	s_cbranch_execz .LBB47_2254
.LBB47_2253:
	v_lshlrev_b32_e32 v12, 24, v11
	v_and_b32_e32 v11, 0xffff, v11
	v_and_b32_e32 v13, 3, v11
	v_ffbh_u32_e32 v15, v13
	v_min_u32_e32 v15, 32, v15
	v_subrev_u32_e32 v16, 29, v15
	v_bfe_u32 v14, v11, 2, 5
	v_lshlrev_b32_e32 v11, v16, v11
	v_sub_u32_e32 v15, 30, v15
	v_and_b32_e32 v11, 3, v11
	v_cmp_eq_u32_e32 vcc, 0, v14
	v_cndmask_b32_e32 v14, v14, v15, vcc
	v_cndmask_b32_e32 v11, v13, v11, vcc
	v_mov_b32_e32 v13, 0x37800000
	v_lshlrev_b32_e32 v11, 21, v11
	v_and_b32_e32 v12, 0x80000000, v12
	v_lshl_add_u32 v13, v14, 23, v13
	v_or3_b32 v12, v12, v13, v11
.LBB47_2254:
	s_or_b64 exec, exec, s[16:17]
	v_bfe_u32 v11, v12, 16, 1
	s_movk_i32 s14, 0x7fff
	v_add3_u32 v11, v12, v11, s14
	v_lshrrev_b32_e32 v11, 16, v11
	v_mov_b32_e32 v13, 0x7fc0
	v_cmp_o_f32_e32 vcc, v12, v12
	v_cndmask_b32_e32 v11, v13, v11, vcc
	s_mov_b64 s[14:15], 0
	s_branch .LBB47_2260
.LBB47_2255:
	s_mov_b64 s[14:15], -1
                                        ; implicit-def: $vgpr11
	s_branch .LBB47_2266
.LBB47_2256:
	s_or_saveexec_b64 s[20:21], s[20:21]
	v_mov_b32_e32 v12, s25
	s_xor_b64 exec, exec, s[20:21]
	s_cbranch_execz .LBB47_2239
.LBB47_2257:
	v_cmp_ne_u16_e32 vcc, 0, v11
	s_andn2_b64 s[16:17], s[16:17], exec
	s_and_b64 s[22:23], vcc, exec
	v_mov_b32_e32 v12, 0
	s_or_b64 s[16:17], s[16:17], s[22:23]
	s_or_b64 exec, exec, s[20:21]
	s_and_saveexec_b64 s[20:21], s[16:17]
	s_cbranch_execnz .LBB47_2240
	s_branch .LBB47_2241
.LBB47_2258:
	s_mov_b64 s[14:15], -1
                                        ; implicit-def: $vgpr11
	s_branch .LBB47_2263
.LBB47_2259:
	s_mov_b64 s[14:15], -1
                                        ; implicit-def: $vgpr11
.LBB47_2260:
	s_and_b64 vcc, exec, s[14:15]
	s_cbranch_vccz .LBB47_2262
; %bb.2261:
	global_load_ubyte v11, v[0:1], off
	s_mov_b32 s14, 0x7f800000
	s_brev_b32 s15, 1
	s_movk_i32 s16, 0x7fff
	v_mov_b32_e32 v12, 0x7fc0
	s_waitcnt vmcnt(0)
	v_lshlrev_b32_e32 v11, 24, v11
	v_and_b32_e32 v13, 0x7f000000, v11
	v_ffbh_u32_e32 v14, v13
	v_min_u32_e32 v14, 32, v14
	v_sub_u32_e64 v14, v14, 4 clamp
	v_lshlrev_b32_e32 v16, v14, v13
	v_lshlrev_b32_e32 v14, 23, v14
	v_lshrrev_b32_e32 v16, 4, v16
	v_add_u32_e32 v15, 0x1000000, v13
	v_sub_u32_e32 v14, v16, v14
	v_ashrrev_i32_e32 v15, 8, v15
	v_add_u32_e32 v14, 0x3c000000, v14
	v_and_or_b32 v14, v15, s14, v14
	v_cmp_ne_u32_e32 vcc, 0, v13
	v_cndmask_b32_e32 v13, 0, v14, vcc
	v_and_or_b32 v11, v11, s15, v13
	v_bfe_u32 v13, v13, 16, 1
	v_add3_u32 v13, v11, v13, s16
	v_lshrrev_b32_e32 v13, 16, v13
	v_cmp_o_f32_e32 vcc, v11, v11
	v_cndmask_b32_e32 v11, v12, v13, vcc
.LBB47_2262:
	s_mov_b64 s[14:15], 0
.LBB47_2263:
	s_andn2_b64 vcc, exec, s[14:15]
	s_cbranch_vccnz .LBB47_2265
; %bb.2264:
	global_load_ubyte v11, v[0:1], off
	s_movk_i32 s14, 0x7f00
	s_brev_b32 s15, 16
	s_brev_b32 s16, 1
	s_movk_i32 s17, 0x7fff
	v_mov_b32_e32 v12, 0x7fc0
	s_waitcnt vmcnt(0)
	v_lshlrev_b16_e32 v13, 8, v11
	v_lshlrev_b32_e32 v11, 25, v11
	v_lshrrev_b32_e32 v14, 4, v11
	v_and_or_b32 v15, v13, s14, 0.5
	v_or_b32_e32 v14, 0x70000000, v14
	v_add_f32_e32 v15, -0.5, v15
	v_mul_f32_e32 v14, 0x7800000, v14
	v_cmp_gt_u32_e32 vcc, s15, v11
	v_bfe_i32 v13, v13, 0, 16
	v_cndmask_b32_e32 v11, v14, v15, vcc
	v_and_or_b32 v13, v13, s16, v11
	v_bfe_u32 v11, v11, 16, 1
	v_add3_u32 v11, v13, v11, s17
	v_lshrrev_b32_e32 v11, 16, v11
	v_cmp_o_f32_e32 vcc, v13, v13
	v_cndmask_b32_e32 v11, v12, v11, vcc
.LBB47_2265:
	s_mov_b64 s[14:15], 0
	s_mov_b64 s[16:17], -1
.LBB47_2266:
	s_andn2_b64 vcc, exec, s[14:15]
	s_mov_b64 s[14:15], 0
	s_cbranch_vccnz .LBB47_2277
; %bb.2267:
	v_mov_b32_e32 v11, 14
	v_cmp_gt_i16_sdwa s[14:15], v4, v11 src0_sel:BYTE_0 src1_sel:DWORD
	s_and_b64 vcc, exec, s[14:15]
	s_cbranch_vccz .LBB47_2270
; %bb.2268:
	v_mov_b32_e32 v11, 15
	v_cmp_eq_u16_sdwa s[0:1], v4, v11 src0_sel:BYTE_0 src1_sel:DWORD
	s_and_b64 vcc, exec, s[0:1]
	s_cbranch_vccz .LBB47_2273
; %bb.2269:
	global_load_ushort v11, v[0:1], off
	s_mov_b64 s[0:1], 0
	s_mov_b64 s[16:17], -1
	s_branch .LBB47_2274
.LBB47_2270:
	s_mov_b64 s[20:21], -1
                                        ; implicit-def: $vgpr11
	s_branch .LBB47_2275
.LBB47_2271:
	s_or_saveexec_b64 s[16:17], s[16:17]
	v_mov_b32_e32 v12, s22
	s_xor_b64 exec, exec, s[16:17]
	s_cbranch_execz .LBB47_2252
.LBB47_2272:
	v_cmp_ne_u16_e32 vcc, 0, v11
	s_andn2_b64 s[14:15], s[14:15], exec
	s_and_b64 s[20:21], vcc, exec
	v_mov_b32_e32 v12, 0
	s_or_b64 s[14:15], s[14:15], s[20:21]
	s_or_b64 exec, exec, s[16:17]
	s_and_saveexec_b64 s[16:17], s[14:15]
	s_cbranch_execnz .LBB47_2253
	s_branch .LBB47_2254
.LBB47_2273:
	s_mov_b64 s[0:1], -1
                                        ; implicit-def: $vgpr11
.LBB47_2274:
	s_mov_b64 s[20:21], 0
.LBB47_2275:
	s_mov_b64 s[14:15], 0
	s_and_b64 vcc, exec, s[20:21]
	s_cbranch_vccz .LBB47_2277
; %bb.2276:
	s_waitcnt vmcnt(0)
	v_mov_b32_e32 v11, 11
	v_cmp_ne_u16_sdwa s[0:1], v4, v11 src0_sel:BYTE_0 src1_sel:DWORD
	s_mov_b64 s[14:15], -1
                                        ; implicit-def: $vgpr11
.LBB47_2277:
	s_and_b64 vcc, exec, s[0:1]
	s_cbranch_vccnz .LBB47_2344
; %bb.2278:
	s_andn2_b64 vcc, exec, s[14:15]
	s_cbranch_vccnz .LBB47_2280
.LBB47_2279:
	global_load_ubyte v11, v[0:1], off
	s_mov_b64 s[16:17], -1
	s_waitcnt vmcnt(0)
	v_cmp_ne_u16_e32 vcc, 0, v11
	v_cndmask_b32_e64 v11, 0, 1.0, vcc
	v_lshrrev_b32_e32 v11, 16, v11
.LBB47_2280:
	s_mov_b64 s[0:1], 0
.LBB47_2281:
	s_and_b64 vcc, exec, s[0:1]
	s_cbranch_vccz .LBB47_2330
; %bb.2282:
	s_waitcnt vmcnt(0)
	v_mov_b32_e32 v11, 5
	v_cmp_lt_i16_sdwa s[0:1], v4, v11 src0_sel:BYTE_0 src1_sel:DWORD
	s_and_b64 vcc, exec, s[0:1]
	s_cbranch_vccnz .LBB47_2287
; %bb.2283:
	v_mov_b32_e32 v11, 8
	v_cmp_lt_i16_sdwa s[0:1], v4, v11 src0_sel:BYTE_0 src1_sel:DWORD
	s_and_b64 vcc, exec, s[0:1]
	s_cbranch_vccnz .LBB47_2288
; %bb.2284:
	;; [unrolled: 5-line block ×3, first 2 shown]
	v_cmp_gt_i16_sdwa s[0:1], v4, v11 src0_sel:BYTE_0 src1_sel:DWORD
	s_and_b64 vcc, exec, s[0:1]
	s_cbranch_vccz .LBB47_2290
; %bb.2286:
	global_load_dwordx2 v[12:13], v[0:1], off
	s_movk_i32 s0, 0x7fff
	v_mov_b32_e32 v11, 0x7fc0
	s_waitcnt vmcnt(0)
	v_cvt_f32_f64_e32 v12, v[12:13]
	v_bfe_u32 v13, v12, 16, 1
	v_add3_u32 v13, v12, v13, s0
	v_lshrrev_b32_e32 v13, 16, v13
	v_cmp_o_f32_e32 vcc, v12, v12
	v_cndmask_b32_e32 v11, v11, v13, vcc
	s_mov_b64 s[0:1], 0
	s_branch .LBB47_2291
.LBB47_2287:
	s_mov_b64 s[0:1], -1
                                        ; implicit-def: $vgpr11
	s_branch .LBB47_2309
.LBB47_2288:
	s_mov_b64 s[0:1], -1
                                        ; implicit-def: $vgpr11
	s_branch .LBB47_2297
.LBB47_2289:
	s_mov_b64 s[0:1], -1
                                        ; implicit-def: $vgpr11
	s_branch .LBB47_2294
.LBB47_2290:
	s_mov_b64 s[0:1], -1
                                        ; implicit-def: $vgpr11
.LBB47_2291:
	s_andn2_b64 vcc, exec, s[0:1]
	s_cbranch_vccnz .LBB47_2293
; %bb.2292:
	global_load_dword v11, v[0:1], off
	s_movk_i32 s0, 0x7fff
	v_mov_b32_e32 v12, 0x7fc0
	s_waitcnt vmcnt(0)
	v_bfe_u32 v13, v11, 16, 1
	v_add3_u32 v13, v11, v13, s0
	v_lshrrev_b32_e32 v13, 16, v13
	v_cmp_o_f32_e32 vcc, v11, v11
	v_cndmask_b32_e32 v11, v12, v13, vcc
.LBB47_2293:
	s_mov_b64 s[0:1], 0
.LBB47_2294:
	s_andn2_b64 vcc, exec, s[0:1]
	s_cbranch_vccnz .LBB47_2296
; %bb.2295:
	global_load_dword v11, v[0:1], off
	s_movk_i32 s0, 0x7fff
	v_mov_b32_e32 v13, 0x7fc0
	s_waitcnt vmcnt(0)
	v_cvt_f32_f16_e32 v12, v11
	v_cmp_o_f16_e32 vcc, v11, v11
	v_bfe_u32 v14, v12, 16, 1
	v_add3_u32 v12, v12, v14, s0
	v_lshrrev_b32_e32 v12, 16, v12
	v_cndmask_b32_e32 v11, v13, v12, vcc
.LBB47_2296:
	s_mov_b64 s[0:1], 0
.LBB47_2297:
	s_andn2_b64 vcc, exec, s[0:1]
	s_cbranch_vccnz .LBB47_2308
; %bb.2298:
	v_mov_b32_e32 v11, 6
	v_cmp_lt_i16_sdwa s[0:1], v4, v11 src0_sel:BYTE_0 src1_sel:DWORD
	s_and_b64 vcc, exec, s[0:1]
	s_cbranch_vccnz .LBB47_2301
; %bb.2299:
	v_cmp_gt_i16_sdwa s[0:1], v4, v11 src0_sel:BYTE_0 src1_sel:DWORD
	s_and_b64 vcc, exec, s[0:1]
	s_cbranch_vccz .LBB47_2302
; %bb.2300:
	global_load_dwordx2 v[12:13], v[0:1], off
	s_movk_i32 s0, 0x7fff
	v_mov_b32_e32 v11, 0x7fc0
	s_waitcnt vmcnt(0)
	v_cvt_f32_f64_e32 v12, v[12:13]
	v_bfe_u32 v13, v12, 16, 1
	v_add3_u32 v13, v12, v13, s0
	v_lshrrev_b32_e32 v13, 16, v13
	v_cmp_o_f32_e32 vcc, v12, v12
	v_cndmask_b32_e32 v11, v11, v13, vcc
	s_mov_b64 s[0:1], 0
	s_branch .LBB47_2303
.LBB47_2301:
	s_mov_b64 s[0:1], -1
                                        ; implicit-def: $vgpr11
	s_branch .LBB47_2306
.LBB47_2302:
	s_mov_b64 s[0:1], -1
                                        ; implicit-def: $vgpr11
.LBB47_2303:
	s_andn2_b64 vcc, exec, s[0:1]
	s_cbranch_vccnz .LBB47_2305
; %bb.2304:
	global_load_dword v11, v[0:1], off
	s_movk_i32 s0, 0x7fff
	v_mov_b32_e32 v12, 0x7fc0
	s_waitcnt vmcnt(0)
	v_bfe_u32 v13, v11, 16, 1
	v_add3_u32 v13, v11, v13, s0
	v_lshrrev_b32_e32 v13, 16, v13
	v_cmp_o_f32_e32 vcc, v11, v11
	v_cndmask_b32_e32 v11, v12, v13, vcc
.LBB47_2305:
	s_mov_b64 s[0:1], 0
.LBB47_2306:
	s_andn2_b64 vcc, exec, s[0:1]
	s_cbranch_vccnz .LBB47_2308
; %bb.2307:
	global_load_ushort v11, v[0:1], off
	s_movk_i32 s0, 0x7fff
	v_mov_b32_e32 v13, 0x7fc0
	s_waitcnt vmcnt(0)
	v_cvt_f32_f16_e32 v12, v11
	v_cmp_o_f16_e32 vcc, v11, v11
	v_bfe_u32 v14, v12, 16, 1
	v_add3_u32 v12, v12, v14, s0
	v_lshrrev_b32_e32 v12, 16, v12
	v_cndmask_b32_e32 v11, v13, v12, vcc
.LBB47_2308:
	s_mov_b64 s[0:1], 0
.LBB47_2309:
	s_andn2_b64 vcc, exec, s[0:1]
	s_cbranch_vccnz .LBB47_2329
; %bb.2310:
	v_mov_b32_e32 v11, 2
	v_cmp_lt_i16_sdwa s[0:1], v4, v11 src0_sel:BYTE_0 src1_sel:DWORD
	s_and_b64 vcc, exec, s[0:1]
	s_cbranch_vccnz .LBB47_2314
; %bb.2311:
	v_mov_b32_e32 v11, 3
	v_cmp_lt_i16_sdwa s[0:1], v4, v11 src0_sel:BYTE_0 src1_sel:DWORD
	s_and_b64 vcc, exec, s[0:1]
	s_cbranch_vccnz .LBB47_2315
; %bb.2312:
	v_cmp_gt_i16_sdwa s[0:1], v4, v11 src0_sel:BYTE_0 src1_sel:DWORD
	s_and_b64 vcc, exec, s[0:1]
	s_cbranch_vccz .LBB47_2316
; %bb.2313:
	global_load_dwordx2 v[12:13], v[0:1], off
	s_movk_i32 s0, 0x7fff
	s_waitcnt vmcnt(0)
	v_xor_b32_e32 v14, v12, v13
	v_ffbh_i32_e32 v11, v13
	v_ashrrev_i32_e32 v14, 31, v14
	v_add_u32_e32 v11, -1, v11
	v_add_u32_e32 v14, 32, v14
	v_min_u32_e32 v11, v11, v14
	v_lshlrev_b64 v[12:13], v11, v[12:13]
	v_min_u32_e32 v12, 1, v12
	v_or_b32_e32 v12, v13, v12
	v_cvt_f32_i32_e32 v12, v12
	v_sub_u32_e32 v11, 32, v11
	v_ldexp_f32 v11, v12, v11
	v_bfe_u32 v12, v11, 16, 1
	v_add3_u32 v11, v11, v12, s0
	v_lshrrev_b32_e32 v11, 16, v11
	s_mov_b64 s[0:1], 0
	s_branch .LBB47_2317
.LBB47_2314:
	s_mov_b64 s[0:1], -1
                                        ; implicit-def: $vgpr11
	s_branch .LBB47_2323
.LBB47_2315:
	s_mov_b64 s[0:1], -1
                                        ; implicit-def: $vgpr11
	s_branch .LBB47_2320
.LBB47_2316:
	s_mov_b64 s[0:1], -1
                                        ; implicit-def: $vgpr11
.LBB47_2317:
	s_andn2_b64 vcc, exec, s[0:1]
	s_cbranch_vccnz .LBB47_2319
; %bb.2318:
	global_load_dword v11, v[0:1], off
	s_movk_i32 s0, 0x7fff
	s_waitcnt vmcnt(0)
	v_cvt_f32_i32_e32 v11, v11
	v_bfe_u32 v12, v11, 16, 1
	v_add3_u32 v11, v11, v12, s0
	v_lshrrev_b32_e32 v11, 16, v11
.LBB47_2319:
	s_mov_b64 s[0:1], 0
.LBB47_2320:
	s_andn2_b64 vcc, exec, s[0:1]
	s_cbranch_vccnz .LBB47_2322
; %bb.2321:
	global_load_sshort v11, v[0:1], off
	s_movk_i32 s0, 0x7fff
	s_waitcnt vmcnt(0)
	v_cvt_f32_i32_e32 v11, v11
	v_bfe_u32 v12, v11, 16, 1
	v_add3_u32 v11, v11, v12, s0
	v_lshrrev_b32_e32 v11, 16, v11
.LBB47_2322:
	s_mov_b64 s[0:1], 0
.LBB47_2323:
	s_andn2_b64 vcc, exec, s[0:1]
	s_cbranch_vccnz .LBB47_2329
; %bb.2324:
	v_mov_b32_e32 v11, 0
	v_cmp_gt_i16_sdwa s[0:1], v4, v11 src0_sel:BYTE_0 src1_sel:DWORD
	s_and_b64 vcc, exec, s[0:1]
	s_cbranch_vccz .LBB47_2326
; %bb.2325:
	global_load_sbyte v11, v[0:1], off
	s_movk_i32 s0, 0x7fff
	s_waitcnt vmcnt(0)
	v_cvt_f32_i32_e32 v11, v11
	v_bfe_u32 v12, v11, 16, 1
	v_add3_u32 v11, v11, v12, s0
	v_lshrrev_b32_e32 v11, 16, v11
	s_mov_b64 s[0:1], 0
	s_branch .LBB47_2327
.LBB47_2326:
	s_mov_b64 s[0:1], -1
                                        ; implicit-def: $vgpr11
.LBB47_2327:
	s_andn2_b64 vcc, exec, s[0:1]
	s_cbranch_vccnz .LBB47_2329
; %bb.2328:
	global_load_ubyte v0, v[0:1], off
	s_movk_i32 s0, 0x7fff
	s_waitcnt vmcnt(0)
	v_cvt_f32_ubyte0_e32 v0, v0
	v_bfe_u32 v1, v0, 16, 1
	v_add3_u32 v0, v0, v1, s0
	v_lshrrev_b32_e32 v11, 16, v0
.LBB47_2329:
	s_mov_b64 s[16:17], -1
.LBB47_2330:
	s_andn2_b64 vcc, exec, s[16:17]
	s_cbranch_vccnz .LBB47_2602
; %bb.2331:
	s_waitcnt vmcnt(0)
	v_lshlrev_b32_e32 v0, 16, v8
	v_cmp_nlt_f32_e32 vcc, 0, v0
	s_and_saveexec_b64 s[0:1], vcc
; %bb.2332:
	v_lshlrev_b32_e32 v1, 16, v11
	v_mul_f32_e32 v0, v0, v1
	v_bfe_u32 v1, v0, 16, 1
	s_movk_i32 s14, 0x7fff
	v_add3_u32 v1, v0, v1, s14
	v_lshrrev_b32_e32 v1, 16, v1
	v_mov_b32_e32 v8, 0x7fc0
	v_cmp_o_f32_e32 vcc, v0, v0
	v_cndmask_b32_e32 v8, v8, v1, vcc
; %bb.2333:
	s_or_b64 exec, exec, s[0:1]
	v_add_u32_e32 v0, s13, v9
	v_ashrrev_i32_e32 v1, 31, v0
	v_mov_b32_e32 v9, s11
	v_add_co_u32_e32 v0, vcc, s10, v0
	v_addc_co_u32_e32 v1, vcc, v9, v1, vcc
	v_mov_b32_e32 v9, 11
	v_cmp_lt_i16_sdwa s[0:1], v5, v9 src0_sel:BYTE_0 src1_sel:DWORD
	s_and_b64 vcc, exec, s[0:1]
	s_cbranch_vccnz .LBB47_2340
; %bb.2334:
	v_mov_b32_e32 v9, 25
	v_cmp_gt_i16_sdwa s[0:1], v5, v9 src0_sel:BYTE_0 src1_sel:DWORD
	s_mov_b64 s[10:11], 0
	s_and_b64 vcc, exec, s[0:1]
	s_cbranch_vccz .LBB47_2341
; %bb.2335:
	v_mov_b32_e32 v9, 28
	v_cmp_gt_i16_sdwa s[0:1], v5, v9 src0_sel:BYTE_0 src1_sel:DWORD
	s_and_b64 vcc, exec, s[0:1]
	s_cbranch_vccz .LBB47_2342
; %bb.2336:
	v_mov_b32_e32 v9, 43
	v_cmp_gt_i16_sdwa s[0:1], v5, v9 src0_sel:BYTE_0 src1_sel:DWORD
	;; [unrolled: 5-line block ×3, first 2 shown]
	s_and_b64 vcc, exec, s[0:1]
	s_cbranch_vccz .LBB47_2345
; %bb.2338:
	v_mov_b32_e32 v9, 46
	v_cmp_eq_u16_sdwa s[0:1], v5, v9 src0_sel:BYTE_0 src1_sel:DWORD
	s_mov_b64 s[16:17], 0
	s_and_b64 vcc, exec, s[0:1]
	s_cbranch_vccz .LBB47_2346
; %bb.2339:
	global_load_dword v9, v[0:1], off
	s_mov_b64 s[0:1], 0
	s_mov_b64 s[14:15], -1
	s_branch .LBB47_2347
.LBB47_2340:
	s_mov_b64 s[0:1], -1
	s_mov_b64 s[14:15], 0
                                        ; implicit-def: $vgpr9
	s_branch .LBB47_2413
.LBB47_2341:
	s_mov_b64 s[16:17], -1
	s_mov_b64 s[14:15], 0
	s_mov_b64 s[0:1], 0
                                        ; implicit-def: $vgpr9
	s_branch .LBB47_2376
.LBB47_2342:
	s_mov_b64 s[16:17], -1
	s_mov_b64 s[14:15], 0
	s_mov_b64 s[0:1], 0
                                        ; implicit-def: $vgpr9
	s_branch .LBB47_2357
.LBB47_2343:
	s_mov_b64 s[16:17], -1
	s_mov_b64 s[14:15], 0
	s_mov_b64 s[0:1], 0
                                        ; implicit-def: $vgpr9
	s_branch .LBB47_2352
.LBB47_2344:
	s_trap 2
	s_or_b64 s[18:19], s[18:19], exec
                                        ; implicit-def: $vgpr11
	s_cbranch_execz .LBB47_2279
	s_branch .LBB47_2280
.LBB47_2345:
	s_mov_b64 s[16:17], -1
	s_mov_b64 s[14:15], 0
	s_mov_b64 s[0:1], 0
                                        ; implicit-def: $vgpr9
	s_branch .LBB47_2347
.LBB47_2346:
	s_mov_b64 s[0:1], -1
                                        ; implicit-def: $vgpr9
	s_mov_b64 s[14:15], 0
.LBB47_2347:
	s_and_b64 vcc, exec, s[16:17]
	s_cbranch_vccz .LBB47_2351
; %bb.2348:
	s_waitcnt vmcnt(0)
	v_mov_b32_e32 v9, 44
	v_cmp_eq_u16_sdwa s[0:1], v5, v9 src0_sel:BYTE_0 src1_sel:DWORD
	s_and_b64 vcc, exec, s[0:1]
	s_cbranch_vccz .LBB47_2350
; %bb.2349:
	global_load_ubyte v9, v[0:1], off
	s_movk_i32 s13, 0xff
	v_mov_b32_e32 v11, 0x7f800001
	v_mov_b32_e32 v12, 0x400000
	;; [unrolled: 1-line block ×3, first 2 shown]
	s_mov_b64 s[0:1], 0
	s_mov_b64 s[14:15], -1
	s_waitcnt vmcnt(0)
	v_lshlrev_b32_e32 v14, 23, v9
	v_cmp_ne_u32_e32 vcc, s13, v9
	v_cndmask_b32_e32 v11, v11, v14, vcc
	v_cmp_ne_u32_e32 vcc, 0, v9
	v_cndmask_b32_e32 v9, v12, v11, vcc
	v_add_u32_e32 v11, 0x7fff, v9
	v_lshrrev_b32_e32 v11, 16, v11
	v_cmp_o_f32_e32 vcc, v9, v9
	v_cndmask_b32_e32 v9, v13, v11, vcc
	s_branch .LBB47_2351
.LBB47_2350:
	s_mov_b64 s[0:1], -1
                                        ; implicit-def: $vgpr9
.LBB47_2351:
	s_mov_b64 s[16:17], 0
.LBB47_2352:
	s_and_b64 vcc, exec, s[16:17]
	s_cbranch_vccz .LBB47_2356
; %bb.2353:
	s_waitcnt vmcnt(0)
	v_mov_b32_e32 v9, 29
	v_cmp_eq_u16_sdwa s[0:1], v5, v9 src0_sel:BYTE_0 src1_sel:DWORD
	s_and_b64 vcc, exec, s[0:1]
	s_cbranch_vccz .LBB47_2355
; %bb.2354:
	global_load_dwordx2 v[12:13], v[0:1], off
	s_movk_i32 s13, 0x7fff
	s_mov_b64 s[0:1], 0
	s_mov_b64 s[14:15], -1
	s_mov_b64 s[16:17], 0
	s_waitcnt vmcnt(0)
	v_ffbh_u32_e32 v9, v13
	v_min_u32_e32 v9, 32, v9
	v_lshlrev_b64 v[12:13], v9, v[12:13]
	v_min_u32_e32 v11, 1, v12
	v_or_b32_e32 v11, v13, v11
	v_cvt_f32_u32_e32 v11, v11
	v_sub_u32_e32 v9, 32, v9
	v_ldexp_f32 v9, v11, v9
	v_bfe_u32 v11, v9, 16, 1
	v_add3_u32 v9, v9, v11, s13
	v_lshrrev_b32_e32 v9, 16, v9
	s_branch .LBB47_2357
.LBB47_2355:
	s_mov_b64 s[0:1], -1
                                        ; implicit-def: $vgpr9
.LBB47_2356:
	s_mov_b64 s[16:17], 0
.LBB47_2357:
	s_and_b64 vcc, exec, s[16:17]
	s_cbranch_vccz .LBB47_2375
; %bb.2358:
	s_waitcnt vmcnt(0)
	v_mov_b32_e32 v9, 27
	v_cmp_lt_i16_sdwa s[14:15], v5, v9 src0_sel:BYTE_0 src1_sel:DWORD
	s_and_b64 vcc, exec, s[14:15]
	s_cbranch_vccnz .LBB47_2361
; %bb.2359:
	v_cmp_gt_i16_sdwa s[14:15], v5, v9 src0_sel:BYTE_0 src1_sel:DWORD
	s_and_b64 vcc, exec, s[14:15]
	s_cbranch_vccz .LBB47_2362
; %bb.2360:
	global_load_dword v9, v[0:1], off
	s_movk_i32 s13, 0x7fff
	s_mov_b64 s[14:15], 0
	s_waitcnt vmcnt(0)
	v_cvt_f32_u32_e32 v9, v9
	v_bfe_u32 v11, v9, 16, 1
	v_add3_u32 v9, v9, v11, s13
	v_lshrrev_b32_e32 v9, 16, v9
	s_branch .LBB47_2363
.LBB47_2361:
	s_mov_b64 s[14:15], -1
                                        ; implicit-def: $vgpr9
	s_branch .LBB47_2366
.LBB47_2362:
	s_mov_b64 s[14:15], -1
                                        ; implicit-def: $vgpr9
.LBB47_2363:
	s_andn2_b64 vcc, exec, s[14:15]
	s_cbranch_vccnz .LBB47_2365
; %bb.2364:
	global_load_ushort v9, v[0:1], off
	s_movk_i32 s13, 0x7fff
	s_waitcnt vmcnt(0)
	v_cvt_f32_u32_e32 v9, v9
	v_bfe_u32 v11, v9, 16, 1
	v_add3_u32 v9, v9, v11, s13
	v_lshrrev_b32_e32 v9, 16, v9
.LBB47_2365:
	s_mov_b64 s[14:15], 0
.LBB47_2366:
	s_andn2_b64 vcc, exec, s[14:15]
	s_cbranch_vccnz .LBB47_2374
; %bb.2367:
	global_load_ubyte v9, v[0:1], off
	s_movk_i32 s13, 0x7f
	s_mov_b64 s[14:15], 0
	s_waitcnt vmcnt(0)
	v_cmp_lt_i16_e32 vcc, s13, v9
                                        ; implicit-def: $sgpr13
	s_and_saveexec_b64 s[16:17], vcc
	s_xor_b64 s[16:17], exec, s[16:17]
	s_cbranch_execz .LBB47_2388
; %bb.2368:
	s_movk_i32 s13, 0x80
	v_cmp_eq_u16_e32 vcc, s13, v9
	s_mov_b64 s[14:15], -1
                                        ; implicit-def: $sgpr13
	s_and_saveexec_b64 s[20:21], vcc
; %bb.2369:
	s_mov_b32 s13, 0x7f800001
	s_xor_b64 s[14:15], exec, -1
; %bb.2370:
	s_or_b64 exec, exec, s[20:21]
	s_and_b64 s[14:15], s[14:15], exec
	s_or_saveexec_b64 s[16:17], s[16:17]
	v_mov_b32_e32 v11, s13
	s_xor_b64 exec, exec, s[16:17]
	s_cbranch_execnz .LBB47_2389
.LBB47_2371:
	s_or_b64 exec, exec, s[16:17]
	s_and_saveexec_b64 s[16:17], s[14:15]
	s_cbranch_execz .LBB47_2373
.LBB47_2372:
	v_lshlrev_b32_e32 v11, 24, v9
	v_and_b32_e32 v9, 0xffff, v9
	v_and_b32_e32 v12, 7, v9
	v_ffbh_u32_e32 v14, v12
	v_min_u32_e32 v14, 32, v14
	v_subrev_u32_e32 v15, 28, v14
	v_bfe_u32 v13, v9, 3, 4
	v_lshlrev_b32_e32 v9, v15, v9
	v_sub_u32_e32 v14, 29, v14
	v_and_b32_e32 v9, 7, v9
	v_cmp_eq_u32_e32 vcc, 0, v13
	v_cndmask_b32_e32 v13, v13, v14, vcc
	v_cndmask_b32_e32 v9, v12, v9, vcc
	v_mov_b32_e32 v12, 0x3b800000
	v_lshlrev_b32_e32 v9, 20, v9
	v_and_b32_e32 v11, 0x80000000, v11
	v_lshl_add_u32 v12, v13, 23, v12
	v_or3_b32 v11, v11, v12, v9
.LBB47_2373:
	s_or_b64 exec, exec, s[16:17]
	v_bfe_u32 v9, v11, 16, 1
	s_movk_i32 s13, 0x7fff
	v_add3_u32 v9, v11, v9, s13
	v_lshrrev_b32_e32 v9, 16, v9
	v_mov_b32_e32 v12, 0x7fc0
	v_cmp_o_f32_e32 vcc, v11, v11
	v_cndmask_b32_e32 v9, v12, v9, vcc
.LBB47_2374:
	s_mov_b64 s[14:15], -1
.LBB47_2375:
	s_mov_b64 s[16:17], 0
.LBB47_2376:
	s_and_b64 vcc, exec, s[16:17]
	s_cbranch_vccz .LBB47_2409
; %bb.2377:
	s_waitcnt vmcnt(0)
	v_mov_b32_e32 v9, 22
	v_cmp_gt_i16_sdwa s[10:11], v5, v9 src0_sel:BYTE_0 src1_sel:DWORD
	s_and_b64 vcc, exec, s[10:11]
	s_cbranch_vccz .LBB47_2387
; %bb.2378:
	v_mov_b32_e32 v9, 24
	v_cmp_lt_i16_sdwa s[10:11], v5, v9 src0_sel:BYTE_0 src1_sel:DWORD
	s_and_b64 vcc, exec, s[10:11]
	s_cbranch_vccnz .LBB47_2390
; %bb.2379:
	v_cmp_gt_i16_sdwa s[10:11], v5, v9 src0_sel:BYTE_0 src1_sel:DWORD
	s_and_b64 vcc, exec, s[10:11]
	s_cbranch_vccz .LBB47_2391
; %bb.2380:
	global_load_ubyte v9, v[0:1], off
	s_movk_i32 s10, 0x7f
                                        ; implicit-def: $sgpr13
	s_waitcnt vmcnt(0)
	v_cmp_lt_i16_e32 vcc, s10, v9
	s_mov_b64 s[10:11], 0
	s_and_saveexec_b64 s[14:15], vcc
	s_xor_b64 s[14:15], exec, s[14:15]
	s_cbranch_execz .LBB47_2403
; %bb.2381:
	s_movk_i32 s10, 0x80
	v_cmp_eq_u16_e32 vcc, s10, v9
	s_mov_b64 s[10:11], -1
                                        ; implicit-def: $sgpr13
	s_and_saveexec_b64 s[16:17], vcc
; %bb.2382:
	s_mov_b32 s13, 0x7f800001
	s_xor_b64 s[10:11], exec, -1
; %bb.2383:
	s_or_b64 exec, exec, s[16:17]
	s_and_b64 s[10:11], s[10:11], exec
	s_or_saveexec_b64 s[14:15], s[14:15]
	v_mov_b32_e32 v11, s13
	s_xor_b64 exec, exec, s[14:15]
	s_cbranch_execnz .LBB47_2404
.LBB47_2384:
	s_or_b64 exec, exec, s[14:15]
	s_and_saveexec_b64 s[14:15], s[10:11]
	s_cbranch_execz .LBB47_2386
.LBB47_2385:
	v_lshlrev_b32_e32 v11, 24, v9
	v_and_b32_e32 v9, 0xffff, v9
	v_and_b32_e32 v12, 3, v9
	v_ffbh_u32_e32 v14, v12
	v_min_u32_e32 v14, 32, v14
	v_subrev_u32_e32 v15, 29, v14
	v_bfe_u32 v13, v9, 2, 5
	v_lshlrev_b32_e32 v9, v15, v9
	v_sub_u32_e32 v14, 30, v14
	v_and_b32_e32 v9, 3, v9
	v_cmp_eq_u32_e32 vcc, 0, v13
	v_cndmask_b32_e32 v13, v13, v14, vcc
	v_cndmask_b32_e32 v9, v12, v9, vcc
	v_mov_b32_e32 v12, 0x37800000
	v_lshlrev_b32_e32 v9, 21, v9
	v_and_b32_e32 v11, 0x80000000, v11
	v_lshl_add_u32 v12, v13, 23, v12
	v_or3_b32 v11, v11, v12, v9
.LBB47_2386:
	s_or_b64 exec, exec, s[14:15]
	v_bfe_u32 v9, v11, 16, 1
	s_movk_i32 s10, 0x7fff
	v_add3_u32 v9, v11, v9, s10
	v_lshrrev_b32_e32 v9, 16, v9
	v_mov_b32_e32 v12, 0x7fc0
	v_cmp_o_f32_e32 vcc, v11, v11
	v_cndmask_b32_e32 v9, v12, v9, vcc
	s_mov_b64 s[10:11], 0
	s_branch .LBB47_2392
.LBB47_2387:
	s_mov_b64 s[10:11], -1
                                        ; implicit-def: $vgpr9
	s_branch .LBB47_2398
.LBB47_2388:
	s_or_saveexec_b64 s[16:17], s[16:17]
	v_mov_b32_e32 v11, s13
	s_xor_b64 exec, exec, s[16:17]
	s_cbranch_execz .LBB47_2371
.LBB47_2389:
	v_cmp_ne_u16_e32 vcc, 0, v9
	s_andn2_b64 s[14:15], s[14:15], exec
	s_and_b64 s[20:21], vcc, exec
	v_mov_b32_e32 v11, 0
	s_or_b64 s[14:15], s[14:15], s[20:21]
	s_or_b64 exec, exec, s[16:17]
	s_and_saveexec_b64 s[16:17], s[14:15]
	s_cbranch_execnz .LBB47_2372
	s_branch .LBB47_2373
.LBB47_2390:
	s_mov_b64 s[10:11], -1
                                        ; implicit-def: $vgpr9
	s_branch .LBB47_2395
.LBB47_2391:
	s_mov_b64 s[10:11], -1
                                        ; implicit-def: $vgpr9
.LBB47_2392:
	s_and_b64 vcc, exec, s[10:11]
	s_cbranch_vccz .LBB47_2394
; %bb.2393:
	global_load_ubyte v9, v[0:1], off
	s_mov_b32 s10, 0x7f800000
	s_brev_b32 s11, 1
	s_movk_i32 s13, 0x7fff
	v_mov_b32_e32 v11, 0x7fc0
	s_waitcnt vmcnt(0)
	v_lshlrev_b32_e32 v9, 24, v9
	v_and_b32_e32 v12, 0x7f000000, v9
	v_ffbh_u32_e32 v13, v12
	v_min_u32_e32 v13, 32, v13
	v_sub_u32_e64 v13, v13, 4 clamp
	v_lshlrev_b32_e32 v15, v13, v12
	v_lshlrev_b32_e32 v13, 23, v13
	v_lshrrev_b32_e32 v15, 4, v15
	v_add_u32_e32 v14, 0x1000000, v12
	v_sub_u32_e32 v13, v15, v13
	v_ashrrev_i32_e32 v14, 8, v14
	v_add_u32_e32 v13, 0x3c000000, v13
	v_and_or_b32 v13, v14, s10, v13
	v_cmp_ne_u32_e32 vcc, 0, v12
	v_cndmask_b32_e32 v12, 0, v13, vcc
	v_and_or_b32 v9, v9, s11, v12
	v_bfe_u32 v12, v12, 16, 1
	v_add3_u32 v12, v9, v12, s13
	v_lshrrev_b32_e32 v12, 16, v12
	v_cmp_o_f32_e32 vcc, v9, v9
	v_cndmask_b32_e32 v9, v11, v12, vcc
.LBB47_2394:
	s_mov_b64 s[10:11], 0
.LBB47_2395:
	s_andn2_b64 vcc, exec, s[10:11]
	s_cbranch_vccnz .LBB47_2397
; %bb.2396:
	global_load_ubyte v9, v[0:1], off
	s_movk_i32 s10, 0x7f00
	s_brev_b32 s11, 16
	s_brev_b32 s13, 1
	s_movk_i32 s14, 0x7fff
	v_mov_b32_e32 v11, 0x7fc0
	s_waitcnt vmcnt(0)
	v_lshlrev_b16_e32 v12, 8, v9
	v_lshlrev_b32_e32 v9, 25, v9
	v_lshrrev_b32_e32 v13, 4, v9
	v_and_or_b32 v14, v12, s10, 0.5
	v_or_b32_e32 v13, 0x70000000, v13
	v_add_f32_e32 v14, -0.5, v14
	v_mul_f32_e32 v13, 0x7800000, v13
	v_cmp_gt_u32_e32 vcc, s11, v9
	v_bfe_i32 v12, v12, 0, 16
	v_cndmask_b32_e32 v9, v13, v14, vcc
	v_and_or_b32 v12, v12, s13, v9
	v_bfe_u32 v9, v9, 16, 1
	v_add3_u32 v9, v12, v9, s14
	v_lshrrev_b32_e32 v9, 16, v9
	v_cmp_o_f32_e32 vcc, v12, v12
	v_cndmask_b32_e32 v9, v11, v9, vcc
.LBB47_2397:
	s_mov_b64 s[10:11], 0
	s_mov_b64 s[14:15], -1
.LBB47_2398:
	s_andn2_b64 vcc, exec, s[10:11]
	s_mov_b64 s[10:11], 0
	s_cbranch_vccnz .LBB47_2409
; %bb.2399:
	v_mov_b32_e32 v9, 14
	v_cmp_gt_i16_sdwa s[10:11], v5, v9 src0_sel:BYTE_0 src1_sel:DWORD
	s_and_b64 vcc, exec, s[10:11]
	s_cbranch_vccz .LBB47_2402
; %bb.2400:
	v_mov_b32_e32 v9, 15
	v_cmp_eq_u16_sdwa s[0:1], v5, v9 src0_sel:BYTE_0 src1_sel:DWORD
	s_and_b64 vcc, exec, s[0:1]
	s_cbranch_vccz .LBB47_2405
; %bb.2401:
	global_load_ushort v9, v[0:1], off
	s_mov_b64 s[0:1], 0
	s_mov_b64 s[14:15], -1
	s_branch .LBB47_2406
.LBB47_2402:
	s_mov_b64 s[16:17], -1
                                        ; implicit-def: $vgpr9
	s_branch .LBB47_2407
.LBB47_2403:
	s_or_saveexec_b64 s[14:15], s[14:15]
	v_mov_b32_e32 v11, s13
	s_xor_b64 exec, exec, s[14:15]
	s_cbranch_execz .LBB47_2384
.LBB47_2404:
	v_cmp_ne_u16_e32 vcc, 0, v9
	s_andn2_b64 s[10:11], s[10:11], exec
	s_and_b64 s[16:17], vcc, exec
	v_mov_b32_e32 v11, 0
	s_or_b64 s[10:11], s[10:11], s[16:17]
	s_or_b64 exec, exec, s[14:15]
	s_and_saveexec_b64 s[14:15], s[10:11]
	s_cbranch_execnz .LBB47_2385
	s_branch .LBB47_2386
.LBB47_2405:
	s_mov_b64 s[0:1], -1
                                        ; implicit-def: $vgpr9
.LBB47_2406:
	s_mov_b64 s[16:17], 0
.LBB47_2407:
	s_mov_b64 s[10:11], 0
	s_and_b64 vcc, exec, s[16:17]
	s_cbranch_vccz .LBB47_2409
; %bb.2408:
	s_waitcnt vmcnt(0)
	v_mov_b32_e32 v9, 11
	v_cmp_ne_u16_sdwa s[0:1], v5, v9 src0_sel:BYTE_0 src1_sel:DWORD
	s_mov_b64 s[10:11], -1
                                        ; implicit-def: $vgpr9
.LBB47_2409:
	s_and_b64 vcc, exec, s[0:1]
	s_cbranch_vccnz .LBB47_2474
; %bb.2410:
	s_andn2_b64 vcc, exec, s[10:11]
	s_cbranch_vccnz .LBB47_2412
.LBB47_2411:
	global_load_ubyte v9, v[0:1], off
	s_mov_b64 s[14:15], -1
	s_waitcnt vmcnt(0)
	v_cmp_ne_u16_e32 vcc, 0, v9
	v_cndmask_b32_e64 v9, 0, 1.0, vcc
	v_lshrrev_b32_e32 v9, 16, v9
.LBB47_2412:
	s_mov_b64 s[0:1], 0
.LBB47_2413:
	s_and_b64 vcc, exec, s[0:1]
	s_cbranch_vccz .LBB47_2462
; %bb.2414:
	s_waitcnt vmcnt(0)
	v_mov_b32_e32 v9, 5
	v_cmp_lt_i16_sdwa s[0:1], v5, v9 src0_sel:BYTE_0 src1_sel:DWORD
	s_and_b64 vcc, exec, s[0:1]
	s_cbranch_vccnz .LBB47_2419
; %bb.2415:
	v_mov_b32_e32 v9, 8
	v_cmp_lt_i16_sdwa s[0:1], v5, v9 src0_sel:BYTE_0 src1_sel:DWORD
	s_and_b64 vcc, exec, s[0:1]
	s_cbranch_vccnz .LBB47_2420
; %bb.2416:
	;; [unrolled: 5-line block ×3, first 2 shown]
	v_cmp_gt_i16_sdwa s[0:1], v5, v9 src0_sel:BYTE_0 src1_sel:DWORD
	s_and_b64 vcc, exec, s[0:1]
	s_cbranch_vccz .LBB47_2422
; %bb.2418:
	global_load_dwordx2 v[12:13], v[0:1], off
	s_movk_i32 s0, 0x7fff
	v_mov_b32_e32 v9, 0x7fc0
	s_waitcnt vmcnt(0)
	v_cvt_f32_f64_e32 v11, v[12:13]
	v_bfe_u32 v12, v11, 16, 1
	v_add3_u32 v12, v11, v12, s0
	v_lshrrev_b32_e32 v12, 16, v12
	v_cmp_o_f32_e32 vcc, v11, v11
	v_cndmask_b32_e32 v9, v9, v12, vcc
	s_mov_b64 s[0:1], 0
	s_branch .LBB47_2423
.LBB47_2419:
	s_mov_b64 s[0:1], -1
                                        ; implicit-def: $vgpr9
	s_branch .LBB47_2441
.LBB47_2420:
	s_mov_b64 s[0:1], -1
                                        ; implicit-def: $vgpr9
	s_branch .LBB47_2429
.LBB47_2421:
	s_mov_b64 s[0:1], -1
                                        ; implicit-def: $vgpr9
	s_branch .LBB47_2426
.LBB47_2422:
	s_mov_b64 s[0:1], -1
                                        ; implicit-def: $vgpr9
.LBB47_2423:
	s_andn2_b64 vcc, exec, s[0:1]
	s_cbranch_vccnz .LBB47_2425
; %bb.2424:
	global_load_dword v9, v[0:1], off
	s_movk_i32 s0, 0x7fff
	v_mov_b32_e32 v11, 0x7fc0
	s_waitcnt vmcnt(0)
	v_bfe_u32 v12, v9, 16, 1
	v_add3_u32 v12, v9, v12, s0
	v_lshrrev_b32_e32 v12, 16, v12
	v_cmp_o_f32_e32 vcc, v9, v9
	v_cndmask_b32_e32 v9, v11, v12, vcc
.LBB47_2425:
	s_mov_b64 s[0:1], 0
.LBB47_2426:
	s_andn2_b64 vcc, exec, s[0:1]
	s_cbranch_vccnz .LBB47_2428
; %bb.2427:
	global_load_dword v9, v[0:1], off
	s_movk_i32 s0, 0x7fff
	v_mov_b32_e32 v12, 0x7fc0
	s_waitcnt vmcnt(0)
	v_cvt_f32_f16_e32 v11, v9
	v_cmp_o_f16_e32 vcc, v9, v9
	v_bfe_u32 v13, v11, 16, 1
	v_add3_u32 v11, v11, v13, s0
	v_lshrrev_b32_e32 v11, 16, v11
	v_cndmask_b32_e32 v9, v12, v11, vcc
.LBB47_2428:
	s_mov_b64 s[0:1], 0
.LBB47_2429:
	s_andn2_b64 vcc, exec, s[0:1]
	s_cbranch_vccnz .LBB47_2440
; %bb.2430:
	v_mov_b32_e32 v9, 6
	v_cmp_lt_i16_sdwa s[0:1], v5, v9 src0_sel:BYTE_0 src1_sel:DWORD
	s_and_b64 vcc, exec, s[0:1]
	s_cbranch_vccnz .LBB47_2433
; %bb.2431:
	v_cmp_gt_i16_sdwa s[0:1], v5, v9 src0_sel:BYTE_0 src1_sel:DWORD
	s_and_b64 vcc, exec, s[0:1]
	s_cbranch_vccz .LBB47_2434
; %bb.2432:
	global_load_dwordx2 v[12:13], v[0:1], off
	s_movk_i32 s0, 0x7fff
	v_mov_b32_e32 v9, 0x7fc0
	s_waitcnt vmcnt(0)
	v_cvt_f32_f64_e32 v11, v[12:13]
	v_bfe_u32 v12, v11, 16, 1
	v_add3_u32 v12, v11, v12, s0
	v_lshrrev_b32_e32 v12, 16, v12
	v_cmp_o_f32_e32 vcc, v11, v11
	v_cndmask_b32_e32 v9, v9, v12, vcc
	s_mov_b64 s[0:1], 0
	s_branch .LBB47_2435
.LBB47_2433:
	s_mov_b64 s[0:1], -1
                                        ; implicit-def: $vgpr9
	s_branch .LBB47_2438
.LBB47_2434:
	s_mov_b64 s[0:1], -1
                                        ; implicit-def: $vgpr9
.LBB47_2435:
	s_andn2_b64 vcc, exec, s[0:1]
	s_cbranch_vccnz .LBB47_2437
; %bb.2436:
	global_load_dword v9, v[0:1], off
	s_movk_i32 s0, 0x7fff
	v_mov_b32_e32 v11, 0x7fc0
	s_waitcnt vmcnt(0)
	v_bfe_u32 v12, v9, 16, 1
	v_add3_u32 v12, v9, v12, s0
	v_lshrrev_b32_e32 v12, 16, v12
	v_cmp_o_f32_e32 vcc, v9, v9
	v_cndmask_b32_e32 v9, v11, v12, vcc
.LBB47_2437:
	s_mov_b64 s[0:1], 0
.LBB47_2438:
	s_andn2_b64 vcc, exec, s[0:1]
	s_cbranch_vccnz .LBB47_2440
; %bb.2439:
	global_load_ushort v9, v[0:1], off
	s_movk_i32 s0, 0x7fff
	v_mov_b32_e32 v12, 0x7fc0
	s_waitcnt vmcnt(0)
	v_cvt_f32_f16_e32 v11, v9
	v_cmp_o_f16_e32 vcc, v9, v9
	v_bfe_u32 v13, v11, 16, 1
	v_add3_u32 v11, v11, v13, s0
	v_lshrrev_b32_e32 v11, 16, v11
	v_cndmask_b32_e32 v9, v12, v11, vcc
.LBB47_2440:
	s_mov_b64 s[0:1], 0
.LBB47_2441:
	s_andn2_b64 vcc, exec, s[0:1]
	s_cbranch_vccnz .LBB47_2461
; %bb.2442:
	v_mov_b32_e32 v9, 2
	v_cmp_lt_i16_sdwa s[0:1], v5, v9 src0_sel:BYTE_0 src1_sel:DWORD
	s_and_b64 vcc, exec, s[0:1]
	s_cbranch_vccnz .LBB47_2446
; %bb.2443:
	v_mov_b32_e32 v9, 3
	v_cmp_lt_i16_sdwa s[0:1], v5, v9 src0_sel:BYTE_0 src1_sel:DWORD
	s_and_b64 vcc, exec, s[0:1]
	s_cbranch_vccnz .LBB47_2447
; %bb.2444:
	v_cmp_gt_i16_sdwa s[0:1], v5, v9 src0_sel:BYTE_0 src1_sel:DWORD
	s_and_b64 vcc, exec, s[0:1]
	s_cbranch_vccz .LBB47_2448
; %bb.2445:
	global_load_dwordx2 v[12:13], v[0:1], off
	s_movk_i32 s0, 0x7fff
	s_waitcnt vmcnt(0)
	v_xor_b32_e32 v11, v12, v13
	v_ffbh_i32_e32 v9, v13
	v_ashrrev_i32_e32 v11, 31, v11
	v_add_u32_e32 v9, -1, v9
	v_add_u32_e32 v11, 32, v11
	v_min_u32_e32 v9, v9, v11
	v_lshlrev_b64 v[12:13], v9, v[12:13]
	v_min_u32_e32 v11, 1, v12
	v_or_b32_e32 v11, v13, v11
	v_cvt_f32_i32_e32 v11, v11
	v_sub_u32_e32 v9, 32, v9
	v_ldexp_f32 v9, v11, v9
	v_bfe_u32 v11, v9, 16, 1
	v_add3_u32 v9, v9, v11, s0
	v_lshrrev_b32_e32 v9, 16, v9
	s_mov_b64 s[0:1], 0
	s_branch .LBB47_2449
.LBB47_2446:
	s_mov_b64 s[0:1], -1
                                        ; implicit-def: $vgpr9
	s_branch .LBB47_2455
.LBB47_2447:
	s_mov_b64 s[0:1], -1
                                        ; implicit-def: $vgpr9
	s_branch .LBB47_2452
.LBB47_2448:
	s_mov_b64 s[0:1], -1
                                        ; implicit-def: $vgpr9
.LBB47_2449:
	s_andn2_b64 vcc, exec, s[0:1]
	s_cbranch_vccnz .LBB47_2451
; %bb.2450:
	global_load_dword v9, v[0:1], off
	s_movk_i32 s0, 0x7fff
	s_waitcnt vmcnt(0)
	v_cvt_f32_i32_e32 v9, v9
	v_bfe_u32 v11, v9, 16, 1
	v_add3_u32 v9, v9, v11, s0
	v_lshrrev_b32_e32 v9, 16, v9
.LBB47_2451:
	s_mov_b64 s[0:1], 0
.LBB47_2452:
	s_andn2_b64 vcc, exec, s[0:1]
	s_cbranch_vccnz .LBB47_2454
; %bb.2453:
	global_load_sshort v9, v[0:1], off
	s_movk_i32 s0, 0x7fff
	s_waitcnt vmcnt(0)
	v_cvt_f32_i32_e32 v9, v9
	v_bfe_u32 v11, v9, 16, 1
	v_add3_u32 v9, v9, v11, s0
	v_lshrrev_b32_e32 v9, 16, v9
.LBB47_2454:
	s_mov_b64 s[0:1], 0
.LBB47_2455:
	s_andn2_b64 vcc, exec, s[0:1]
	s_cbranch_vccnz .LBB47_2461
; %bb.2456:
	v_mov_b32_e32 v9, 0
	v_cmp_gt_i16_sdwa s[0:1], v5, v9 src0_sel:BYTE_0 src1_sel:DWORD
	s_and_b64 vcc, exec, s[0:1]
	s_cbranch_vccz .LBB47_2458
; %bb.2457:
	global_load_sbyte v5, v[0:1], off
	s_movk_i32 s0, 0x7fff
	s_waitcnt vmcnt(0)
	v_cvt_f32_i32_e32 v5, v5
	v_bfe_u32 v9, v5, 16, 1
	v_add3_u32 v5, v5, v9, s0
	v_lshrrev_b32_e32 v9, 16, v5
	s_mov_b64 s[0:1], 0
	s_branch .LBB47_2459
.LBB47_2458:
	s_mov_b64 s[0:1], -1
                                        ; implicit-def: $vgpr9
.LBB47_2459:
	s_andn2_b64 vcc, exec, s[0:1]
	s_cbranch_vccnz .LBB47_2461
; %bb.2460:
	global_load_ubyte v0, v[0:1], off
	s_movk_i32 s0, 0x7fff
	s_waitcnt vmcnt(0)
	v_cvt_f32_ubyte0_e32 v0, v0
	v_bfe_u32 v1, v0, 16, 1
	v_add3_u32 v0, v0, v1, s0
	v_lshrrev_b32_e32 v9, 16, v0
.LBB47_2461:
	s_mov_b64 s[14:15], -1
.LBB47_2462:
	s_andn2_b64 vcc, exec, s[14:15]
	s_cbranch_vccnz .LBB47_2602
; %bb.2463:
	v_add_u32_e32 v0, s24, v10
	v_ashrrev_i32_e32 v1, 31, v0
	v_mov_b32_e32 v5, s3
	v_add_co_u32_e32 v0, vcc, s2, v0
	v_addc_co_u32_e32 v1, vcc, v5, v1, vcc
	v_mov_b32_e32 v5, 11
	v_cmp_lt_i16_sdwa s[0:1], v4, v5 src0_sel:BYTE_0 src1_sel:DWORD
	s_and_b64 vcc, exec, s[0:1]
	s_cbranch_vccnz .LBB47_2470
; %bb.2464:
	v_mov_b32_e32 v5, 25
	v_cmp_gt_i16_sdwa s[0:1], v4, v5 src0_sel:BYTE_0 src1_sel:DWORD
	s_mov_b64 s[2:3], 0
	s_and_b64 vcc, exec, s[0:1]
	s_cbranch_vccz .LBB47_2471
; %bb.2465:
	v_mov_b32_e32 v5, 28
	v_cmp_gt_i16_sdwa s[0:1], v4, v5 src0_sel:BYTE_0 src1_sel:DWORD
	s_and_b64 vcc, exec, s[0:1]
	s_cbranch_vccz .LBB47_2472
; %bb.2466:
	v_mov_b32_e32 v5, 43
	v_cmp_gt_i16_sdwa s[0:1], v4, v5 src0_sel:BYTE_0 src1_sel:DWORD
	;; [unrolled: 5-line block ×3, first 2 shown]
	s_and_b64 vcc, exec, s[0:1]
	s_cbranch_vccz .LBB47_2475
; %bb.2468:
	v_mov_b32_e32 v5, 46
	v_cmp_eq_u16_sdwa s[0:1], v4, v5 src0_sel:BYTE_0 src1_sel:DWORD
	s_mov_b64 s[14:15], 0
	s_and_b64 vcc, exec, s[0:1]
	s_cbranch_vccz .LBB47_2476
; %bb.2469:
	global_load_dword v5, v[0:1], off
	s_mov_b64 s[0:1], 0
	s_mov_b64 s[10:11], -1
	s_branch .LBB47_2477
.LBB47_2470:
	s_mov_b64 s[0:1], -1
	s_mov_b64 s[10:11], 0
                                        ; implicit-def: $vgpr5
	s_branch .LBB47_2543
.LBB47_2471:
	s_mov_b64 s[14:15], -1
	s_mov_b64 s[10:11], 0
	s_mov_b64 s[0:1], 0
                                        ; implicit-def: $vgpr5
	s_branch .LBB47_2506
.LBB47_2472:
	s_mov_b64 s[14:15], -1
	s_mov_b64 s[10:11], 0
	s_mov_b64 s[0:1], 0
                                        ; implicit-def: $vgpr5
	s_branch .LBB47_2487
.LBB47_2473:
	s_mov_b64 s[14:15], -1
	s_mov_b64 s[10:11], 0
	s_mov_b64 s[0:1], 0
                                        ; implicit-def: $vgpr5
	s_branch .LBB47_2482
.LBB47_2474:
	s_trap 2
	s_or_b64 s[18:19], s[18:19], exec
                                        ; implicit-def: $vgpr9
	s_cbranch_execz .LBB47_2411
	s_branch .LBB47_2412
.LBB47_2475:
	s_mov_b64 s[14:15], -1
	s_mov_b64 s[10:11], 0
	s_mov_b64 s[0:1], 0
                                        ; implicit-def: $vgpr5
	s_branch .LBB47_2477
.LBB47_2476:
	s_mov_b64 s[0:1], -1
                                        ; implicit-def: $vgpr5
	s_mov_b64 s[10:11], 0
.LBB47_2477:
	s_and_b64 vcc, exec, s[14:15]
	s_cbranch_vccz .LBB47_2481
; %bb.2478:
	s_waitcnt vmcnt(0)
	v_mov_b32_e32 v5, 44
	v_cmp_eq_u16_sdwa s[0:1], v4, v5 src0_sel:BYTE_0 src1_sel:DWORD
	s_and_b64 vcc, exec, s[0:1]
	s_cbranch_vccz .LBB47_2480
; %bb.2479:
	global_load_ubyte v5, v[0:1], off
	s_movk_i32 s10, 0xff
	v_mov_b32_e32 v10, 0x7f800001
	v_mov_b32_e32 v11, 0x400000
	;; [unrolled: 1-line block ×3, first 2 shown]
	s_mov_b64 s[0:1], 0
	s_waitcnt vmcnt(0)
	v_lshlrev_b32_e32 v13, 23, v5
	v_cmp_ne_u32_e32 vcc, s10, v5
	v_cndmask_b32_e32 v10, v10, v13, vcc
	v_cmp_ne_u32_e32 vcc, 0, v5
	v_cndmask_b32_e32 v5, v11, v10, vcc
	v_add_u32_e32 v10, 0x7fff, v5
	v_lshrrev_b32_e32 v10, 16, v10
	v_cmp_o_f32_e32 vcc, v5, v5
	v_cndmask_b32_e32 v5, v12, v10, vcc
	s_mov_b64 s[10:11], -1
	s_branch .LBB47_2481
.LBB47_2480:
	s_mov_b64 s[0:1], -1
                                        ; implicit-def: $vgpr5
.LBB47_2481:
	s_mov_b64 s[14:15], 0
.LBB47_2482:
	s_and_b64 vcc, exec, s[14:15]
	s_cbranch_vccz .LBB47_2486
; %bb.2483:
	s_waitcnt vmcnt(0)
	v_mov_b32_e32 v5, 29
	v_cmp_eq_u16_sdwa s[0:1], v4, v5 src0_sel:BYTE_0 src1_sel:DWORD
	s_and_b64 vcc, exec, s[0:1]
	s_cbranch_vccz .LBB47_2485
; %bb.2484:
	global_load_dwordx2 v[10:11], v[0:1], off
	s_movk_i32 s10, 0x7fff
	s_mov_b64 s[0:1], 0
	s_mov_b64 s[14:15], 0
	s_waitcnt vmcnt(0)
	v_ffbh_u32_e32 v5, v11
	v_min_u32_e32 v5, 32, v5
	v_lshlrev_b64 v[10:11], v5, v[10:11]
	v_min_u32_e32 v10, 1, v10
	v_or_b32_e32 v10, v11, v10
	v_cvt_f32_u32_e32 v10, v10
	v_sub_u32_e32 v5, 32, v5
	v_ldexp_f32 v5, v10, v5
	v_bfe_u32 v10, v5, 16, 1
	v_add3_u32 v5, v5, v10, s10
	v_lshrrev_b32_e32 v5, 16, v5
	s_mov_b64 s[10:11], -1
	s_branch .LBB47_2487
.LBB47_2485:
	s_mov_b64 s[0:1], -1
                                        ; implicit-def: $vgpr5
.LBB47_2486:
	s_mov_b64 s[14:15], 0
.LBB47_2487:
	s_and_b64 vcc, exec, s[14:15]
	s_cbranch_vccz .LBB47_2505
; %bb.2488:
	s_waitcnt vmcnt(0)
	v_mov_b32_e32 v5, 27
	v_cmp_lt_i16_sdwa s[10:11], v4, v5 src0_sel:BYTE_0 src1_sel:DWORD
	s_and_b64 vcc, exec, s[10:11]
	s_cbranch_vccnz .LBB47_2491
; %bb.2489:
	v_cmp_gt_i16_sdwa s[10:11], v4, v5 src0_sel:BYTE_0 src1_sel:DWORD
	s_and_b64 vcc, exec, s[10:11]
	s_cbranch_vccz .LBB47_2492
; %bb.2490:
	global_load_dword v5, v[0:1], off
	s_movk_i32 s10, 0x7fff
	s_waitcnt vmcnt(0)
	v_cvt_f32_u32_e32 v5, v5
	v_bfe_u32 v10, v5, 16, 1
	v_add3_u32 v5, v5, v10, s10
	v_lshrrev_b32_e32 v5, 16, v5
	s_mov_b64 s[10:11], 0
	s_branch .LBB47_2493
.LBB47_2491:
	s_mov_b64 s[10:11], -1
                                        ; implicit-def: $vgpr5
	s_branch .LBB47_2496
.LBB47_2492:
	s_mov_b64 s[10:11], -1
                                        ; implicit-def: $vgpr5
.LBB47_2493:
	s_andn2_b64 vcc, exec, s[10:11]
	s_cbranch_vccnz .LBB47_2495
; %bb.2494:
	global_load_ushort v5, v[0:1], off
	s_movk_i32 s10, 0x7fff
	s_waitcnt vmcnt(0)
	v_cvt_f32_u32_e32 v5, v5
	v_bfe_u32 v10, v5, 16, 1
	v_add3_u32 v5, v5, v10, s10
	v_lshrrev_b32_e32 v5, 16, v5
.LBB47_2495:
	s_mov_b64 s[10:11], 0
.LBB47_2496:
	s_andn2_b64 vcc, exec, s[10:11]
	s_cbranch_vccnz .LBB47_2504
; %bb.2497:
	global_load_ubyte v5, v[0:1], off
	s_movk_i32 s10, 0x7f
                                        ; implicit-def: $sgpr13
	s_waitcnt vmcnt(0)
	v_cmp_lt_i16_e32 vcc, s10, v5
	s_mov_b64 s[10:11], 0
	s_and_saveexec_b64 s[14:15], vcc
	s_xor_b64 s[14:15], exec, s[14:15]
	s_cbranch_execz .LBB47_2518
; %bb.2498:
	s_movk_i32 s10, 0x80
	v_cmp_eq_u16_e32 vcc, s10, v5
	s_mov_b64 s[10:11], -1
                                        ; implicit-def: $sgpr13
	s_and_saveexec_b64 s[16:17], vcc
; %bb.2499:
	s_mov_b32 s13, 0x7f800001
	s_xor_b64 s[10:11], exec, -1
; %bb.2500:
	s_or_b64 exec, exec, s[16:17]
	s_and_b64 s[10:11], s[10:11], exec
	s_or_saveexec_b64 s[14:15], s[14:15]
	v_mov_b32_e32 v10, s13
	s_xor_b64 exec, exec, s[14:15]
	s_cbranch_execnz .LBB47_2519
.LBB47_2501:
	s_or_b64 exec, exec, s[14:15]
	s_and_saveexec_b64 s[14:15], s[10:11]
	s_cbranch_execz .LBB47_2503
.LBB47_2502:
	v_lshlrev_b32_e32 v10, 24, v5
	v_and_b32_e32 v5, 0xffff, v5
	v_and_b32_e32 v11, 7, v5
	v_ffbh_u32_e32 v13, v11
	v_min_u32_e32 v13, 32, v13
	v_subrev_u32_e32 v14, 28, v13
	v_bfe_u32 v12, v5, 3, 4
	v_lshlrev_b32_e32 v5, v14, v5
	v_sub_u32_e32 v13, 29, v13
	v_and_b32_e32 v5, 7, v5
	v_cmp_eq_u32_e32 vcc, 0, v12
	v_cndmask_b32_e32 v12, v12, v13, vcc
	v_cndmask_b32_e32 v5, v11, v5, vcc
	v_mov_b32_e32 v11, 0x3b800000
	v_lshlrev_b32_e32 v5, 20, v5
	v_and_b32_e32 v10, 0x80000000, v10
	v_lshl_add_u32 v11, v12, 23, v11
	v_or3_b32 v10, v10, v11, v5
.LBB47_2503:
	s_or_b64 exec, exec, s[14:15]
	v_bfe_u32 v5, v10, 16, 1
	s_movk_i32 s10, 0x7fff
	v_add3_u32 v5, v10, v5, s10
	v_lshrrev_b32_e32 v5, 16, v5
	v_mov_b32_e32 v11, 0x7fc0
	v_cmp_o_f32_e32 vcc, v10, v10
	v_cndmask_b32_e32 v5, v11, v5, vcc
.LBB47_2504:
	s_mov_b64 s[10:11], -1
.LBB47_2505:
	s_mov_b64 s[14:15], 0
.LBB47_2506:
	s_and_b64 vcc, exec, s[14:15]
	s_cbranch_vccz .LBB47_2539
; %bb.2507:
	s_waitcnt vmcnt(0)
	v_mov_b32_e32 v5, 22
	v_cmp_gt_i16_sdwa s[2:3], v4, v5 src0_sel:BYTE_0 src1_sel:DWORD
	s_and_b64 vcc, exec, s[2:3]
	s_cbranch_vccz .LBB47_2517
; %bb.2508:
	v_mov_b32_e32 v5, 24
	v_cmp_lt_i16_sdwa s[2:3], v4, v5 src0_sel:BYTE_0 src1_sel:DWORD
	s_and_b64 vcc, exec, s[2:3]
	s_cbranch_vccnz .LBB47_2520
; %bb.2509:
	v_cmp_gt_i16_sdwa s[2:3], v4, v5 src0_sel:BYTE_0 src1_sel:DWORD
	s_and_b64 vcc, exec, s[2:3]
	s_cbranch_vccz .LBB47_2521
; %bb.2510:
	global_load_ubyte v5, v[0:1], off
	s_movk_i32 s2, 0x7f
                                        ; implicit-def: $sgpr13
	s_waitcnt vmcnt(0)
	v_cmp_lt_i16_e32 vcc, s2, v5
	s_mov_b64 s[2:3], 0
	s_and_saveexec_b64 s[10:11], vcc
	s_xor_b64 s[10:11], exec, s[10:11]
	s_cbranch_execz .LBB47_2533
; %bb.2511:
	s_movk_i32 s2, 0x80
	v_cmp_eq_u16_e32 vcc, s2, v5
	s_mov_b64 s[2:3], -1
                                        ; implicit-def: $sgpr13
	s_and_saveexec_b64 s[14:15], vcc
; %bb.2512:
	s_mov_b32 s13, 0x7f800001
	s_xor_b64 s[2:3], exec, -1
; %bb.2513:
	s_or_b64 exec, exec, s[14:15]
	s_and_b64 s[2:3], s[2:3], exec
	s_or_saveexec_b64 s[10:11], s[10:11]
	v_mov_b32_e32 v10, s13
	s_xor_b64 exec, exec, s[10:11]
	s_cbranch_execnz .LBB47_2534
.LBB47_2514:
	s_or_b64 exec, exec, s[10:11]
	s_and_saveexec_b64 s[10:11], s[2:3]
	s_cbranch_execz .LBB47_2516
.LBB47_2515:
	v_lshlrev_b32_e32 v10, 24, v5
	v_and_b32_e32 v5, 0xffff, v5
	v_and_b32_e32 v11, 3, v5
	v_ffbh_u32_e32 v13, v11
	v_min_u32_e32 v13, 32, v13
	v_subrev_u32_e32 v14, 29, v13
	v_bfe_u32 v12, v5, 2, 5
	v_lshlrev_b32_e32 v5, v14, v5
	v_sub_u32_e32 v13, 30, v13
	v_and_b32_e32 v5, 3, v5
	v_cmp_eq_u32_e32 vcc, 0, v12
	v_cndmask_b32_e32 v12, v12, v13, vcc
	v_cndmask_b32_e32 v5, v11, v5, vcc
	v_mov_b32_e32 v11, 0x37800000
	v_lshlrev_b32_e32 v5, 21, v5
	v_and_b32_e32 v10, 0x80000000, v10
	v_lshl_add_u32 v11, v12, 23, v11
	v_or3_b32 v10, v10, v11, v5
.LBB47_2516:
	s_or_b64 exec, exec, s[10:11]
	v_bfe_u32 v5, v10, 16, 1
	s_movk_i32 s2, 0x7fff
	v_add3_u32 v5, v10, v5, s2
	v_lshrrev_b32_e32 v5, 16, v5
	v_mov_b32_e32 v11, 0x7fc0
	v_cmp_o_f32_e32 vcc, v10, v10
	v_cndmask_b32_e32 v5, v11, v5, vcc
	s_mov_b64 s[2:3], 0
	s_branch .LBB47_2522
.LBB47_2517:
	s_mov_b64 s[2:3], -1
                                        ; implicit-def: $vgpr5
	s_branch .LBB47_2528
.LBB47_2518:
	s_or_saveexec_b64 s[14:15], s[14:15]
	v_mov_b32_e32 v10, s13
	s_xor_b64 exec, exec, s[14:15]
	s_cbranch_execz .LBB47_2501
.LBB47_2519:
	v_cmp_ne_u16_e32 vcc, 0, v5
	s_andn2_b64 s[10:11], s[10:11], exec
	s_and_b64 s[16:17], vcc, exec
	v_mov_b32_e32 v10, 0
	s_or_b64 s[10:11], s[10:11], s[16:17]
	s_or_b64 exec, exec, s[14:15]
	s_and_saveexec_b64 s[14:15], s[10:11]
	s_cbranch_execnz .LBB47_2502
	s_branch .LBB47_2503
.LBB47_2520:
	s_mov_b64 s[2:3], -1
                                        ; implicit-def: $vgpr5
	s_branch .LBB47_2525
.LBB47_2521:
	s_mov_b64 s[2:3], -1
                                        ; implicit-def: $vgpr5
.LBB47_2522:
	s_and_b64 vcc, exec, s[2:3]
	s_cbranch_vccz .LBB47_2524
; %bb.2523:
	global_load_ubyte v5, v[0:1], off
	s_mov_b32 s2, 0x7f800000
	s_brev_b32 s3, 1
	s_movk_i32 s10, 0x7fff
	v_mov_b32_e32 v10, 0x7fc0
	s_waitcnt vmcnt(0)
	v_lshlrev_b32_e32 v5, 24, v5
	v_and_b32_e32 v11, 0x7f000000, v5
	v_ffbh_u32_e32 v12, v11
	v_min_u32_e32 v12, 32, v12
	v_sub_u32_e64 v12, v12, 4 clamp
	v_lshlrev_b32_e32 v14, v12, v11
	v_lshlrev_b32_e32 v12, 23, v12
	v_lshrrev_b32_e32 v14, 4, v14
	v_add_u32_e32 v13, 0x1000000, v11
	v_sub_u32_e32 v12, v14, v12
	v_ashrrev_i32_e32 v13, 8, v13
	v_add_u32_e32 v12, 0x3c000000, v12
	v_and_or_b32 v12, v13, s2, v12
	v_cmp_ne_u32_e32 vcc, 0, v11
	v_cndmask_b32_e32 v11, 0, v12, vcc
	v_and_or_b32 v5, v5, s3, v11
	v_bfe_u32 v11, v11, 16, 1
	v_add3_u32 v11, v5, v11, s10
	v_lshrrev_b32_e32 v11, 16, v11
	v_cmp_o_f32_e32 vcc, v5, v5
	v_cndmask_b32_e32 v5, v10, v11, vcc
.LBB47_2524:
	s_mov_b64 s[2:3], 0
.LBB47_2525:
	s_andn2_b64 vcc, exec, s[2:3]
	s_cbranch_vccnz .LBB47_2527
; %bb.2526:
	global_load_ubyte v5, v[0:1], off
	s_movk_i32 s2, 0x7f00
	s_brev_b32 s3, 16
	s_brev_b32 s10, 1
	s_movk_i32 s11, 0x7fff
	v_mov_b32_e32 v10, 0x7fc0
	s_waitcnt vmcnt(0)
	v_lshlrev_b16_e32 v11, 8, v5
	v_lshlrev_b32_e32 v5, 25, v5
	v_lshrrev_b32_e32 v12, 4, v5
	v_and_or_b32 v13, v11, s2, 0.5
	v_or_b32_e32 v12, 0x70000000, v12
	v_add_f32_e32 v13, -0.5, v13
	v_mul_f32_e32 v12, 0x7800000, v12
	v_cmp_gt_u32_e32 vcc, s3, v5
	v_bfe_i32 v11, v11, 0, 16
	v_cndmask_b32_e32 v5, v12, v13, vcc
	v_and_or_b32 v11, v11, s10, v5
	v_bfe_u32 v5, v5, 16, 1
	v_add3_u32 v5, v11, v5, s11
	v_lshrrev_b32_e32 v5, 16, v5
	v_cmp_o_f32_e32 vcc, v11, v11
	v_cndmask_b32_e32 v5, v10, v5, vcc
.LBB47_2527:
	s_mov_b64 s[2:3], 0
	s_mov_b64 s[10:11], -1
.LBB47_2528:
	s_andn2_b64 vcc, exec, s[2:3]
	s_mov_b64 s[2:3], 0
	s_cbranch_vccnz .LBB47_2539
; %bb.2529:
	v_mov_b32_e32 v5, 14
	v_cmp_gt_i16_sdwa s[2:3], v4, v5 src0_sel:BYTE_0 src1_sel:DWORD
	s_and_b64 vcc, exec, s[2:3]
	s_cbranch_vccz .LBB47_2532
; %bb.2530:
	v_mov_b32_e32 v5, 15
	v_cmp_eq_u16_sdwa s[0:1], v4, v5 src0_sel:BYTE_0 src1_sel:DWORD
	s_and_b64 vcc, exec, s[0:1]
	s_cbranch_vccz .LBB47_2535
; %bb.2531:
	global_load_ushort v5, v[0:1], off
	s_mov_b64 s[0:1], 0
	s_mov_b64 s[10:11], -1
	s_branch .LBB47_2536
.LBB47_2532:
	s_mov_b64 s[14:15], -1
                                        ; implicit-def: $vgpr5
	s_branch .LBB47_2537
.LBB47_2533:
	s_or_saveexec_b64 s[10:11], s[10:11]
	v_mov_b32_e32 v10, s13
	s_xor_b64 exec, exec, s[10:11]
	s_cbranch_execz .LBB47_2514
.LBB47_2534:
	v_cmp_ne_u16_e32 vcc, 0, v5
	s_andn2_b64 s[2:3], s[2:3], exec
	s_and_b64 s[14:15], vcc, exec
	v_mov_b32_e32 v10, 0
	s_or_b64 s[2:3], s[2:3], s[14:15]
	s_or_b64 exec, exec, s[10:11]
	s_and_saveexec_b64 s[10:11], s[2:3]
	s_cbranch_execnz .LBB47_2515
	s_branch .LBB47_2516
.LBB47_2535:
	s_mov_b64 s[0:1], -1
                                        ; implicit-def: $vgpr5
.LBB47_2536:
	s_mov_b64 s[14:15], 0
.LBB47_2537:
	s_mov_b64 s[2:3], 0
	s_and_b64 vcc, exec, s[14:15]
	s_cbranch_vccz .LBB47_2539
; %bb.2538:
	s_waitcnt vmcnt(0)
	v_mov_b32_e32 v5, 11
	v_cmp_ne_u16_sdwa s[0:1], v4, v5 src0_sel:BYTE_0 src1_sel:DWORD
	s_mov_b64 s[2:3], -1
                                        ; implicit-def: $vgpr5
.LBB47_2539:
	s_and_b64 vcc, exec, s[0:1]
	s_cbranch_vccnz .LBB47_2651
; %bb.2540:
	s_andn2_b64 vcc, exec, s[2:3]
	s_cbranch_vccnz .LBB47_2542
.LBB47_2541:
	global_load_ubyte v5, v[0:1], off
	s_mov_b64 s[10:11], -1
	s_waitcnt vmcnt(0)
	v_cmp_ne_u16_e32 vcc, 0, v5
	v_cndmask_b32_e64 v5, 0, 1.0, vcc
	v_lshrrev_b32_e32 v5, 16, v5
.LBB47_2542:
	s_mov_b64 s[0:1], 0
.LBB47_2543:
	s_and_b64 vcc, exec, s[0:1]
	s_cbranch_vccz .LBB47_2592
; %bb.2544:
	s_waitcnt vmcnt(0)
	v_mov_b32_e32 v5, 5
	v_cmp_lt_i16_sdwa s[0:1], v4, v5 src0_sel:BYTE_0 src1_sel:DWORD
	s_and_b64 vcc, exec, s[0:1]
	s_cbranch_vccnz .LBB47_2549
; %bb.2545:
	v_mov_b32_e32 v5, 8
	v_cmp_lt_i16_sdwa s[0:1], v4, v5 src0_sel:BYTE_0 src1_sel:DWORD
	s_and_b64 vcc, exec, s[0:1]
	s_cbranch_vccnz .LBB47_2550
; %bb.2546:
	;; [unrolled: 5-line block ×3, first 2 shown]
	v_cmp_gt_i16_sdwa s[0:1], v4, v5 src0_sel:BYTE_0 src1_sel:DWORD
	s_and_b64 vcc, exec, s[0:1]
	s_cbranch_vccz .LBB47_2552
; %bb.2548:
	global_load_dwordx2 v[10:11], v[0:1], off
	s_movk_i32 s0, 0x7fff
	v_mov_b32_e32 v5, 0x7fc0
	s_waitcnt vmcnt(0)
	v_cvt_f32_f64_e32 v10, v[10:11]
	v_bfe_u32 v11, v10, 16, 1
	v_add3_u32 v11, v10, v11, s0
	v_lshrrev_b32_e32 v11, 16, v11
	v_cmp_o_f32_e32 vcc, v10, v10
	v_cndmask_b32_e32 v5, v5, v11, vcc
	s_mov_b64 s[0:1], 0
	s_branch .LBB47_2553
.LBB47_2549:
	s_mov_b64 s[0:1], -1
                                        ; implicit-def: $vgpr5
	s_branch .LBB47_2571
.LBB47_2550:
	s_mov_b64 s[0:1], -1
                                        ; implicit-def: $vgpr5
	s_branch .LBB47_2559
.LBB47_2551:
	s_mov_b64 s[0:1], -1
                                        ; implicit-def: $vgpr5
	s_branch .LBB47_2556
.LBB47_2552:
	s_mov_b64 s[0:1], -1
                                        ; implicit-def: $vgpr5
.LBB47_2553:
	s_andn2_b64 vcc, exec, s[0:1]
	s_cbranch_vccnz .LBB47_2555
; %bb.2554:
	global_load_dword v5, v[0:1], off
	s_movk_i32 s0, 0x7fff
	v_mov_b32_e32 v10, 0x7fc0
	s_waitcnt vmcnt(0)
	v_bfe_u32 v11, v5, 16, 1
	v_add3_u32 v11, v5, v11, s0
	v_lshrrev_b32_e32 v11, 16, v11
	v_cmp_o_f32_e32 vcc, v5, v5
	v_cndmask_b32_e32 v5, v10, v11, vcc
.LBB47_2555:
	s_mov_b64 s[0:1], 0
.LBB47_2556:
	s_andn2_b64 vcc, exec, s[0:1]
	s_cbranch_vccnz .LBB47_2558
; %bb.2557:
	global_load_dword v5, v[0:1], off
	s_movk_i32 s0, 0x7fff
	v_mov_b32_e32 v11, 0x7fc0
	s_waitcnt vmcnt(0)
	v_cvt_f32_f16_e32 v10, v5
	v_cmp_o_f16_e32 vcc, v5, v5
	v_bfe_u32 v12, v10, 16, 1
	v_add3_u32 v10, v10, v12, s0
	v_lshrrev_b32_e32 v10, 16, v10
	v_cndmask_b32_e32 v5, v11, v10, vcc
.LBB47_2558:
	s_mov_b64 s[0:1], 0
.LBB47_2559:
	s_andn2_b64 vcc, exec, s[0:1]
	s_cbranch_vccnz .LBB47_2570
; %bb.2560:
	v_mov_b32_e32 v5, 6
	v_cmp_lt_i16_sdwa s[0:1], v4, v5 src0_sel:BYTE_0 src1_sel:DWORD
	s_and_b64 vcc, exec, s[0:1]
	s_cbranch_vccnz .LBB47_2563
; %bb.2561:
	v_cmp_gt_i16_sdwa s[0:1], v4, v5 src0_sel:BYTE_0 src1_sel:DWORD
	s_and_b64 vcc, exec, s[0:1]
	s_cbranch_vccz .LBB47_2564
; %bb.2562:
	global_load_dwordx2 v[10:11], v[0:1], off
	s_movk_i32 s0, 0x7fff
	v_mov_b32_e32 v5, 0x7fc0
	s_waitcnt vmcnt(0)
	v_cvt_f32_f64_e32 v10, v[10:11]
	v_bfe_u32 v11, v10, 16, 1
	v_add3_u32 v11, v10, v11, s0
	v_lshrrev_b32_e32 v11, 16, v11
	v_cmp_o_f32_e32 vcc, v10, v10
	v_cndmask_b32_e32 v5, v5, v11, vcc
	s_mov_b64 s[0:1], 0
	s_branch .LBB47_2565
.LBB47_2563:
	s_mov_b64 s[0:1], -1
                                        ; implicit-def: $vgpr5
	s_branch .LBB47_2568
.LBB47_2564:
	s_mov_b64 s[0:1], -1
                                        ; implicit-def: $vgpr5
.LBB47_2565:
	s_andn2_b64 vcc, exec, s[0:1]
	s_cbranch_vccnz .LBB47_2567
; %bb.2566:
	global_load_dword v5, v[0:1], off
	s_movk_i32 s0, 0x7fff
	v_mov_b32_e32 v10, 0x7fc0
	s_waitcnt vmcnt(0)
	v_bfe_u32 v11, v5, 16, 1
	v_add3_u32 v11, v5, v11, s0
	v_lshrrev_b32_e32 v11, 16, v11
	v_cmp_o_f32_e32 vcc, v5, v5
	v_cndmask_b32_e32 v5, v10, v11, vcc
.LBB47_2567:
	s_mov_b64 s[0:1], 0
.LBB47_2568:
	s_andn2_b64 vcc, exec, s[0:1]
	s_cbranch_vccnz .LBB47_2570
; %bb.2569:
	global_load_ushort v5, v[0:1], off
	s_movk_i32 s0, 0x7fff
	v_mov_b32_e32 v11, 0x7fc0
	s_waitcnt vmcnt(0)
	v_cvt_f32_f16_e32 v10, v5
	v_cmp_o_f16_e32 vcc, v5, v5
	v_bfe_u32 v12, v10, 16, 1
	v_add3_u32 v10, v10, v12, s0
	v_lshrrev_b32_e32 v10, 16, v10
	v_cndmask_b32_e32 v5, v11, v10, vcc
.LBB47_2570:
	s_mov_b64 s[0:1], 0
.LBB47_2571:
	s_andn2_b64 vcc, exec, s[0:1]
	s_cbranch_vccnz .LBB47_2591
; %bb.2572:
	v_mov_b32_e32 v5, 2
	v_cmp_lt_i16_sdwa s[0:1], v4, v5 src0_sel:BYTE_0 src1_sel:DWORD
	s_and_b64 vcc, exec, s[0:1]
	s_cbranch_vccnz .LBB47_2576
; %bb.2573:
	v_mov_b32_e32 v5, 3
	v_cmp_lt_i16_sdwa s[0:1], v4, v5 src0_sel:BYTE_0 src1_sel:DWORD
	s_and_b64 vcc, exec, s[0:1]
	s_cbranch_vccnz .LBB47_2577
; %bb.2574:
	v_cmp_gt_i16_sdwa s[0:1], v4, v5 src0_sel:BYTE_0 src1_sel:DWORD
	s_and_b64 vcc, exec, s[0:1]
	s_cbranch_vccz .LBB47_2578
; %bb.2575:
	global_load_dwordx2 v[10:11], v[0:1], off
	s_movk_i32 s0, 0x7fff
	s_waitcnt vmcnt(0)
	v_xor_b32_e32 v12, v10, v11
	v_ffbh_i32_e32 v5, v11
	v_ashrrev_i32_e32 v12, 31, v12
	v_add_u32_e32 v5, -1, v5
	v_add_u32_e32 v12, 32, v12
	v_min_u32_e32 v5, v5, v12
	v_lshlrev_b64 v[10:11], v5, v[10:11]
	v_min_u32_e32 v10, 1, v10
	v_or_b32_e32 v10, v11, v10
	v_cvt_f32_i32_e32 v10, v10
	v_sub_u32_e32 v5, 32, v5
	v_ldexp_f32 v5, v10, v5
	v_bfe_u32 v10, v5, 16, 1
	v_add3_u32 v5, v5, v10, s0
	v_lshrrev_b32_e32 v5, 16, v5
	s_mov_b64 s[0:1], 0
	s_branch .LBB47_2579
.LBB47_2576:
	s_mov_b64 s[0:1], -1
                                        ; implicit-def: $vgpr5
	s_branch .LBB47_2585
.LBB47_2577:
	s_mov_b64 s[0:1], -1
                                        ; implicit-def: $vgpr5
	s_branch .LBB47_2582
.LBB47_2578:
	s_mov_b64 s[0:1], -1
                                        ; implicit-def: $vgpr5
.LBB47_2579:
	s_andn2_b64 vcc, exec, s[0:1]
	s_cbranch_vccnz .LBB47_2581
; %bb.2580:
	global_load_dword v5, v[0:1], off
	s_movk_i32 s0, 0x7fff
	s_waitcnt vmcnt(0)
	v_cvt_f32_i32_e32 v5, v5
	v_bfe_u32 v10, v5, 16, 1
	v_add3_u32 v5, v5, v10, s0
	v_lshrrev_b32_e32 v5, 16, v5
.LBB47_2581:
	s_mov_b64 s[0:1], 0
.LBB47_2582:
	s_andn2_b64 vcc, exec, s[0:1]
	s_cbranch_vccnz .LBB47_2584
; %bb.2583:
	global_load_sshort v5, v[0:1], off
	s_movk_i32 s0, 0x7fff
	s_waitcnt vmcnt(0)
	v_cvt_f32_i32_e32 v5, v5
	v_bfe_u32 v10, v5, 16, 1
	v_add3_u32 v5, v5, v10, s0
	v_lshrrev_b32_e32 v5, 16, v5
.LBB47_2584:
	s_mov_b64 s[0:1], 0
.LBB47_2585:
	s_andn2_b64 vcc, exec, s[0:1]
	s_cbranch_vccnz .LBB47_2591
; %bb.2586:
	v_mov_b32_e32 v5, 0
	v_cmp_gt_i16_sdwa s[0:1], v4, v5 src0_sel:BYTE_0 src1_sel:DWORD
	s_and_b64 vcc, exec, s[0:1]
	s_cbranch_vccz .LBB47_2588
; %bb.2587:
	global_load_sbyte v4, v[0:1], off
	s_movk_i32 s0, 0x7fff
	s_waitcnt vmcnt(0)
	v_cvt_f32_i32_e32 v4, v4
	v_bfe_u32 v5, v4, 16, 1
	v_add3_u32 v4, v4, v5, s0
	v_lshrrev_b32_e32 v5, 16, v4
	s_mov_b64 s[0:1], 0
	s_branch .LBB47_2589
.LBB47_2588:
	s_mov_b64 s[0:1], -1
                                        ; implicit-def: $vgpr5
.LBB47_2589:
	s_andn2_b64 vcc, exec, s[0:1]
	s_cbranch_vccnz .LBB47_2591
; %bb.2590:
	global_load_ubyte v0, v[0:1], off
	s_movk_i32 s0, 0x7fff
	s_waitcnt vmcnt(0)
	v_cvt_f32_ubyte0_e32 v0, v0
	v_bfe_u32 v1, v0, 16, 1
	v_add3_u32 v0, v0, v1, s0
	v_lshrrev_b32_e32 v5, 16, v0
.LBB47_2591:
	s_mov_b64 s[10:11], -1
.LBB47_2592:
	s_andn2_b64 vcc, exec, s[10:11]
	s_cbranch_vccnz .LBB47_2602
; %bb.2593:
	s_waitcnt vmcnt(0)
	v_lshlrev_b32_e32 v0, 16, v9
	v_cmp_nlt_f32_e32 vcc, 0, v0
	s_and_saveexec_b64 s[0:1], vcc
; %bb.2594:
	v_lshlrev_b32_e32 v1, 16, v5
	v_mul_f32_e32 v0, v0, v1
	v_bfe_u32 v1, v0, 16, 1
	s_movk_i32 s2, 0x7fff
	v_add3_u32 v1, v0, v1, s2
	v_lshrrev_b32_e32 v1, 16, v1
	v_mov_b32_e32 v4, 0x7fc0
	v_cmp_o_f32_e32 vcc, v0, v0
	v_cndmask_b32_e32 v9, v4, v1, vcc
; %bb.2595:
	s_or_b64 exec, exec, s[0:1]
	v_mul_lo_u32 v3, s12, v3
	v_ashrrev_i32_e32 v1, 31, v3
	v_mov_b32_e32 v4, s9
	v_add_co_u32_e32 v0, vcc, s8, v3
	v_addc_co_u32_e32 v1, vcc, v4, v1, vcc
	v_mov_b32_e32 v4, 11
	v_cmp_lt_i16_sdwa s[0:1], v2, v4 src0_sel:BYTE_0 src1_sel:DWORD
	s_and_b64 vcc, exec, s[0:1]
	s_cbranch_vccnz .LBB47_2648
; %bb.2596:
	v_mov_b32_e32 v4, 25
	v_cmp_gt_i16_sdwa s[0:1], v2, v4 src0_sel:BYTE_0 src1_sel:DWORD
	s_mov_b64 s[14:15], -1
	s_mov_b64 s[2:3], 0
	s_and_b64 vcc, exec, s[0:1]
	s_mov_b64 s[10:11], 0
	s_mov_b64 s[0:1], 0
	s_cbranch_vccz .LBB47_2680
; %bb.2597:
	v_mov_b32_e32 v4, 28
	v_cmp_gt_i16_sdwa s[0:1], v2, v4 src0_sel:BYTE_0 src1_sel:DWORD
	s_and_b64 vcc, exec, s[0:1]
	s_cbranch_vccz .LBB47_2649
; %bb.2598:
	v_mov_b32_e32 v4, 43
	v_cmp_gt_i16_sdwa s[0:1], v2, v4 src0_sel:BYTE_0 src1_sel:DWORD
	s_and_b64 vcc, exec, s[0:1]
	;; [unrolled: 5-line block ×3, first 2 shown]
	s_cbranch_vccz .LBB47_2652
; %bb.2600:
	v_mov_b32_e32 v4, 46
	v_cmp_eq_u16_sdwa s[10:11], v2, v4 src0_sel:BYTE_0 src1_sel:DWORD
	s_mov_b64 s[0:1], -1
	s_mov_b64 s[14:15], 0
	s_and_b64 vcc, exec, s[10:11]
	s_mov_b64 s[10:11], 0
	s_cbranch_vccz .LBB47_2653
; %bb.2601:
	v_and_b32_e32 v4, 0xffff, v6
	global_store_dword v[0:1], v4, off
	s_mov_b64 s[0:1], 0
	s_mov_b64 s[10:11], -1
	s_branch .LBB47_2653
.LBB47_2602:
	s_mov_b64 s[0:1], 0
                                        ; implicit-def: $vgpr6
                                        ; implicit-def: $vgpr0_vgpr1
                                        ; implicit-def: $vgpr9
.LBB47_2603:
	s_mov_b64 s[2:3], 0
.LBB47_2604:
	s_and_b64 s[16:17], s[2:3], exec
	s_andn2_b64 s[2:3], s[6:7], exec
	s_and_b64 s[6:7], s[18:19], exec
	s_and_b64 s[0:1], s[0:1], exec
	s_or_b64 s[6:7], s[2:3], s[6:7]
.LBB47_2605:
	s_or_b64 exec, exec, s[4:5]
	s_and_saveexec_b64 s[2:3], s[6:7]
	s_cbranch_execz .LBB47_2608
; %bb.2606:
	; divergent unreachable
	s_or_b64 exec, exec, s[2:3]
	s_and_saveexec_b64 s[2:3], s[16:17]
	s_xor_b64 s[2:3], exec, s[2:3]
	s_cbranch_execnz .LBB47_2609
.LBB47_2607:
	s_or_b64 exec, exec, s[2:3]
	s_and_saveexec_b64 s[2:3], s[0:1]
	s_cbranch_execnz .LBB47_2610
	s_branch .LBB47_2647
.LBB47_2608:
	s_or_b64 exec, exec, s[2:3]
	s_and_saveexec_b64 s[2:3], s[16:17]
	s_xor_b64 s[2:3], exec, s[2:3]
	s_cbranch_execz .LBB47_2607
.LBB47_2609:
	s_waitcnt vmcnt(0)
	v_and_b32_e32 v2, 0x7fff, v9
	v_cmp_ne_u16_e32 vcc, 0, v2
	v_cndmask_b32_e64 v2, 0, 1, vcc
	global_store_byte v[0:1], v2, off
	s_or_b64 exec, exec, s[2:3]
	s_and_saveexec_b64 s[2:3], s[0:1]
	s_cbranch_execz .LBB47_2647
.LBB47_2610:
	s_waitcnt vmcnt(0)
	v_cmp_gt_i16_e32 vcc, 5, v6
	s_mov_b64 s[0:1], -1
	s_cbranch_vccnz .LBB47_2631
; %bb.2611:
	v_cmp_gt_i16_e32 vcc, 8, v6
	s_cbranch_vccnz .LBB47_2621
; %bb.2612:
	v_cmp_gt_i16_e32 vcc, 9, v6
	s_cbranch_vccnz .LBB47_2618
; %bb.2613:
	v_cmp_lt_i16_e32 vcc, 9, v6
	v_lshlrev_b32_e32 v2, 16, v9
	s_cbranch_vccz .LBB47_2615
; %bb.2614:
	v_mov_b32_e32 v12, 0
	v_cvt_f64_f32_e32 v[10:11], v2
	v_mov_b32_e32 v13, v12
	global_store_dwordx4 v[0:1], v[10:13], off
	s_mov_b64 s[0:1], 0
.LBB47_2615:
	s_andn2_b64 vcc, exec, s[0:1]
	s_cbranch_vccnz .LBB47_2617
; %bb.2616:
	v_mov_b32_e32 v3, 0
	global_store_dwordx2 v[0:1], v[2:3], off
.LBB47_2617:
	s_mov_b64 s[0:1], 0
.LBB47_2618:
	s_andn2_b64 vcc, exec, s[0:1]
	s_cbranch_vccnz .LBB47_2620
; %bb.2619:
	v_lshlrev_b32_e32 v2, 16, v9
	v_cvt_f16_f32_e32 v2, v2
	global_store_dword v[0:1], v2, off
.LBB47_2620:
	s_mov_b64 s[0:1], 0
.LBB47_2621:
	s_andn2_b64 vcc, exec, s[0:1]
	s_cbranch_vccnz .LBB47_2630
; %bb.2622:
	v_cmp_gt_i16_e32 vcc, 6, v6
	s_mov_b64 s[0:1], -1
	s_cbranch_vccnz .LBB47_2628
; %bb.2623:
	v_cmp_lt_i16_e32 vcc, 6, v6
	v_lshlrev_b32_e32 v2, 16, v9
	s_cbranch_vccz .LBB47_2625
; %bb.2624:
	v_cvt_f64_f32_e32 v[4:5], v2
	global_store_dwordx2 v[0:1], v[4:5], off
	s_mov_b64 s[0:1], 0
.LBB47_2625:
	s_andn2_b64 vcc, exec, s[0:1]
	s_cbranch_vccnz .LBB47_2627
; %bb.2626:
	global_store_dword v[0:1], v2, off
.LBB47_2627:
	s_mov_b64 s[0:1], 0
.LBB47_2628:
	s_andn2_b64 vcc, exec, s[0:1]
	s_cbranch_vccnz .LBB47_2630
; %bb.2629:
	v_lshlrev_b32_e32 v2, 16, v9
	v_cvt_f16_f32_e32 v2, v2
	global_store_short v[0:1], v2, off
.LBB47_2630:
	s_mov_b64 s[0:1], 0
.LBB47_2631:
	s_andn2_b64 vcc, exec, s[0:1]
	s_cbranch_vccnz .LBB47_2647
; %bb.2632:
	v_cmp_gt_i16_e32 vcc, 2, v6
	s_mov_b64 s[0:1], -1
	s_cbranch_vccnz .LBB47_2642
; %bb.2633:
	v_cmp_gt_i16_e32 vcc, 3, v6
	s_cbranch_vccnz .LBB47_2639
; %bb.2634:
	v_cmp_lt_i16_e32 vcc, 3, v6
	v_lshlrev_b32_e32 v2, 16, v9
	s_cbranch_vccz .LBB47_2636
; %bb.2635:
	v_trunc_f32_e32 v3, v2
	s_mov_b32 s0, 0x2f800000
	v_mul_f32_e64 v4, |v3|, s0
	v_floor_f32_e32 v4, v4
	s_mov_b32 s0, 0xcf800000
	v_cvt_u32_f32_e32 v5, v4
	v_fma_f32 v4, v4, s0, |v3|
	v_cvt_u32_f32_e32 v4, v4
	v_ashrrev_i32_e32 v3, 31, v3
	v_xor_b32_e32 v5, v5, v3
	s_mov_b64 s[0:1], 0
	v_xor_b32_e32 v4, v4, v3
	v_sub_co_u32_e32 v4, vcc, v4, v3
	v_subb_co_u32_e32 v5, vcc, v5, v3, vcc
	global_store_dwordx2 v[0:1], v[4:5], off
.LBB47_2636:
	s_andn2_b64 vcc, exec, s[0:1]
	s_cbranch_vccnz .LBB47_2638
; %bb.2637:
	v_cvt_i32_f32_e32 v2, v2
	global_store_dword v[0:1], v2, off
.LBB47_2638:
	s_mov_b64 s[0:1], 0
.LBB47_2639:
	s_andn2_b64 vcc, exec, s[0:1]
	s_cbranch_vccnz .LBB47_2641
; %bb.2640:
	v_lshlrev_b32_e32 v2, 16, v9
	v_cvt_i32_f32_e32 v2, v2
	global_store_short v[0:1], v2, off
.LBB47_2641:
	s_mov_b64 s[0:1], 0
.LBB47_2642:
	s_andn2_b64 vcc, exec, s[0:1]
	s_cbranch_vccnz .LBB47_2647
; %bb.2643:
	v_cmp_lt_i16_e32 vcc, 0, v6
	s_mov_b64 s[0:1], -1
	v_lshlrev_b32_e32 v2, 16, v9
	s_cbranch_vccz .LBB47_2645
; %bb.2644:
	v_cvt_i32_f32_e32 v3, v2
	s_mov_b64 s[0:1], 0
	global_store_byte v[0:1], v3, off
.LBB47_2645:
	s_andn2_b64 vcc, exec, s[0:1]
	s_cbranch_vccnz .LBB47_2647
; %bb.2646:
	v_trunc_f32_e32 v2, v2
	s_mov_b32 s0, 0x2f800000
	v_mul_f32_e64 v3, |v2|, s0
	v_floor_f32_e32 v3, v3
	s_mov_b32 s0, 0xcf800000
	v_fma_f32 v3, v3, s0, |v2|
	v_cvt_u32_f32_e32 v3, v3
	v_ashrrev_i32_e32 v2, 31, v2
	v_xor_b32_e32 v3, v3, v2
	v_sub_u32_e32 v2, v3, v2
	global_store_byte v[0:1], v2, off
	s_endpgm
.LBB47_2647:
	s_endpgm
.LBB47_2648:
	s_mov_b64 s[0:1], -1
	s_mov_b64 s[10:11], 0
	s_branch .LBB47_2724
.LBB47_2649:
	s_mov_b64 s[0:1], 0
	s_branch .LBB47_2663
.LBB47_2650:
	s_mov_b64 s[0:1], 0
	s_branch .LBB47_2659
.LBB47_2651:
	s_trap 2
	s_or_b64 s[18:19], s[18:19], exec
                                        ; implicit-def: $vgpr5
	s_cbranch_execz .LBB47_2541
	s_branch .LBB47_2542
.LBB47_2652:
	s_mov_b64 s[0:1], 0
.LBB47_2653:
	s_and_b64 vcc, exec, s[14:15]
	s_cbranch_vccz .LBB47_2658
; %bb.2654:
	v_mov_b32_e32 v4, 44
	v_cmp_eq_u16_sdwa s[14:15], v2, v4 src0_sel:BYTE_0 src1_sel:DWORD
	s_mov_b64 s[0:1], -1
	s_and_b64 vcc, exec, s[14:15]
	s_cbranch_vccz .LBB47_2658
; %bb.2655:
	v_and_b32_e32 v5, 0xffff, v6
	v_bfe_u32 v4, v5, 7, 8
	s_movk_i32 s0, 0xff
	v_cmp_ne_u32_e32 vcc, s0, v4
	v_mov_b32_e32 v10, 0xff
	s_and_saveexec_b64 s[10:11], vcc
; %bb.2656:
	v_lshlrev_b32_e32 v11, 16, v5
	s_mov_b32 s0, 0x3f0000
	v_lshrrev_b32_e32 v10, 7, v5
	v_and_b32_e32 v5, 64, v5
	v_and_or_b32 v4, v11, s0, v4
	v_cmp_ne_u32_e32 vcc, 0, v5
	v_cmp_ne_u32_e64 s[0:1], 0, v4
	s_and_b64 s[0:1], vcc, s[0:1]
	v_cndmask_b32_e64 v4, 0, 1, s[0:1]
	v_add_u32_e32 v10, v10, v4
; %bb.2657:
	s_or_b64 exec, exec, s[10:11]
	s_mov_b64 s[0:1], 0
	s_mov_b64 s[10:11], -1
	global_store_byte v[0:1], v10, off
.LBB47_2658:
	s_mov_b64 s[14:15], 0
.LBB47_2659:
	s_and_b64 vcc, exec, s[14:15]
	s_cbranch_vccz .LBB47_2662
; %bb.2660:
	v_mov_b32_e32 v4, 29
	v_cmp_eq_u16_sdwa s[14:15], v2, v4 src0_sel:BYTE_0 src1_sel:DWORD
	s_mov_b64 s[0:1], -1
	s_and_b64 vcc, exec, s[14:15]
	s_cbranch_vccz .LBB47_2662
; %bb.2661:
	v_lshlrev_b32_e32 v4, 16, v6
	v_trunc_f32_e32 v4, v4
	v_mul_f32_e32 v5, 0x2f800000, v4
	v_floor_f32_e32 v10, v5
	v_fmac_f32_e32 v4, 0xcf800000, v10
	v_cvt_u32_f32_e32 v5, v10
	v_cvt_u32_f32_e32 v4, v4
	s_mov_b64 s[0:1], 0
	s_mov_b64 s[10:11], -1
	s_mov_b64 s[14:15], 0
	global_store_dwordx2 v[0:1], v[4:5], off
	s_branch .LBB47_2663
.LBB47_2662:
	s_mov_b64 s[14:15], 0
.LBB47_2663:
	s_and_b64 vcc, exec, s[14:15]
	s_cbranch_vccz .LBB47_2679
; %bb.2664:
	v_mov_b32_e32 v4, 27
	v_cmp_lt_i16_sdwa s[14:15], v2, v4 src0_sel:BYTE_0 src1_sel:DWORD
	s_mov_b64 s[10:11], -1
	s_and_b64 vcc, exec, s[14:15]
	s_cbranch_vccnz .LBB47_2670
; %bb.2665:
	v_cmp_gt_i16_sdwa s[14:15], v2, v4 src0_sel:BYTE_0 src1_sel:DWORD
	s_and_b64 vcc, exec, s[14:15]
	s_cbranch_vccz .LBB47_2667
; %bb.2666:
	v_lshlrev_b32_e32 v4, 16, v6
	v_cvt_u32_f32_e32 v4, v4
	s_mov_b64 s[10:11], 0
	global_store_dword v[0:1], v4, off
.LBB47_2667:
	s_andn2_b64 vcc, exec, s[10:11]
	s_cbranch_vccnz .LBB47_2669
; %bb.2668:
	v_lshlrev_b32_e32 v4, 16, v6
	v_cvt_u32_f32_e32 v4, v4
	global_store_short v[0:1], v4, off
.LBB47_2669:
	s_mov_b64 s[10:11], 0
.LBB47_2670:
	s_andn2_b64 vcc, exec, s[10:11]
	s_cbranch_vccnz .LBB47_2678
; %bb.2671:
	v_lshlrev_b32_e32 v10, 16, v6
	v_and_b32_e32 v5, 0x7fffffff, v10
	s_mov_b32 s10, 0x43800000
	v_cmp_gt_u32_e32 vcc, s10, v5
	v_mov_b32_e32 v11, 0x80
	s_and_saveexec_b64 s[10:11], vcc
	s_cbranch_execz .LBB47_2677
; %bb.2672:
	s_mov_b32 s13, 0x3bffffff
	v_and_b32_e32 v4, 0xffff, v6
	v_cmp_lt_u32_e32 vcc, s13, v5
	s_mov_b64 s[14:15], 0
                                        ; implicit-def: $vgpr5
	s_and_saveexec_b64 s[16:17], vcc
	s_xor_b64 s[16:17], exec, s[16:17]
	s_cbranch_execz .LBB47_2773
; %bb.2673:
	v_bfe_u32 v5, v4, 4, 1
	s_mov_b32 s13, 0x487ffff
	v_add3_u32 v5, v10, v5, s13
	s_mov_b64 s[14:15], exec
	v_lshrrev_b32_e32 v5, 20, v5
                                        ; implicit-def: $vgpr10
	s_or_saveexec_b64 s[16:17], s[16:17]
                                        ; implicit-def: $sgpr13
	s_xor_b64 exec, exec, s[16:17]
	s_cbranch_execnz .LBB47_2774
.LBB47_2674:
	s_or_b64 exec, exec, s[16:17]
	v_mov_b32_e32 v11, s13
	s_and_saveexec_b64 s[16:17], s[14:15]
.LBB47_2675:
	v_lshrrev_b32_e32 v4, 8, v4
	s_movk_i32 s13, 0x80
	v_and_or_b32 v11, v4, s13, v5
.LBB47_2676:
	s_or_b64 exec, exec, s[16:17]
.LBB47_2677:
	s_or_b64 exec, exec, s[10:11]
	global_store_byte v[0:1], v11, off
.LBB47_2678:
	s_mov_b64 s[10:11], -1
.LBB47_2679:
	s_mov_b64 s[14:15], 0
.LBB47_2680:
	s_and_b64 vcc, exec, s[14:15]
	s_cbranch_vccz .LBB47_2720
; %bb.2681:
	v_mov_b32_e32 v4, 22
	v_cmp_gt_i16_sdwa s[14:15], v2, v4 src0_sel:BYTE_0 src1_sel:DWORD
	s_mov_b64 s[2:3], -1
	s_and_b64 vcc, exec, s[14:15]
	s_cbranch_vccz .LBB47_2713
; %bb.2682:
	v_mov_b32_e32 v4, 24
	v_cmp_lt_i16_sdwa s[10:11], v2, v4 src0_sel:BYTE_0 src1_sel:DWORD
	s_and_b64 vcc, exec, s[10:11]
	s_cbranch_vccnz .LBB47_2702
; %bb.2683:
	v_cmp_gt_i16_sdwa s[10:11], v2, v4 src0_sel:BYTE_0 src1_sel:DWORD
	s_and_b64 vcc, exec, s[10:11]
	s_cbranch_vccz .LBB47_2691
; %bb.2684:
	v_lshlrev_b32_e32 v10, 16, v6
	v_and_b32_e32 v5, 0x7fffffff, v10
	s_mov_b32 s2, 0x47800000
	v_cmp_gt_u32_e32 vcc, s2, v5
	v_mov_b32_e32 v11, 0x80
	s_and_saveexec_b64 s[2:3], vcc
	s_cbranch_execz .LBB47_2690
; %bb.2685:
	s_mov_b32 s10, 0x37ffffff
	v_and_b32_e32 v4, 0xffff, v6
	v_cmp_lt_u32_e32 vcc, s10, v5
	s_mov_b64 s[10:11], 0
                                        ; implicit-def: $vgpr5
	s_and_saveexec_b64 s[14:15], vcc
	s_xor_b64 s[14:15], exec, s[14:15]
	s_cbranch_execz .LBB47_2777
; %bb.2686:
	v_bfe_u32 v5, v4, 5, 1
	s_mov_b32 s13, 0x88fffff
	v_add3_u32 v5, v10, v5, s13
	s_mov_b64 s[10:11], exec
	v_lshrrev_b32_e32 v5, 21, v5
                                        ; implicit-def: $vgpr10
	s_or_saveexec_b64 s[14:15], s[14:15]
                                        ; implicit-def: $sgpr13
	s_xor_b64 exec, exec, s[14:15]
	s_cbranch_execnz .LBB47_2778
.LBB47_2687:
	s_or_b64 exec, exec, s[14:15]
	v_mov_b32_e32 v11, s13
	s_and_saveexec_b64 s[14:15], s[10:11]
.LBB47_2688:
	v_lshrrev_b32_e32 v4, 8, v4
	s_movk_i32 s10, 0x80
	v_and_or_b32 v11, v4, s10, v5
.LBB47_2689:
	s_or_b64 exec, exec, s[14:15]
.LBB47_2690:
	s_or_b64 exec, exec, s[2:3]
	s_mov_b64 s[2:3], 0
	global_store_byte v[0:1], v11, off
.LBB47_2691:
	s_and_b64 vcc, exec, s[2:3]
	s_cbranch_vccz .LBB47_2701
; %bb.2692:
	v_lshlrev_b32_e32 v10, 16, v6
	v_and_b32_e32 v11, 0x7fffffff, v10
	s_mov_b32 s2, 0x43f00000
	v_and_b32_e32 v4, 0xffff, v6
	v_cmp_gt_u32_e32 vcc, s2, v11
                                        ; implicit-def: $vgpr5
	s_and_saveexec_b64 s[2:3], vcc
	s_xor_b64 s[2:3], exec, s[2:3]
	s_cbranch_execz .LBB47_2698
; %bb.2693:
	s_mov_b32 s10, 0x3c7fffff
	v_cmp_lt_u32_e32 vcc, s10, v11
                                        ; implicit-def: $vgpr5
	s_and_saveexec_b64 s[10:11], vcc
	s_xor_b64 s[10:11], exec, s[10:11]
; %bb.2694:
	v_bfe_u32 v5, v4, 4, 1
	s_mov_b32 s13, 0x407ffff
	v_add3_u32 v5, v10, v5, s13
	v_lshrrev_b32_e32 v10, 20, v5
	v_and_b32_e32 v5, 0xff00000, v5
	s_mov_b32 s13, 0x7f00000
	v_mov_b32_e32 v11, 0x7e
	v_cmp_ne_u32_e32 vcc, s13, v5
	v_cndmask_b32_e32 v5, v11, v10, vcc
                                        ; implicit-def: $vgpr10
; %bb.2695:
	s_andn2_saveexec_b64 s[10:11], s[10:11]
; %bb.2696:
	s_mov_b32 s13, 0x46800000
	v_add_f32_e64 v5, |v10|, s13
; %bb.2697:
	s_or_b64 exec, exec, s[10:11]
                                        ; implicit-def: $vgpr11
.LBB47_2698:
	s_andn2_saveexec_b64 s[2:3], s[2:3]
; %bb.2699:
	s_mov_b32 s10, 0x7f800000
	v_mov_b32_e32 v5, 0x7e
	v_mov_b32_e32 v10, 0x7f
	v_cmp_lt_u32_e32 vcc, s10, v11
	v_cndmask_b32_e32 v5, v5, v10, vcc
; %bb.2700:
	s_or_b64 exec, exec, s[2:3]
	v_lshrrev_b32_e32 v4, 8, v4
	s_movk_i32 s2, 0x80
	v_and_or_b32 v4, v4, s2, v5
	global_store_byte v[0:1], v4, off
.LBB47_2701:
	s_mov_b64 s[2:3], 0
.LBB47_2702:
	s_andn2_b64 vcc, exec, s[2:3]
	s_cbranch_vccnz .LBB47_2712
; %bb.2703:
	v_lshlrev_b32_e32 v10, 16, v6
	v_and_b32_e32 v11, 0x7fffffff, v10
	s_mov_b32 s2, 0x47800000
	v_and_b32_e32 v4, 0xffff, v6
	v_cmp_gt_u32_e32 vcc, s2, v11
                                        ; implicit-def: $vgpr5
	s_and_saveexec_b64 s[2:3], vcc
	s_xor_b64 s[2:3], exec, s[2:3]
	s_cbranch_execz .LBB47_2709
; %bb.2704:
	s_mov_b32 s10, 0x387fffff
	v_cmp_lt_u32_e32 vcc, s10, v11
                                        ; implicit-def: $vgpr5
	s_and_saveexec_b64 s[10:11], vcc
	s_xor_b64 s[10:11], exec, s[10:11]
; %bb.2705:
	v_bfe_u32 v5, v4, 5, 1
	s_mov_b32 s13, 0x80fffff
	v_add3_u32 v5, v10, v5, s13
	v_lshrrev_b32_e32 v5, 21, v5
                                        ; implicit-def: $vgpr10
; %bb.2706:
	s_andn2_saveexec_b64 s[10:11], s[10:11]
; %bb.2707:
	s_mov_b32 s13, 0x43000000
	v_add_f32_e64 v5, |v10|, s13
; %bb.2708:
	s_or_b64 exec, exec, s[10:11]
                                        ; implicit-def: $vgpr11
.LBB47_2709:
	s_andn2_saveexec_b64 s[2:3], s[2:3]
; %bb.2710:
	s_mov_b32 s10, 0x7f800000
	v_mov_b32_e32 v5, 0x7c
	v_mov_b32_e32 v10, 0x7f
	v_cmp_lt_u32_e32 vcc, s10, v11
	v_cndmask_b32_e32 v5, v5, v10, vcc
; %bb.2711:
	s_or_b64 exec, exec, s[2:3]
	v_lshrrev_b32_e32 v4, 8, v4
	s_movk_i32 s2, 0x80
	v_and_or_b32 v4, v4, s2, v5
	global_store_byte v[0:1], v4, off
.LBB47_2712:
	s_mov_b64 s[2:3], 0
	s_mov_b64 s[10:11], -1
.LBB47_2713:
	s_andn2_b64 vcc, exec, s[2:3]
	s_mov_b64 s[2:3], 0
	s_cbranch_vccnz .LBB47_2720
; %bb.2714:
	v_mov_b32_e32 v4, 14
	v_cmp_gt_i16_sdwa s[2:3], v2, v4 src0_sel:BYTE_0 src1_sel:DWORD
	s_mov_b64 s[14:15], -1
	s_and_b64 vcc, exec, s[2:3]
	s_cbranch_vccz .LBB47_2718
; %bb.2715:
	v_mov_b32_e32 v4, 15
	v_cmp_eq_u16_sdwa s[2:3], v2, v4 src0_sel:BYTE_0 src1_sel:DWORD
	s_mov_b64 s[0:1], -1
	s_and_b64 vcc, exec, s[2:3]
	s_cbranch_vccz .LBB47_2717
; %bb.2716:
	global_store_short v[0:1], v6, off
	s_mov_b64 s[0:1], 0
	s_mov_b64 s[10:11], -1
.LBB47_2717:
	s_mov_b64 s[14:15], 0
.LBB47_2718:
	s_mov_b64 s[2:3], 0
	s_and_b64 vcc, exec, s[14:15]
	s_cbranch_vccz .LBB47_2720
; %bb.2719:
	v_mov_b32_e32 v4, 11
	v_cmp_ne_u16_sdwa s[0:1], v2, v4 src0_sel:BYTE_0 src1_sel:DWORD
	s_mov_b64 s[2:3], -1
.LBB47_2720:
	s_and_b64 vcc, exec, s[0:1]
	s_cbranch_vccnz .LBB47_2776
; %bb.2721:
	s_andn2_b64 vcc, exec, s[2:3]
	s_cbranch_vccnz .LBB47_2723
.LBB47_2722:
	v_and_b32_e32 v4, 0x7fff, v6
	v_cmp_ne_u16_e32 vcc, 0, v4
	v_cndmask_b32_e64 v4, 0, 1, vcc
	s_mov_b64 s[10:11], -1
	global_store_byte v[0:1], v4, off
.LBB47_2723:
	s_mov_b64 s[0:1], 0
.LBB47_2724:
	s_and_b64 vcc, exec, s[0:1]
	s_cbranch_vccz .LBB47_2763
; %bb.2725:
	v_mov_b32_e32 v4, 5
	v_cmp_lt_i16_sdwa s[2:3], v2, v4 src0_sel:BYTE_0 src1_sel:DWORD
	s_mov_b64 s[0:1], -1
	s_and_b64 vcc, exec, s[2:3]
	s_cbranch_vccnz .LBB47_2746
; %bb.2726:
	v_mov_b32_e32 v4, 8
	v_cmp_lt_i16_sdwa s[2:3], v2, v4 src0_sel:BYTE_0 src1_sel:DWORD
	s_and_b64 vcc, exec, s[2:3]
	s_cbranch_vccnz .LBB47_2736
; %bb.2727:
	v_mov_b32_e32 v4, 9
	v_cmp_lt_i16_sdwa s[2:3], v2, v4 src0_sel:BYTE_0 src1_sel:DWORD
	s_and_b64 vcc, exec, s[2:3]
	s_cbranch_vccnz .LBB47_2733
; %bb.2728:
	v_cmp_gt_i16_sdwa s[2:3], v2, v4 src0_sel:BYTE_0 src1_sel:DWORD
	s_and_b64 vcc, exec, s[2:3]
	s_cbranch_vccz .LBB47_2730
; %bb.2729:
	v_lshlrev_b32_e32 v4, 16, v6
	v_mov_b32_e32 v12, 0
	v_cvt_f64_f32_e32 v[10:11], v4
	v_mov_b32_e32 v13, v12
	global_store_dwordx4 v[0:1], v[10:13], off
	s_mov_b64 s[0:1], 0
.LBB47_2730:
	s_andn2_b64 vcc, exec, s[0:1]
	s_cbranch_vccnz .LBB47_2732
; %bb.2731:
	v_lshlrev_b32_e32 v4, 16, v6
	v_mov_b32_e32 v5, 0
	global_store_dwordx2 v[0:1], v[4:5], off
.LBB47_2732:
	s_mov_b64 s[0:1], 0
.LBB47_2733:
	s_andn2_b64 vcc, exec, s[0:1]
	s_cbranch_vccnz .LBB47_2735
; %bb.2734:
	v_lshlrev_b32_e32 v4, 16, v6
	v_cvt_f16_f32_e32 v4, v4
	global_store_dword v[0:1], v4, off
.LBB47_2735:
	s_mov_b64 s[0:1], 0
.LBB47_2736:
	s_andn2_b64 vcc, exec, s[0:1]
	s_cbranch_vccnz .LBB47_2745
; %bb.2737:
	v_mov_b32_e32 v4, 6
	v_cmp_lt_i16_sdwa s[2:3], v2, v4 src0_sel:BYTE_0 src1_sel:DWORD
	s_mov_b64 s[0:1], -1
	s_and_b64 vcc, exec, s[2:3]
	s_cbranch_vccnz .LBB47_2743
; %bb.2738:
	v_cmp_gt_i16_sdwa s[2:3], v2, v4 src0_sel:BYTE_0 src1_sel:DWORD
	s_and_b64 vcc, exec, s[2:3]
	s_cbranch_vccz .LBB47_2740
; %bb.2739:
	v_lshlrev_b32_e32 v4, 16, v6
	v_cvt_f64_f32_e32 v[4:5], v4
	global_store_dwordx2 v[0:1], v[4:5], off
	s_mov_b64 s[0:1], 0
.LBB47_2740:
	s_andn2_b64 vcc, exec, s[0:1]
	s_cbranch_vccnz .LBB47_2742
; %bb.2741:
	v_lshlrev_b32_e32 v4, 16, v6
	global_store_dword v[0:1], v4, off
.LBB47_2742:
	s_mov_b64 s[0:1], 0
.LBB47_2743:
	s_andn2_b64 vcc, exec, s[0:1]
	s_cbranch_vccnz .LBB47_2745
; %bb.2744:
	v_lshlrev_b32_e32 v4, 16, v6
	v_cvt_f16_f32_e32 v4, v4
	global_store_short v[0:1], v4, off
.LBB47_2745:
	s_mov_b64 s[0:1], 0
.LBB47_2746:
	s_andn2_b64 vcc, exec, s[0:1]
	s_cbranch_vccnz .LBB47_2762
; %bb.2747:
	v_mov_b32_e32 v4, 2
	v_cmp_lt_i16_sdwa s[2:3], v2, v4 src0_sel:BYTE_0 src1_sel:DWORD
	s_mov_b64 s[0:1], -1
	s_and_b64 vcc, exec, s[2:3]
	s_cbranch_vccnz .LBB47_2757
; %bb.2748:
	v_mov_b32_e32 v4, 3
	v_cmp_lt_i16_sdwa s[2:3], v2, v4 src0_sel:BYTE_0 src1_sel:DWORD
	s_and_b64 vcc, exec, s[2:3]
	s_cbranch_vccnz .LBB47_2754
; %bb.2749:
	v_cmp_gt_i16_sdwa s[2:3], v2, v4 src0_sel:BYTE_0 src1_sel:DWORD
	s_and_b64 vcc, exec, s[2:3]
	s_cbranch_vccz .LBB47_2751
; %bb.2750:
	v_lshlrev_b32_e32 v4, 16, v6
	v_trunc_f32_e32 v4, v4
	s_mov_b32 s0, 0x2f800000
	v_mul_f32_e64 v5, |v4|, s0
	v_floor_f32_e32 v5, v5
	s_mov_b32 s0, 0xcf800000
	v_cvt_u32_f32_e32 v10, v5
	v_fma_f32 v5, v5, s0, |v4|
	v_cvt_u32_f32_e32 v5, v5
	v_ashrrev_i32_e32 v11, 31, v4
	v_xor_b32_e32 v10, v10, v11
	s_mov_b64 s[0:1], 0
	v_xor_b32_e32 v4, v5, v11
	v_sub_co_u32_e32 v4, vcc, v4, v11
	v_subb_co_u32_e32 v5, vcc, v10, v11, vcc
	global_store_dwordx2 v[0:1], v[4:5], off
.LBB47_2751:
	s_andn2_b64 vcc, exec, s[0:1]
	s_cbranch_vccnz .LBB47_2753
; %bb.2752:
	v_lshlrev_b32_e32 v4, 16, v6
	v_cvt_i32_f32_e32 v4, v4
	global_store_dword v[0:1], v4, off
.LBB47_2753:
	s_mov_b64 s[0:1], 0
.LBB47_2754:
	s_andn2_b64 vcc, exec, s[0:1]
	s_cbranch_vccnz .LBB47_2756
; %bb.2755:
	v_lshlrev_b32_e32 v4, 16, v6
	v_cvt_i32_f32_e32 v4, v4
	global_store_short v[0:1], v4, off
.LBB47_2756:
	s_mov_b64 s[0:1], 0
.LBB47_2757:
	s_andn2_b64 vcc, exec, s[0:1]
	s_cbranch_vccnz .LBB47_2762
; %bb.2758:
	v_mov_b32_e32 v4, 0
	v_cmp_gt_i16_sdwa s[2:3], v2, v4 src0_sel:BYTE_0 src1_sel:DWORD
	s_mov_b64 s[0:1], -1
	s_and_b64 vcc, exec, s[2:3]
	v_lshlrev_b32_e32 v4, 16, v6
	s_cbranch_vccz .LBB47_2760
; %bb.2759:
	v_cvt_i32_f32_e32 v5, v4
	s_mov_b64 s[0:1], 0
	global_store_byte v[0:1], v5, off
.LBB47_2760:
	s_andn2_b64 vcc, exec, s[0:1]
	s_cbranch_vccnz .LBB47_2762
; %bb.2761:
	v_trunc_f32_e32 v4, v4
	s_mov_b32 s0, 0x2f800000
	v_mul_f32_e64 v5, |v4|, s0
	v_floor_f32_e32 v5, v5
	s_mov_b32 s0, 0xcf800000
	v_fma_f32 v5, v5, s0, |v4|
	v_cvt_u32_f32_e32 v5, v5
	v_ashrrev_i32_e32 v4, 31, v4
	v_xor_b32_e32 v5, v5, v4
	v_sub_u32_e32 v4, v5, v4
	global_store_byte v[0:1], v4, off
.LBB47_2762:
	s_mov_b64 s[10:11], -1
.LBB47_2763:
	s_andn2_b64 vcc, exec, s[10:11]
	s_cbranch_vccnz .LBB47_3094
; %bb.2764:
	s_lshl_b32 s16, s12, 7
	v_add_u32_e32 v3, s16, v3
	v_ashrrev_i32_e32 v1, 31, v3
	v_mov_b32_e32 v4, s9
	v_add_co_u32_e32 v0, vcc, s8, v3
	v_addc_co_u32_e32 v1, vcc, v4, v1, vcc
	v_mov_b32_e32 v4, 11
	v_cmp_lt_i16_sdwa s[0:1], v2, v4 src0_sel:BYTE_0 src1_sel:DWORD
	s_and_b64 vcc, exec, s[0:1]
	s_cbranch_vccnz .LBB47_2771
; %bb.2765:
	v_mov_b32_e32 v4, 25
	v_cmp_gt_i16_sdwa s[0:1], v2, v4 src0_sel:BYTE_0 src1_sel:DWORD
	s_mov_b64 s[12:13], -1
	s_mov_b64 s[2:3], 0
	s_and_b64 vcc, exec, s[0:1]
	s_mov_b64 s[10:11], 0
	s_mov_b64 s[0:1], 0
	s_cbranch_vccz .LBB47_2807
; %bb.2766:
	v_mov_b32_e32 v4, 28
	v_cmp_gt_i16_sdwa s[0:1], v2, v4 src0_sel:BYTE_0 src1_sel:DWORD
	s_and_b64 vcc, exec, s[0:1]
	s_cbranch_vccz .LBB47_2772
; %bb.2767:
	v_mov_b32_e32 v4, 43
	v_cmp_gt_i16_sdwa s[0:1], v2, v4 src0_sel:BYTE_0 src1_sel:DWORD
	s_and_b64 vcc, exec, s[0:1]
	;; [unrolled: 5-line block ×3, first 2 shown]
	s_cbranch_vccz .LBB47_2779
; %bb.2769:
	v_mov_b32_e32 v4, 46
	v_cmp_eq_u16_sdwa s[10:11], v2, v4 src0_sel:BYTE_0 src1_sel:DWORD
	s_mov_b64 s[0:1], -1
	s_mov_b64 s[12:13], 0
	s_and_b64 vcc, exec, s[10:11]
	s_mov_b64 s[10:11], 0
	s_cbranch_vccz .LBB47_2780
; %bb.2770:
	v_and_b32_e32 v4, 0xffff, v7
	global_store_dword v[0:1], v4, off
	s_mov_b64 s[0:1], 0
	s_mov_b64 s[10:11], -1
	s_branch .LBB47_2780
.LBB47_2771:
	s_mov_b64 s[0:1], -1
	s_mov_b64 s[10:11], 0
	s_branch .LBB47_2851
.LBB47_2772:
	s_mov_b64 s[0:1], 0
	s_branch .LBB47_2790
.LBB47_2773:
	s_or_saveexec_b64 s[16:17], s[16:17]
                                        ; implicit-def: $sgpr13
	s_xor_b64 exec, exec, s[16:17]
	s_cbranch_execz .LBB47_2674
.LBB47_2774:
	s_mov_b32 s13, 0x46000000
	v_add_f32_e64 v5, |v10|, s13
	v_and_b32_e32 v5, 0xff, v5
	v_cmp_ne_u32_e32 vcc, 0, v5
	s_andn2_b64 s[14:15], s[14:15], exec
	s_and_b64 s[20:21], vcc, exec
	s_mov_b32 s13, 0
	s_or_b64 s[14:15], s[14:15], s[20:21]
	s_or_b64 exec, exec, s[16:17]
	v_mov_b32_e32 v11, s13
	s_and_saveexec_b64 s[16:17], s[14:15]
	s_cbranch_execnz .LBB47_2675
	s_branch .LBB47_2676
.LBB47_2775:
	s_mov_b64 s[0:1], 0
	s_branch .LBB47_2786
.LBB47_2776:
	s_trap 2
	s_or_b64 s[18:19], s[18:19], exec
	s_cbranch_execz .LBB47_2722
	s_branch .LBB47_2723
.LBB47_2777:
	s_or_saveexec_b64 s[14:15], s[14:15]
                                        ; implicit-def: $sgpr13
	s_xor_b64 exec, exec, s[14:15]
	s_cbranch_execz .LBB47_2687
.LBB47_2778:
	s_mov_b32 s13, 0x42800000
	v_add_f32_e64 v5, |v10|, s13
	v_and_b32_e32 v5, 0xff, v5
	v_cmp_ne_u32_e32 vcc, 0, v5
	s_andn2_b64 s[10:11], s[10:11], exec
	s_and_b64 s[16:17], vcc, exec
	s_mov_b32 s13, 0
	s_or_b64 s[10:11], s[10:11], s[16:17]
	s_or_b64 exec, exec, s[14:15]
	v_mov_b32_e32 v11, s13
	s_and_saveexec_b64 s[14:15], s[10:11]
	s_cbranch_execnz .LBB47_2688
	s_branch .LBB47_2689
.LBB47_2779:
	s_mov_b64 s[0:1], 0
.LBB47_2780:
	s_and_b64 vcc, exec, s[12:13]
	s_cbranch_vccz .LBB47_2785
; %bb.2781:
	v_mov_b32_e32 v4, 44
	v_cmp_eq_u16_sdwa s[12:13], v2, v4 src0_sel:BYTE_0 src1_sel:DWORD
	s_mov_b64 s[0:1], -1
	s_and_b64 vcc, exec, s[12:13]
	s_cbranch_vccz .LBB47_2785
; %bb.2782:
	v_and_b32_e32 v5, 0xffff, v7
	v_bfe_u32 v4, v5, 7, 8
	s_movk_i32 s0, 0xff
	v_cmp_ne_u32_e32 vcc, s0, v4
	v_mov_b32_e32 v6, 0xff
	s_and_saveexec_b64 s[10:11], vcc
; %bb.2783:
	v_lshlrev_b32_e32 v10, 16, v5
	s_mov_b32 s0, 0x3f0000
	v_lshrrev_b32_e32 v6, 7, v5
	v_and_b32_e32 v5, 64, v5
	v_and_or_b32 v4, v10, s0, v4
	v_cmp_ne_u32_e32 vcc, 0, v5
	v_cmp_ne_u32_e64 s[0:1], 0, v4
	s_and_b64 s[0:1], vcc, s[0:1]
	v_cndmask_b32_e64 v4, 0, 1, s[0:1]
	v_add_u32_e32 v6, v6, v4
; %bb.2784:
	s_or_b64 exec, exec, s[10:11]
	s_mov_b64 s[0:1], 0
	s_mov_b64 s[10:11], -1
	global_store_byte v[0:1], v6, off
.LBB47_2785:
	s_mov_b64 s[12:13], 0
.LBB47_2786:
	s_and_b64 vcc, exec, s[12:13]
	s_cbranch_vccz .LBB47_2789
; %bb.2787:
	v_mov_b32_e32 v4, 29
	v_cmp_eq_u16_sdwa s[12:13], v2, v4 src0_sel:BYTE_0 src1_sel:DWORD
	s_mov_b64 s[0:1], -1
	s_and_b64 vcc, exec, s[12:13]
	s_cbranch_vccz .LBB47_2789
; %bb.2788:
	v_lshlrev_b32_e32 v4, 16, v7
	v_trunc_f32_e32 v4, v4
	v_mul_f32_e32 v5, 0x2f800000, v4
	v_floor_f32_e32 v6, v5
	v_fmac_f32_e32 v4, 0xcf800000, v6
	v_cvt_u32_f32_e32 v5, v6
	v_cvt_u32_f32_e32 v4, v4
	s_mov_b64 s[0:1], 0
	s_mov_b64 s[10:11], -1
	s_mov_b64 s[12:13], 0
	global_store_dwordx2 v[0:1], v[4:5], off
	s_branch .LBB47_2790
.LBB47_2789:
	s_mov_b64 s[12:13], 0
.LBB47_2790:
	s_and_b64 vcc, exec, s[12:13]
	s_cbranch_vccz .LBB47_2806
; %bb.2791:
	v_mov_b32_e32 v4, 27
	v_cmp_lt_i16_sdwa s[12:13], v2, v4 src0_sel:BYTE_0 src1_sel:DWORD
	s_mov_b64 s[10:11], -1
	s_and_b64 vcc, exec, s[12:13]
	s_cbranch_vccnz .LBB47_2797
; %bb.2792:
	v_cmp_gt_i16_sdwa s[12:13], v2, v4 src0_sel:BYTE_0 src1_sel:DWORD
	s_and_b64 vcc, exec, s[12:13]
	s_cbranch_vccz .LBB47_2794
; %bb.2793:
	v_lshlrev_b32_e32 v4, 16, v7
	v_cvt_u32_f32_e32 v4, v4
	s_mov_b64 s[10:11], 0
	global_store_dword v[0:1], v4, off
.LBB47_2794:
	s_andn2_b64 vcc, exec, s[10:11]
	s_cbranch_vccnz .LBB47_2796
; %bb.2795:
	v_lshlrev_b32_e32 v4, 16, v7
	v_cvt_u32_f32_e32 v4, v4
	global_store_short v[0:1], v4, off
.LBB47_2796:
	s_mov_b64 s[10:11], 0
.LBB47_2797:
	s_andn2_b64 vcc, exec, s[10:11]
	s_cbranch_vccnz .LBB47_2805
; %bb.2798:
	v_lshlrev_b32_e32 v6, 16, v7
	v_and_b32_e32 v5, 0x7fffffff, v6
	s_mov_b32 s10, 0x43800000
	v_cmp_gt_u32_e32 vcc, s10, v5
	v_mov_b32_e32 v10, 0x80
	s_and_saveexec_b64 s[10:11], vcc
	s_cbranch_execz .LBB47_2804
; %bb.2799:
	s_mov_b32 s12, 0x3bffffff
	v_and_b32_e32 v4, 0xffff, v7
	v_cmp_lt_u32_e32 vcc, s12, v5
	s_mov_b64 s[12:13], 0
                                        ; implicit-def: $vgpr5
	s_and_saveexec_b64 s[14:15], vcc
	s_xor_b64 s[14:15], exec, s[14:15]
	s_cbranch_execz .LBB47_2900
; %bb.2800:
	v_bfe_u32 v5, v4, 4, 1
	s_mov_b32 s17, 0x487ffff
	v_add3_u32 v5, v6, v5, s17
	s_mov_b64 s[12:13], exec
	v_lshrrev_b32_e32 v5, 20, v5
                                        ; implicit-def: $vgpr6
	s_or_saveexec_b64 s[14:15], s[14:15]
                                        ; implicit-def: $sgpr17
	s_xor_b64 exec, exec, s[14:15]
	s_cbranch_execnz .LBB47_2901
.LBB47_2801:
	s_or_b64 exec, exec, s[14:15]
	v_mov_b32_e32 v10, s17
	s_and_saveexec_b64 s[14:15], s[12:13]
.LBB47_2802:
	v_lshrrev_b32_e32 v4, 8, v4
	s_movk_i32 s12, 0x80
	v_and_or_b32 v10, v4, s12, v5
.LBB47_2803:
	s_or_b64 exec, exec, s[14:15]
.LBB47_2804:
	s_or_b64 exec, exec, s[10:11]
	global_store_byte v[0:1], v10, off
.LBB47_2805:
	s_mov_b64 s[10:11], -1
.LBB47_2806:
	s_mov_b64 s[12:13], 0
.LBB47_2807:
	s_and_b64 vcc, exec, s[12:13]
	s_cbranch_vccz .LBB47_2847
; %bb.2808:
	v_mov_b32_e32 v4, 22
	v_cmp_gt_i16_sdwa s[12:13], v2, v4 src0_sel:BYTE_0 src1_sel:DWORD
	s_mov_b64 s[2:3], -1
	s_and_b64 vcc, exec, s[12:13]
	s_cbranch_vccz .LBB47_2840
; %bb.2809:
	v_mov_b32_e32 v4, 24
	v_cmp_lt_i16_sdwa s[10:11], v2, v4 src0_sel:BYTE_0 src1_sel:DWORD
	s_and_b64 vcc, exec, s[10:11]
	s_cbranch_vccnz .LBB47_2829
; %bb.2810:
	v_cmp_gt_i16_sdwa s[10:11], v2, v4 src0_sel:BYTE_0 src1_sel:DWORD
	s_and_b64 vcc, exec, s[10:11]
	s_cbranch_vccz .LBB47_2818
; %bb.2811:
	v_lshlrev_b32_e32 v6, 16, v7
	v_and_b32_e32 v5, 0x7fffffff, v6
	s_mov_b32 s2, 0x47800000
	v_cmp_gt_u32_e32 vcc, s2, v5
	v_mov_b32_e32 v10, 0x80
	s_and_saveexec_b64 s[2:3], vcc
	s_cbranch_execz .LBB47_2817
; %bb.2812:
	s_mov_b32 s10, 0x37ffffff
	v_and_b32_e32 v4, 0xffff, v7
	v_cmp_lt_u32_e32 vcc, s10, v5
	s_mov_b64 s[10:11], 0
                                        ; implicit-def: $vgpr5
	s_and_saveexec_b64 s[12:13], vcc
	s_xor_b64 s[12:13], exec, s[12:13]
	s_cbranch_execz .LBB47_2904
; %bb.2813:
	v_bfe_u32 v5, v4, 5, 1
	s_mov_b32 s14, 0x88fffff
	v_add3_u32 v5, v6, v5, s14
	s_mov_b64 s[10:11], exec
	v_lshrrev_b32_e32 v5, 21, v5
                                        ; implicit-def: $vgpr6
	s_or_saveexec_b64 s[12:13], s[12:13]
                                        ; implicit-def: $sgpr14
	s_xor_b64 exec, exec, s[12:13]
	s_cbranch_execnz .LBB47_2905
.LBB47_2814:
	s_or_b64 exec, exec, s[12:13]
	v_mov_b32_e32 v10, s14
	s_and_saveexec_b64 s[12:13], s[10:11]
.LBB47_2815:
	v_lshrrev_b32_e32 v4, 8, v4
	s_movk_i32 s10, 0x80
	v_and_or_b32 v10, v4, s10, v5
.LBB47_2816:
	s_or_b64 exec, exec, s[12:13]
.LBB47_2817:
	s_or_b64 exec, exec, s[2:3]
	s_mov_b64 s[2:3], 0
	global_store_byte v[0:1], v10, off
.LBB47_2818:
	s_and_b64 vcc, exec, s[2:3]
	s_cbranch_vccz .LBB47_2828
; %bb.2819:
	v_lshlrev_b32_e32 v6, 16, v7
	v_and_b32_e32 v10, 0x7fffffff, v6
	s_mov_b32 s2, 0x43f00000
	v_and_b32_e32 v4, 0xffff, v7
	v_cmp_gt_u32_e32 vcc, s2, v10
                                        ; implicit-def: $vgpr5
	s_and_saveexec_b64 s[2:3], vcc
	s_xor_b64 s[2:3], exec, s[2:3]
	s_cbranch_execz .LBB47_2825
; %bb.2820:
	s_mov_b32 s10, 0x3c7fffff
	v_cmp_lt_u32_e32 vcc, s10, v10
                                        ; implicit-def: $vgpr5
	s_and_saveexec_b64 s[10:11], vcc
	s_xor_b64 s[10:11], exec, s[10:11]
; %bb.2821:
	v_bfe_u32 v5, v4, 4, 1
	s_mov_b32 s12, 0x407ffff
	v_add3_u32 v5, v6, v5, s12
	v_lshrrev_b32_e32 v6, 20, v5
	v_and_b32_e32 v5, 0xff00000, v5
	s_mov_b32 s12, 0x7f00000
	v_mov_b32_e32 v10, 0x7e
	v_cmp_ne_u32_e32 vcc, s12, v5
	v_cndmask_b32_e32 v5, v10, v6, vcc
                                        ; implicit-def: $vgpr6
; %bb.2822:
	s_andn2_saveexec_b64 s[10:11], s[10:11]
; %bb.2823:
	s_mov_b32 s12, 0x46800000
	v_add_f32_e64 v5, |v6|, s12
; %bb.2824:
	s_or_b64 exec, exec, s[10:11]
                                        ; implicit-def: $vgpr10
.LBB47_2825:
	s_andn2_saveexec_b64 s[2:3], s[2:3]
; %bb.2826:
	s_mov_b32 s10, 0x7f800000
	v_mov_b32_e32 v5, 0x7e
	v_mov_b32_e32 v6, 0x7f
	v_cmp_lt_u32_e32 vcc, s10, v10
	v_cndmask_b32_e32 v5, v5, v6, vcc
; %bb.2827:
	s_or_b64 exec, exec, s[2:3]
	v_lshrrev_b32_e32 v4, 8, v4
	s_movk_i32 s2, 0x80
	v_and_or_b32 v4, v4, s2, v5
	global_store_byte v[0:1], v4, off
.LBB47_2828:
	s_mov_b64 s[2:3], 0
.LBB47_2829:
	s_andn2_b64 vcc, exec, s[2:3]
	s_cbranch_vccnz .LBB47_2839
; %bb.2830:
	v_lshlrev_b32_e32 v6, 16, v7
	v_and_b32_e32 v10, 0x7fffffff, v6
	s_mov_b32 s2, 0x47800000
	v_and_b32_e32 v4, 0xffff, v7
	v_cmp_gt_u32_e32 vcc, s2, v10
                                        ; implicit-def: $vgpr5
	s_and_saveexec_b64 s[2:3], vcc
	s_xor_b64 s[2:3], exec, s[2:3]
	s_cbranch_execz .LBB47_2836
; %bb.2831:
	s_mov_b32 s10, 0x387fffff
	v_cmp_lt_u32_e32 vcc, s10, v10
                                        ; implicit-def: $vgpr5
	s_and_saveexec_b64 s[10:11], vcc
	s_xor_b64 s[10:11], exec, s[10:11]
; %bb.2832:
	v_bfe_u32 v5, v4, 5, 1
	s_mov_b32 s12, 0x80fffff
	v_add3_u32 v5, v6, v5, s12
	v_lshrrev_b32_e32 v5, 21, v5
                                        ; implicit-def: $vgpr6
; %bb.2833:
	s_andn2_saveexec_b64 s[10:11], s[10:11]
; %bb.2834:
	s_mov_b32 s12, 0x43000000
	v_add_f32_e64 v5, |v6|, s12
; %bb.2835:
	s_or_b64 exec, exec, s[10:11]
                                        ; implicit-def: $vgpr10
.LBB47_2836:
	s_andn2_saveexec_b64 s[2:3], s[2:3]
; %bb.2837:
	s_mov_b32 s10, 0x7f800000
	v_mov_b32_e32 v5, 0x7c
	v_mov_b32_e32 v6, 0x7f
	v_cmp_lt_u32_e32 vcc, s10, v10
	v_cndmask_b32_e32 v5, v5, v6, vcc
; %bb.2838:
	s_or_b64 exec, exec, s[2:3]
	v_lshrrev_b32_e32 v4, 8, v4
	s_movk_i32 s2, 0x80
	v_and_or_b32 v4, v4, s2, v5
	global_store_byte v[0:1], v4, off
.LBB47_2839:
	s_mov_b64 s[2:3], 0
	s_mov_b64 s[10:11], -1
.LBB47_2840:
	s_andn2_b64 vcc, exec, s[2:3]
	s_mov_b64 s[2:3], 0
	s_cbranch_vccnz .LBB47_2847
; %bb.2841:
	v_mov_b32_e32 v4, 14
	v_cmp_gt_i16_sdwa s[2:3], v2, v4 src0_sel:BYTE_0 src1_sel:DWORD
	s_mov_b64 s[12:13], -1
	s_and_b64 vcc, exec, s[2:3]
	s_cbranch_vccz .LBB47_2845
; %bb.2842:
	v_mov_b32_e32 v4, 15
	v_cmp_eq_u16_sdwa s[2:3], v2, v4 src0_sel:BYTE_0 src1_sel:DWORD
	s_mov_b64 s[0:1], -1
	s_and_b64 vcc, exec, s[2:3]
	s_cbranch_vccz .LBB47_2844
; %bb.2843:
	global_store_short v[0:1], v7, off
	s_mov_b64 s[0:1], 0
	s_mov_b64 s[10:11], -1
.LBB47_2844:
	s_mov_b64 s[12:13], 0
.LBB47_2845:
	s_mov_b64 s[2:3], 0
	s_and_b64 vcc, exec, s[12:13]
	s_cbranch_vccz .LBB47_2847
; %bb.2846:
	v_mov_b32_e32 v4, 11
	v_cmp_ne_u16_sdwa s[0:1], v2, v4 src0_sel:BYTE_0 src1_sel:DWORD
	s_mov_b64 s[2:3], -1
.LBB47_2847:
	s_and_b64 vcc, exec, s[0:1]
	s_cbranch_vccnz .LBB47_2903
; %bb.2848:
	s_andn2_b64 vcc, exec, s[2:3]
	s_cbranch_vccnz .LBB47_2850
.LBB47_2849:
	v_and_b32_e32 v4, 0x7fff, v7
	v_cmp_ne_u16_e32 vcc, 0, v4
	v_cndmask_b32_e64 v4, 0, 1, vcc
	s_mov_b64 s[10:11], -1
	global_store_byte v[0:1], v4, off
.LBB47_2850:
	s_mov_b64 s[0:1], 0
.LBB47_2851:
	s_and_b64 vcc, exec, s[0:1]
	s_cbranch_vccz .LBB47_2890
; %bb.2852:
	v_mov_b32_e32 v4, 5
	v_cmp_lt_i16_sdwa s[2:3], v2, v4 src0_sel:BYTE_0 src1_sel:DWORD
	s_mov_b64 s[0:1], -1
	s_and_b64 vcc, exec, s[2:3]
	s_cbranch_vccnz .LBB47_2873
; %bb.2853:
	v_mov_b32_e32 v4, 8
	v_cmp_lt_i16_sdwa s[2:3], v2, v4 src0_sel:BYTE_0 src1_sel:DWORD
	s_and_b64 vcc, exec, s[2:3]
	s_cbranch_vccnz .LBB47_2863
; %bb.2854:
	v_mov_b32_e32 v4, 9
	v_cmp_lt_i16_sdwa s[2:3], v2, v4 src0_sel:BYTE_0 src1_sel:DWORD
	s_and_b64 vcc, exec, s[2:3]
	s_cbranch_vccnz .LBB47_2860
; %bb.2855:
	v_cmp_gt_i16_sdwa s[2:3], v2, v4 src0_sel:BYTE_0 src1_sel:DWORD
	s_and_b64 vcc, exec, s[2:3]
	s_cbranch_vccz .LBB47_2857
; %bb.2856:
	v_lshlrev_b32_e32 v4, 16, v7
	v_mov_b32_e32 v12, 0
	v_cvt_f64_f32_e32 v[10:11], v4
	v_mov_b32_e32 v13, v12
	global_store_dwordx4 v[0:1], v[10:13], off
	s_mov_b64 s[0:1], 0
.LBB47_2857:
	s_andn2_b64 vcc, exec, s[0:1]
	s_cbranch_vccnz .LBB47_2859
; %bb.2858:
	v_lshlrev_b32_e32 v4, 16, v7
	v_mov_b32_e32 v5, 0
	global_store_dwordx2 v[0:1], v[4:5], off
.LBB47_2859:
	s_mov_b64 s[0:1], 0
.LBB47_2860:
	s_andn2_b64 vcc, exec, s[0:1]
	s_cbranch_vccnz .LBB47_2862
; %bb.2861:
	v_lshlrev_b32_e32 v4, 16, v7
	v_cvt_f16_f32_e32 v4, v4
	global_store_dword v[0:1], v4, off
.LBB47_2862:
	s_mov_b64 s[0:1], 0
.LBB47_2863:
	s_andn2_b64 vcc, exec, s[0:1]
	s_cbranch_vccnz .LBB47_2872
; %bb.2864:
	v_mov_b32_e32 v4, 6
	v_cmp_lt_i16_sdwa s[2:3], v2, v4 src0_sel:BYTE_0 src1_sel:DWORD
	s_mov_b64 s[0:1], -1
	s_and_b64 vcc, exec, s[2:3]
	s_cbranch_vccnz .LBB47_2870
; %bb.2865:
	v_cmp_gt_i16_sdwa s[2:3], v2, v4 src0_sel:BYTE_0 src1_sel:DWORD
	s_and_b64 vcc, exec, s[2:3]
	s_cbranch_vccz .LBB47_2867
; %bb.2866:
	v_lshlrev_b32_e32 v4, 16, v7
	v_cvt_f64_f32_e32 v[4:5], v4
	global_store_dwordx2 v[0:1], v[4:5], off
	s_mov_b64 s[0:1], 0
.LBB47_2867:
	s_andn2_b64 vcc, exec, s[0:1]
	s_cbranch_vccnz .LBB47_2869
; %bb.2868:
	v_lshlrev_b32_e32 v4, 16, v7
	global_store_dword v[0:1], v4, off
.LBB47_2869:
	s_mov_b64 s[0:1], 0
.LBB47_2870:
	s_andn2_b64 vcc, exec, s[0:1]
	s_cbranch_vccnz .LBB47_2872
; %bb.2871:
	v_lshlrev_b32_e32 v4, 16, v7
	v_cvt_f16_f32_e32 v4, v4
	global_store_short v[0:1], v4, off
.LBB47_2872:
	s_mov_b64 s[0:1], 0
.LBB47_2873:
	s_andn2_b64 vcc, exec, s[0:1]
	s_cbranch_vccnz .LBB47_2889
; %bb.2874:
	v_mov_b32_e32 v4, 2
	v_cmp_lt_i16_sdwa s[2:3], v2, v4 src0_sel:BYTE_0 src1_sel:DWORD
	s_mov_b64 s[0:1], -1
	s_and_b64 vcc, exec, s[2:3]
	s_cbranch_vccnz .LBB47_2884
; %bb.2875:
	v_mov_b32_e32 v4, 3
	v_cmp_lt_i16_sdwa s[2:3], v2, v4 src0_sel:BYTE_0 src1_sel:DWORD
	s_and_b64 vcc, exec, s[2:3]
	s_cbranch_vccnz .LBB47_2881
; %bb.2876:
	v_cmp_gt_i16_sdwa s[2:3], v2, v4 src0_sel:BYTE_0 src1_sel:DWORD
	s_and_b64 vcc, exec, s[2:3]
	s_cbranch_vccz .LBB47_2878
; %bb.2877:
	v_lshlrev_b32_e32 v4, 16, v7
	v_trunc_f32_e32 v4, v4
	s_mov_b32 s0, 0x2f800000
	v_mul_f32_e64 v5, |v4|, s0
	v_floor_f32_e32 v5, v5
	s_mov_b32 s0, 0xcf800000
	v_cvt_u32_f32_e32 v6, v5
	v_fma_f32 v5, v5, s0, |v4|
	v_cvt_u32_f32_e32 v5, v5
	v_ashrrev_i32_e32 v10, 31, v4
	v_xor_b32_e32 v6, v6, v10
	s_mov_b64 s[0:1], 0
	v_xor_b32_e32 v4, v5, v10
	v_sub_co_u32_e32 v4, vcc, v4, v10
	v_subb_co_u32_e32 v5, vcc, v6, v10, vcc
	global_store_dwordx2 v[0:1], v[4:5], off
.LBB47_2878:
	s_andn2_b64 vcc, exec, s[0:1]
	s_cbranch_vccnz .LBB47_2880
; %bb.2879:
	v_lshlrev_b32_e32 v4, 16, v7
	v_cvt_i32_f32_e32 v4, v4
	global_store_dword v[0:1], v4, off
.LBB47_2880:
	s_mov_b64 s[0:1], 0
.LBB47_2881:
	s_andn2_b64 vcc, exec, s[0:1]
	s_cbranch_vccnz .LBB47_2883
; %bb.2882:
	v_lshlrev_b32_e32 v4, 16, v7
	v_cvt_i32_f32_e32 v4, v4
	global_store_short v[0:1], v4, off
.LBB47_2883:
	s_mov_b64 s[0:1], 0
.LBB47_2884:
	s_andn2_b64 vcc, exec, s[0:1]
	s_cbranch_vccnz .LBB47_2889
; %bb.2885:
	v_mov_b32_e32 v4, 0
	v_cmp_gt_i16_sdwa s[2:3], v2, v4 src0_sel:BYTE_0 src1_sel:DWORD
	s_mov_b64 s[0:1], -1
	s_and_b64 vcc, exec, s[2:3]
	v_lshlrev_b32_e32 v4, 16, v7
	s_cbranch_vccz .LBB47_2887
; %bb.2886:
	v_cvt_i32_f32_e32 v5, v4
	s_mov_b64 s[0:1], 0
	global_store_byte v[0:1], v5, off
.LBB47_2887:
	s_andn2_b64 vcc, exec, s[0:1]
	s_cbranch_vccnz .LBB47_2889
; %bb.2888:
	v_trunc_f32_e32 v4, v4
	s_mov_b32 s0, 0x2f800000
	v_mul_f32_e64 v5, |v4|, s0
	v_floor_f32_e32 v5, v5
	s_mov_b32 s0, 0xcf800000
	v_fma_f32 v5, v5, s0, |v4|
	v_cvt_u32_f32_e32 v5, v5
	v_ashrrev_i32_e32 v4, 31, v4
	v_xor_b32_e32 v5, v5, v4
	v_sub_u32_e32 v4, v5, v4
	global_store_byte v[0:1], v4, off
.LBB47_2889:
	s_mov_b64 s[10:11], -1
.LBB47_2890:
	s_andn2_b64 vcc, exec, s[10:11]
	s_cbranch_vccnz .LBB47_3094
; %bb.2891:
	v_add_u32_e32 v3, s16, v3
	v_ashrrev_i32_e32 v1, 31, v3
	v_mov_b32_e32 v4, s9
	v_add_co_u32_e32 v0, vcc, s8, v3
	v_addc_co_u32_e32 v1, vcc, v4, v1, vcc
	v_mov_b32_e32 v4, 11
	v_cmp_lt_i16_sdwa s[0:1], v2, v4 src0_sel:BYTE_0 src1_sel:DWORD
	s_and_b64 vcc, exec, s[0:1]
	s_cbranch_vccnz .LBB47_2898
; %bb.2892:
	v_mov_b32_e32 v4, 25
	v_cmp_gt_i16_sdwa s[0:1], v2, v4 src0_sel:BYTE_0 src1_sel:DWORD
	s_mov_b64 s[12:13], -1
	s_mov_b64 s[2:3], 0
	s_and_b64 vcc, exec, s[0:1]
	s_mov_b64 s[10:11], 0
	s_mov_b64 s[0:1], 0
	s_cbranch_vccz .LBB47_2934
; %bb.2893:
	v_mov_b32_e32 v4, 28
	v_cmp_gt_i16_sdwa s[0:1], v2, v4 src0_sel:BYTE_0 src1_sel:DWORD
	s_and_b64 vcc, exec, s[0:1]
	s_cbranch_vccz .LBB47_2899
; %bb.2894:
	v_mov_b32_e32 v4, 43
	v_cmp_gt_i16_sdwa s[0:1], v2, v4 src0_sel:BYTE_0 src1_sel:DWORD
	s_and_b64 vcc, exec, s[0:1]
	;; [unrolled: 5-line block ×3, first 2 shown]
	s_cbranch_vccz .LBB47_2906
; %bb.2896:
	v_mov_b32_e32 v4, 46
	v_cmp_eq_u16_sdwa s[10:11], v2, v4 src0_sel:BYTE_0 src1_sel:DWORD
	s_mov_b64 s[0:1], -1
	s_mov_b64 s[12:13], 0
	s_and_b64 vcc, exec, s[10:11]
	s_mov_b64 s[10:11], 0
	s_cbranch_vccz .LBB47_2907
; %bb.2897:
	v_and_b32_e32 v4, 0xffff, v8
	global_store_dword v[0:1], v4, off
	s_mov_b64 s[0:1], 0
	s_mov_b64 s[10:11], -1
	s_branch .LBB47_2907
.LBB47_2898:
	s_mov_b64 s[0:1], -1
	s_mov_b64 s[10:11], 0
	s_branch .LBB47_2978
.LBB47_2899:
	s_mov_b64 s[0:1], 0
	s_branch .LBB47_2917
.LBB47_2900:
	s_or_saveexec_b64 s[14:15], s[14:15]
                                        ; implicit-def: $sgpr17
	s_xor_b64 exec, exec, s[14:15]
	s_cbranch_execz .LBB47_2801
.LBB47_2901:
	s_mov_b32 s17, 0x46000000
	v_add_f32_e64 v5, |v6|, s17
	v_and_b32_e32 v5, 0xff, v5
	v_cmp_ne_u32_e32 vcc, 0, v5
	s_andn2_b64 s[12:13], s[12:13], exec
	s_and_b64 s[20:21], vcc, exec
	s_mov_b32 s17, 0
	s_or_b64 s[12:13], s[12:13], s[20:21]
	s_or_b64 exec, exec, s[14:15]
	v_mov_b32_e32 v10, s17
	s_and_saveexec_b64 s[14:15], s[12:13]
	s_cbranch_execnz .LBB47_2802
	s_branch .LBB47_2803
.LBB47_2902:
	s_mov_b64 s[0:1], 0
	s_branch .LBB47_2913
.LBB47_2903:
	s_trap 2
	s_or_b64 s[18:19], s[18:19], exec
	s_cbranch_execz .LBB47_2849
	s_branch .LBB47_2850
.LBB47_2904:
	s_or_saveexec_b64 s[12:13], s[12:13]
                                        ; implicit-def: $sgpr14
	s_xor_b64 exec, exec, s[12:13]
	s_cbranch_execz .LBB47_2814
.LBB47_2905:
	s_mov_b32 s14, 0x42800000
	v_add_f32_e64 v5, |v6|, s14
	v_and_b32_e32 v5, 0xff, v5
	v_cmp_ne_u32_e32 vcc, 0, v5
	s_andn2_b64 s[10:11], s[10:11], exec
	s_and_b64 s[20:21], vcc, exec
	s_mov_b32 s14, 0
	s_or_b64 s[10:11], s[10:11], s[20:21]
	s_or_b64 exec, exec, s[12:13]
	v_mov_b32_e32 v10, s14
	s_and_saveexec_b64 s[12:13], s[10:11]
	s_cbranch_execnz .LBB47_2815
	s_branch .LBB47_2816
.LBB47_2906:
	s_mov_b64 s[0:1], 0
.LBB47_2907:
	s_and_b64 vcc, exec, s[12:13]
	s_cbranch_vccz .LBB47_2912
; %bb.2908:
	v_mov_b32_e32 v4, 44
	v_cmp_eq_u16_sdwa s[12:13], v2, v4 src0_sel:BYTE_0 src1_sel:DWORD
	s_mov_b64 s[0:1], -1
	s_and_b64 vcc, exec, s[12:13]
	s_cbranch_vccz .LBB47_2912
; %bb.2909:
	v_and_b32_e32 v5, 0xffff, v8
	v_bfe_u32 v4, v5, 7, 8
	s_movk_i32 s0, 0xff
	v_cmp_ne_u32_e32 vcc, s0, v4
	v_mov_b32_e32 v6, 0xff
	s_and_saveexec_b64 s[10:11], vcc
; %bb.2910:
	v_lshlrev_b32_e32 v7, 16, v5
	s_mov_b32 s0, 0x3f0000
	v_lshrrev_b32_e32 v6, 7, v5
	v_and_b32_e32 v5, 64, v5
	v_and_or_b32 v4, v7, s0, v4
	v_cmp_ne_u32_e32 vcc, 0, v5
	v_cmp_ne_u32_e64 s[0:1], 0, v4
	s_and_b64 s[0:1], vcc, s[0:1]
	v_cndmask_b32_e64 v4, 0, 1, s[0:1]
	v_add_u32_e32 v6, v6, v4
; %bb.2911:
	s_or_b64 exec, exec, s[10:11]
	s_mov_b64 s[0:1], 0
	s_mov_b64 s[10:11], -1
	global_store_byte v[0:1], v6, off
.LBB47_2912:
	s_mov_b64 s[12:13], 0
.LBB47_2913:
	s_and_b64 vcc, exec, s[12:13]
	s_cbranch_vccz .LBB47_2916
; %bb.2914:
	v_mov_b32_e32 v4, 29
	v_cmp_eq_u16_sdwa s[12:13], v2, v4 src0_sel:BYTE_0 src1_sel:DWORD
	s_mov_b64 s[0:1], -1
	s_and_b64 vcc, exec, s[12:13]
	s_cbranch_vccz .LBB47_2916
; %bb.2915:
	v_lshlrev_b32_e32 v4, 16, v8
	v_trunc_f32_e32 v4, v4
	v_mul_f32_e32 v5, 0x2f800000, v4
	v_floor_f32_e32 v6, v5
	v_fmac_f32_e32 v4, 0xcf800000, v6
	v_cvt_u32_f32_e32 v5, v6
	v_cvt_u32_f32_e32 v4, v4
	s_mov_b64 s[0:1], 0
	s_mov_b64 s[10:11], -1
	s_mov_b64 s[12:13], 0
	global_store_dwordx2 v[0:1], v[4:5], off
	s_branch .LBB47_2917
.LBB47_2916:
	s_mov_b64 s[12:13], 0
.LBB47_2917:
	s_and_b64 vcc, exec, s[12:13]
	s_cbranch_vccz .LBB47_2933
; %bb.2918:
	v_mov_b32_e32 v4, 27
	v_cmp_lt_i16_sdwa s[12:13], v2, v4 src0_sel:BYTE_0 src1_sel:DWORD
	s_mov_b64 s[10:11], -1
	s_and_b64 vcc, exec, s[12:13]
	s_cbranch_vccnz .LBB47_2924
; %bb.2919:
	v_cmp_gt_i16_sdwa s[12:13], v2, v4 src0_sel:BYTE_0 src1_sel:DWORD
	s_and_b64 vcc, exec, s[12:13]
	s_cbranch_vccz .LBB47_2921
; %bb.2920:
	v_lshlrev_b32_e32 v4, 16, v8
	v_cvt_u32_f32_e32 v4, v4
	s_mov_b64 s[10:11], 0
	global_store_dword v[0:1], v4, off
.LBB47_2921:
	s_andn2_b64 vcc, exec, s[10:11]
	s_cbranch_vccnz .LBB47_2923
; %bb.2922:
	v_lshlrev_b32_e32 v4, 16, v8
	v_cvt_u32_f32_e32 v4, v4
	global_store_short v[0:1], v4, off
.LBB47_2923:
	s_mov_b64 s[10:11], 0
.LBB47_2924:
	s_andn2_b64 vcc, exec, s[10:11]
	s_cbranch_vccnz .LBB47_2932
; %bb.2925:
	v_lshlrev_b32_e32 v6, 16, v8
	v_and_b32_e32 v5, 0x7fffffff, v6
	s_mov_b32 s10, 0x43800000
	v_cmp_gt_u32_e32 vcc, s10, v5
	v_mov_b32_e32 v7, 0x80
	s_and_saveexec_b64 s[10:11], vcc
	s_cbranch_execz .LBB47_2931
; %bb.2926:
	s_mov_b32 s12, 0x3bffffff
	v_and_b32_e32 v4, 0xffff, v8
	v_cmp_lt_u32_e32 vcc, s12, v5
	s_mov_b64 s[12:13], 0
                                        ; implicit-def: $vgpr5
	s_and_saveexec_b64 s[14:15], vcc
	s_xor_b64 s[14:15], exec, s[14:15]
	s_cbranch_execz .LBB47_3096
; %bb.2927:
	v_bfe_u32 v5, v4, 4, 1
	s_mov_b32 s17, 0x487ffff
	v_add3_u32 v5, v6, v5, s17
	s_mov_b64 s[12:13], exec
	v_lshrrev_b32_e32 v5, 20, v5
                                        ; implicit-def: $vgpr6
	s_or_saveexec_b64 s[14:15], s[14:15]
                                        ; implicit-def: $sgpr17
	s_xor_b64 exec, exec, s[14:15]
	s_cbranch_execnz .LBB47_3097
.LBB47_2928:
	s_or_b64 exec, exec, s[14:15]
	v_mov_b32_e32 v7, s17
	s_and_saveexec_b64 s[14:15], s[12:13]
.LBB47_2929:
	v_lshrrev_b32_e32 v4, 8, v4
	s_movk_i32 s12, 0x80
	v_and_or_b32 v7, v4, s12, v5
.LBB47_2930:
	s_or_b64 exec, exec, s[14:15]
.LBB47_2931:
	s_or_b64 exec, exec, s[10:11]
	global_store_byte v[0:1], v7, off
.LBB47_2932:
	s_mov_b64 s[10:11], -1
.LBB47_2933:
	s_mov_b64 s[12:13], 0
.LBB47_2934:
	s_and_b64 vcc, exec, s[12:13]
	s_cbranch_vccz .LBB47_2974
; %bb.2935:
	v_mov_b32_e32 v4, 22
	v_cmp_gt_i16_sdwa s[12:13], v2, v4 src0_sel:BYTE_0 src1_sel:DWORD
	s_mov_b64 s[2:3], -1
	s_and_b64 vcc, exec, s[12:13]
	s_cbranch_vccz .LBB47_2967
; %bb.2936:
	v_mov_b32_e32 v4, 24
	v_cmp_lt_i16_sdwa s[10:11], v2, v4 src0_sel:BYTE_0 src1_sel:DWORD
	s_and_b64 vcc, exec, s[10:11]
	s_cbranch_vccnz .LBB47_2956
; %bb.2937:
	v_cmp_gt_i16_sdwa s[10:11], v2, v4 src0_sel:BYTE_0 src1_sel:DWORD
	s_and_b64 vcc, exec, s[10:11]
	s_cbranch_vccz .LBB47_2945
; %bb.2938:
	v_lshlrev_b32_e32 v6, 16, v8
	v_and_b32_e32 v5, 0x7fffffff, v6
	s_mov_b32 s2, 0x47800000
	v_cmp_gt_u32_e32 vcc, s2, v5
	v_mov_b32_e32 v7, 0x80
	s_and_saveexec_b64 s[2:3], vcc
	s_cbranch_execz .LBB47_2944
; %bb.2939:
	s_mov_b32 s10, 0x37ffffff
	v_and_b32_e32 v4, 0xffff, v8
	v_cmp_lt_u32_e32 vcc, s10, v5
	s_mov_b64 s[10:11], 0
                                        ; implicit-def: $vgpr5
	s_and_saveexec_b64 s[12:13], vcc
	s_xor_b64 s[12:13], exec, s[12:13]
	s_cbranch_execz .LBB47_3099
; %bb.2940:
	v_bfe_u32 v5, v4, 5, 1
	s_mov_b32 s14, 0x88fffff
	v_add3_u32 v5, v6, v5, s14
	s_mov_b64 s[10:11], exec
	v_lshrrev_b32_e32 v5, 21, v5
                                        ; implicit-def: $vgpr6
	s_or_saveexec_b64 s[12:13], s[12:13]
                                        ; implicit-def: $sgpr14
	s_xor_b64 exec, exec, s[12:13]
	s_cbranch_execnz .LBB47_3100
.LBB47_2941:
	s_or_b64 exec, exec, s[12:13]
	v_mov_b32_e32 v7, s14
	s_and_saveexec_b64 s[12:13], s[10:11]
.LBB47_2942:
	v_lshrrev_b32_e32 v4, 8, v4
	s_movk_i32 s10, 0x80
	v_and_or_b32 v7, v4, s10, v5
.LBB47_2943:
	s_or_b64 exec, exec, s[12:13]
.LBB47_2944:
	s_or_b64 exec, exec, s[2:3]
	s_mov_b64 s[2:3], 0
	global_store_byte v[0:1], v7, off
.LBB47_2945:
	s_and_b64 vcc, exec, s[2:3]
	s_cbranch_vccz .LBB47_2955
; %bb.2946:
	v_lshlrev_b32_e32 v6, 16, v8
	v_and_b32_e32 v7, 0x7fffffff, v6
	s_mov_b32 s2, 0x43f00000
	v_and_b32_e32 v4, 0xffff, v8
	v_cmp_gt_u32_e32 vcc, s2, v7
                                        ; implicit-def: $vgpr5
	s_and_saveexec_b64 s[2:3], vcc
	s_xor_b64 s[2:3], exec, s[2:3]
	s_cbranch_execz .LBB47_2952
; %bb.2947:
	s_mov_b32 s10, 0x3c7fffff
	v_cmp_lt_u32_e32 vcc, s10, v7
                                        ; implicit-def: $vgpr5
	s_and_saveexec_b64 s[10:11], vcc
	s_xor_b64 s[10:11], exec, s[10:11]
; %bb.2948:
	v_bfe_u32 v5, v4, 4, 1
	s_mov_b32 s12, 0x407ffff
	v_add3_u32 v5, v6, v5, s12
	v_lshrrev_b32_e32 v6, 20, v5
	v_and_b32_e32 v5, 0xff00000, v5
	s_mov_b32 s12, 0x7f00000
	v_mov_b32_e32 v7, 0x7e
	v_cmp_ne_u32_e32 vcc, s12, v5
	v_cndmask_b32_e32 v5, v7, v6, vcc
                                        ; implicit-def: $vgpr6
; %bb.2949:
	s_andn2_saveexec_b64 s[10:11], s[10:11]
; %bb.2950:
	s_mov_b32 s12, 0x46800000
	v_add_f32_e64 v5, |v6|, s12
; %bb.2951:
	s_or_b64 exec, exec, s[10:11]
                                        ; implicit-def: $vgpr7
.LBB47_2952:
	s_andn2_saveexec_b64 s[2:3], s[2:3]
; %bb.2953:
	s_mov_b32 s10, 0x7f800000
	v_mov_b32_e32 v5, 0x7e
	v_mov_b32_e32 v6, 0x7f
	v_cmp_lt_u32_e32 vcc, s10, v7
	v_cndmask_b32_e32 v5, v5, v6, vcc
; %bb.2954:
	s_or_b64 exec, exec, s[2:3]
	v_lshrrev_b32_e32 v4, 8, v4
	s_movk_i32 s2, 0x80
	v_and_or_b32 v4, v4, s2, v5
	global_store_byte v[0:1], v4, off
.LBB47_2955:
	s_mov_b64 s[2:3], 0
.LBB47_2956:
	s_andn2_b64 vcc, exec, s[2:3]
	s_cbranch_vccnz .LBB47_2966
; %bb.2957:
	v_lshlrev_b32_e32 v6, 16, v8
	v_and_b32_e32 v7, 0x7fffffff, v6
	s_mov_b32 s2, 0x47800000
	v_and_b32_e32 v4, 0xffff, v8
	v_cmp_gt_u32_e32 vcc, s2, v7
                                        ; implicit-def: $vgpr5
	s_and_saveexec_b64 s[2:3], vcc
	s_xor_b64 s[2:3], exec, s[2:3]
	s_cbranch_execz .LBB47_2963
; %bb.2958:
	s_mov_b32 s10, 0x387fffff
	v_cmp_lt_u32_e32 vcc, s10, v7
                                        ; implicit-def: $vgpr5
	s_and_saveexec_b64 s[10:11], vcc
	s_xor_b64 s[10:11], exec, s[10:11]
; %bb.2959:
	v_bfe_u32 v5, v4, 5, 1
	s_mov_b32 s12, 0x80fffff
	v_add3_u32 v5, v6, v5, s12
	v_lshrrev_b32_e32 v5, 21, v5
                                        ; implicit-def: $vgpr6
; %bb.2960:
	s_andn2_saveexec_b64 s[10:11], s[10:11]
; %bb.2961:
	s_mov_b32 s12, 0x43000000
	v_add_f32_e64 v5, |v6|, s12
; %bb.2962:
	s_or_b64 exec, exec, s[10:11]
                                        ; implicit-def: $vgpr7
.LBB47_2963:
	s_andn2_saveexec_b64 s[2:3], s[2:3]
; %bb.2964:
	s_mov_b32 s10, 0x7f800000
	v_mov_b32_e32 v5, 0x7c
	v_mov_b32_e32 v6, 0x7f
	v_cmp_lt_u32_e32 vcc, s10, v7
	v_cndmask_b32_e32 v5, v5, v6, vcc
; %bb.2965:
	s_or_b64 exec, exec, s[2:3]
	v_lshrrev_b32_e32 v4, 8, v4
	s_movk_i32 s2, 0x80
	v_and_or_b32 v4, v4, s2, v5
	global_store_byte v[0:1], v4, off
.LBB47_2966:
	s_mov_b64 s[2:3], 0
	s_mov_b64 s[10:11], -1
.LBB47_2967:
	s_andn2_b64 vcc, exec, s[2:3]
	s_mov_b64 s[2:3], 0
	s_cbranch_vccnz .LBB47_2974
; %bb.2968:
	v_mov_b32_e32 v4, 14
	v_cmp_gt_i16_sdwa s[2:3], v2, v4 src0_sel:BYTE_0 src1_sel:DWORD
	s_mov_b64 s[12:13], -1
	s_and_b64 vcc, exec, s[2:3]
	s_cbranch_vccz .LBB47_2972
; %bb.2969:
	v_mov_b32_e32 v4, 15
	v_cmp_eq_u16_sdwa s[2:3], v2, v4 src0_sel:BYTE_0 src1_sel:DWORD
	s_mov_b64 s[0:1], -1
	s_and_b64 vcc, exec, s[2:3]
	s_cbranch_vccz .LBB47_2971
; %bb.2970:
	global_store_short v[0:1], v8, off
	s_mov_b64 s[0:1], 0
	s_mov_b64 s[10:11], -1
.LBB47_2971:
	s_mov_b64 s[12:13], 0
.LBB47_2972:
	s_mov_b64 s[2:3], 0
	s_and_b64 vcc, exec, s[12:13]
	s_cbranch_vccz .LBB47_2974
; %bb.2973:
	v_mov_b32_e32 v4, 11
	v_cmp_ne_u16_sdwa s[0:1], v2, v4 src0_sel:BYTE_0 src1_sel:DWORD
	s_mov_b64 s[2:3], -1
.LBB47_2974:
	s_and_b64 vcc, exec, s[0:1]
	s_cbranch_vccnz .LBB47_3098
; %bb.2975:
	s_andn2_b64 vcc, exec, s[2:3]
	s_cbranch_vccnz .LBB47_2977
.LBB47_2976:
	v_and_b32_e32 v4, 0x7fff, v8
	v_cmp_ne_u16_e32 vcc, 0, v4
	v_cndmask_b32_e64 v4, 0, 1, vcc
	s_mov_b64 s[10:11], -1
	global_store_byte v[0:1], v4, off
.LBB47_2977:
	s_mov_b64 s[0:1], 0
.LBB47_2978:
	s_and_b64 vcc, exec, s[0:1]
	s_cbranch_vccz .LBB47_3017
; %bb.2979:
	v_mov_b32_e32 v4, 5
	v_cmp_lt_i16_sdwa s[2:3], v2, v4 src0_sel:BYTE_0 src1_sel:DWORD
	s_mov_b64 s[0:1], -1
	s_and_b64 vcc, exec, s[2:3]
	s_cbranch_vccnz .LBB47_3000
; %bb.2980:
	v_mov_b32_e32 v4, 8
	v_cmp_lt_i16_sdwa s[2:3], v2, v4 src0_sel:BYTE_0 src1_sel:DWORD
	s_and_b64 vcc, exec, s[2:3]
	s_cbranch_vccnz .LBB47_2990
; %bb.2981:
	v_mov_b32_e32 v4, 9
	v_cmp_lt_i16_sdwa s[2:3], v2, v4 src0_sel:BYTE_0 src1_sel:DWORD
	s_and_b64 vcc, exec, s[2:3]
	s_cbranch_vccnz .LBB47_2987
; %bb.2982:
	v_cmp_gt_i16_sdwa s[2:3], v2, v4 src0_sel:BYTE_0 src1_sel:DWORD
	s_and_b64 vcc, exec, s[2:3]
	s_cbranch_vccz .LBB47_2984
; %bb.2983:
	v_lshlrev_b32_e32 v4, 16, v8
	v_mov_b32_e32 v6, 0
	v_cvt_f64_f32_e32 v[4:5], v4
	v_mov_b32_e32 v7, v6
	global_store_dwordx4 v[0:1], v[4:7], off
	s_mov_b64 s[0:1], 0
.LBB47_2984:
	s_andn2_b64 vcc, exec, s[0:1]
	s_cbranch_vccnz .LBB47_2986
; %bb.2985:
	v_lshlrev_b32_e32 v4, 16, v8
	v_mov_b32_e32 v5, 0
	global_store_dwordx2 v[0:1], v[4:5], off
.LBB47_2986:
	s_mov_b64 s[0:1], 0
.LBB47_2987:
	s_andn2_b64 vcc, exec, s[0:1]
	s_cbranch_vccnz .LBB47_2989
; %bb.2988:
	v_lshlrev_b32_e32 v4, 16, v8
	v_cvt_f16_f32_e32 v4, v4
	global_store_dword v[0:1], v4, off
.LBB47_2989:
	s_mov_b64 s[0:1], 0
.LBB47_2990:
	s_andn2_b64 vcc, exec, s[0:1]
	s_cbranch_vccnz .LBB47_2999
; %bb.2991:
	v_mov_b32_e32 v4, 6
	v_cmp_lt_i16_sdwa s[2:3], v2, v4 src0_sel:BYTE_0 src1_sel:DWORD
	s_mov_b64 s[0:1], -1
	s_and_b64 vcc, exec, s[2:3]
	s_cbranch_vccnz .LBB47_2997
; %bb.2992:
	v_cmp_gt_i16_sdwa s[2:3], v2, v4 src0_sel:BYTE_0 src1_sel:DWORD
	s_and_b64 vcc, exec, s[2:3]
	s_cbranch_vccz .LBB47_2994
; %bb.2993:
	v_lshlrev_b32_e32 v4, 16, v8
	v_cvt_f64_f32_e32 v[4:5], v4
	global_store_dwordx2 v[0:1], v[4:5], off
	s_mov_b64 s[0:1], 0
.LBB47_2994:
	s_andn2_b64 vcc, exec, s[0:1]
	s_cbranch_vccnz .LBB47_2996
; %bb.2995:
	v_lshlrev_b32_e32 v4, 16, v8
	global_store_dword v[0:1], v4, off
.LBB47_2996:
	s_mov_b64 s[0:1], 0
.LBB47_2997:
	s_andn2_b64 vcc, exec, s[0:1]
	s_cbranch_vccnz .LBB47_2999
; %bb.2998:
	v_lshlrev_b32_e32 v4, 16, v8
	v_cvt_f16_f32_e32 v4, v4
	global_store_short v[0:1], v4, off
.LBB47_2999:
	s_mov_b64 s[0:1], 0
.LBB47_3000:
	s_andn2_b64 vcc, exec, s[0:1]
	s_cbranch_vccnz .LBB47_3016
; %bb.3001:
	v_mov_b32_e32 v4, 2
	v_cmp_lt_i16_sdwa s[2:3], v2, v4 src0_sel:BYTE_0 src1_sel:DWORD
	s_mov_b64 s[0:1], -1
	s_and_b64 vcc, exec, s[2:3]
	s_cbranch_vccnz .LBB47_3011
; %bb.3002:
	v_mov_b32_e32 v4, 3
	v_cmp_lt_i16_sdwa s[2:3], v2, v4 src0_sel:BYTE_0 src1_sel:DWORD
	s_and_b64 vcc, exec, s[2:3]
	s_cbranch_vccnz .LBB47_3008
; %bb.3003:
	v_cmp_gt_i16_sdwa s[2:3], v2, v4 src0_sel:BYTE_0 src1_sel:DWORD
	s_and_b64 vcc, exec, s[2:3]
	s_cbranch_vccz .LBB47_3005
; %bb.3004:
	v_lshlrev_b32_e32 v4, 16, v8
	v_trunc_f32_e32 v4, v4
	s_mov_b32 s0, 0x2f800000
	v_mul_f32_e64 v5, |v4|, s0
	v_floor_f32_e32 v5, v5
	s_mov_b32 s0, 0xcf800000
	v_cvt_u32_f32_e32 v6, v5
	v_fma_f32 v5, v5, s0, |v4|
	v_cvt_u32_f32_e32 v5, v5
	v_ashrrev_i32_e32 v7, 31, v4
	v_xor_b32_e32 v6, v6, v7
	s_mov_b64 s[0:1], 0
	v_xor_b32_e32 v4, v5, v7
	v_sub_co_u32_e32 v4, vcc, v4, v7
	v_subb_co_u32_e32 v5, vcc, v6, v7, vcc
	global_store_dwordx2 v[0:1], v[4:5], off
.LBB47_3005:
	s_andn2_b64 vcc, exec, s[0:1]
	s_cbranch_vccnz .LBB47_3007
; %bb.3006:
	v_lshlrev_b32_e32 v4, 16, v8
	v_cvt_i32_f32_e32 v4, v4
	global_store_dword v[0:1], v4, off
.LBB47_3007:
	s_mov_b64 s[0:1], 0
.LBB47_3008:
	s_andn2_b64 vcc, exec, s[0:1]
	s_cbranch_vccnz .LBB47_3010
; %bb.3009:
	v_lshlrev_b32_e32 v4, 16, v8
	v_cvt_i32_f32_e32 v4, v4
	global_store_short v[0:1], v4, off
.LBB47_3010:
	s_mov_b64 s[0:1], 0
.LBB47_3011:
	s_andn2_b64 vcc, exec, s[0:1]
	s_cbranch_vccnz .LBB47_3016
; %bb.3012:
	v_mov_b32_e32 v4, 0
	v_cmp_gt_i16_sdwa s[2:3], v2, v4 src0_sel:BYTE_0 src1_sel:DWORD
	s_mov_b64 s[0:1], -1
	s_and_b64 vcc, exec, s[2:3]
	v_lshlrev_b32_e32 v4, 16, v8
	s_cbranch_vccz .LBB47_3014
; %bb.3013:
	v_cvt_i32_f32_e32 v5, v4
	s_mov_b64 s[0:1], 0
	global_store_byte v[0:1], v5, off
.LBB47_3014:
	s_andn2_b64 vcc, exec, s[0:1]
	s_cbranch_vccnz .LBB47_3016
; %bb.3015:
	v_trunc_f32_e32 v4, v4
	s_mov_b32 s0, 0x2f800000
	v_mul_f32_e64 v5, |v4|, s0
	v_floor_f32_e32 v5, v5
	s_mov_b32 s0, 0xcf800000
	v_fma_f32 v5, v5, s0, |v4|
	v_cvt_u32_f32_e32 v5, v5
	v_ashrrev_i32_e32 v4, 31, v4
	v_xor_b32_e32 v5, v5, v4
	v_sub_u32_e32 v4, v5, v4
	global_store_byte v[0:1], v4, off
.LBB47_3016:
	s_mov_b64 s[10:11], -1
.LBB47_3017:
	s_andn2_b64 vcc, exec, s[10:11]
	s_cbranch_vccnz .LBB47_3094
; %bb.3018:
	v_add_u32_e32 v0, s16, v3
	v_ashrrev_i32_e32 v1, 31, v0
	v_mov_b32_e32 v3, s9
	v_add_co_u32_e32 v0, vcc, s8, v0
	v_addc_co_u32_e32 v1, vcc, v3, v1, vcc
	v_and_b32_e32 v6, 0xff, v2
	v_cmp_gt_i16_e32 vcc, 11, v6
	s_cbranch_vccnz .LBB47_3095
; %bb.3019:
	v_cmp_lt_i16_e32 vcc, 25, v6
	s_mov_b64 s[8:9], -1
	s_mov_b64 s[2:3], 0
	s_mov_b64 s[0:1], 0
	s_cbranch_vccz .LBB47_3052
; %bb.3020:
	v_cmp_lt_i16_e32 vcc, 28, v6
	s_cbranch_vccz .LBB47_3036
; %bb.3021:
	v_cmp_lt_i16_e32 vcc, 43, v6
	;; [unrolled: 3-line block ×3, first 2 shown]
	s_cbranch_vccz .LBB47_3026
; %bb.3023:
	v_cmp_eq_u16_e32 vcc, 46, v6
	s_mov_b64 s[0:1], -1
	s_cbranch_vccz .LBB47_3025
; %bb.3024:
	v_and_b32_e32 v2, 0xffff, v9
	global_store_dword v[0:1], v2, off
	s_mov_b64 s[0:1], 0
.LBB47_3025:
	s_mov_b64 s[8:9], 0
.LBB47_3026:
	s_and_b64 vcc, exec, s[8:9]
	s_cbranch_vccz .LBB47_3031
; %bb.3027:
	v_cmp_eq_u16_e32 vcc, 44, v6
	s_mov_b64 s[0:1], -1
	s_cbranch_vccz .LBB47_3031
; %bb.3028:
	v_and_b32_e32 v3, 0xffff, v9
	v_bfe_u32 v2, v3, 7, 8
	s_movk_i32 s0, 0xff
	v_cmp_ne_u32_e32 vcc, s0, v2
	v_mov_b32_e32 v4, 0xff
	s_and_saveexec_b64 s[8:9], vcc
; %bb.3029:
	v_lshlrev_b32_e32 v5, 16, v3
	s_mov_b32 s0, 0x3f0000
	v_lshrrev_b32_e32 v4, 7, v3
	v_and_b32_e32 v3, 64, v3
	v_and_or_b32 v2, v5, s0, v2
	v_cmp_ne_u32_e32 vcc, 0, v3
	v_cmp_ne_u32_e64 s[0:1], 0, v2
	s_and_b64 s[0:1], vcc, s[0:1]
	v_cndmask_b32_e64 v2, 0, 1, s[0:1]
	v_add_u32_e32 v4, v4, v2
; %bb.3030:
	s_or_b64 exec, exec, s[8:9]
	s_mov_b64 s[0:1], 0
	global_store_byte v[0:1], v4, off
.LBB47_3031:
	s_mov_b64 s[8:9], 0
.LBB47_3032:
	s_and_b64 vcc, exec, s[8:9]
	s_cbranch_vccz .LBB47_3035
; %bb.3033:
	v_cmp_eq_u16_e32 vcc, 29, v6
	s_mov_b64 s[0:1], -1
	s_cbranch_vccz .LBB47_3035
; %bb.3034:
	v_lshlrev_b32_e32 v2, 16, v9
	v_trunc_f32_e32 v2, v2
	v_mul_f32_e32 v3, 0x2f800000, v2
	v_floor_f32_e32 v4, v3
	v_fmac_f32_e32 v2, 0xcf800000, v4
	v_cvt_u32_f32_e32 v3, v4
	v_cvt_u32_f32_e32 v2, v2
	s_mov_b64 s[0:1], 0
	global_store_dwordx2 v[0:1], v[2:3], off
.LBB47_3035:
	s_mov_b64 s[8:9], 0
.LBB47_3036:
	s_and_b64 vcc, exec, s[8:9]
	s_cbranch_vccz .LBB47_3051
; %bb.3037:
	v_cmp_gt_i16_e32 vcc, 27, v6
	s_mov_b64 s[8:9], -1
	s_cbranch_vccnz .LBB47_3043
; %bb.3038:
	v_cmp_lt_i16_e32 vcc, 27, v6
	s_cbranch_vccz .LBB47_3040
; %bb.3039:
	v_lshlrev_b32_e32 v2, 16, v9
	v_cvt_u32_f32_e32 v2, v2
	s_mov_b64 s[8:9], 0
	global_store_dword v[0:1], v2, off
.LBB47_3040:
	s_andn2_b64 vcc, exec, s[8:9]
	s_cbranch_vccnz .LBB47_3042
; %bb.3041:
	v_lshlrev_b32_e32 v2, 16, v9
	v_cvt_u32_f32_e32 v2, v2
	global_store_short v[0:1], v2, off
.LBB47_3042:
	s_mov_b64 s[8:9], 0
.LBB47_3043:
	s_andn2_b64 vcc, exec, s[8:9]
	s_cbranch_vccnz .LBB47_3051
; %bb.3044:
	v_lshlrev_b32_e32 v4, 16, v9
	v_and_b32_e32 v3, 0x7fffffff, v4
	s_mov_b32 s8, 0x43800000
	v_cmp_gt_u32_e32 vcc, s8, v3
	v_mov_b32_e32 v5, 0x80
	s_and_saveexec_b64 s[8:9], vcc
	s_cbranch_execz .LBB47_3050
; %bb.3045:
	s_mov_b32 s10, 0x3bffffff
	v_and_b32_e32 v2, 0xffff, v9
	v_cmp_lt_u32_e32 vcc, s10, v3
	s_mov_b64 s[10:11], 0
                                        ; implicit-def: $vgpr3
	s_and_saveexec_b64 s[12:13], vcc
	s_xor_b64 s[12:13], exec, s[12:13]
	s_cbranch_execz .LBB47_3101
; %bb.3046:
	v_bfe_u32 v3, v2, 4, 1
	s_mov_b32 s14, 0x487ffff
	v_add3_u32 v3, v4, v3, s14
	s_mov_b64 s[10:11], exec
	v_lshrrev_b32_e32 v3, 20, v3
                                        ; implicit-def: $vgpr4
	s_or_saveexec_b64 s[12:13], s[12:13]
                                        ; implicit-def: $sgpr14
	s_xor_b64 exec, exec, s[12:13]
	s_cbranch_execnz .LBB47_3102
.LBB47_3047:
	s_or_b64 exec, exec, s[12:13]
	v_mov_b32_e32 v5, s14
	s_and_saveexec_b64 s[12:13], s[10:11]
.LBB47_3048:
	v_lshrrev_b32_e32 v2, 8, v2
	s_movk_i32 s10, 0x80
	v_and_or_b32 v5, v2, s10, v3
.LBB47_3049:
	s_or_b64 exec, exec, s[12:13]
.LBB47_3050:
	s_or_b64 exec, exec, s[8:9]
	global_store_byte v[0:1], v5, off
.LBB47_3051:
	s_mov_b64 s[8:9], 0
.LBB47_3052:
	s_and_b64 vcc, exec, s[8:9]
	s_cbranch_vccz .LBB47_3092
; %bb.3053:
	v_cmp_lt_i16_e32 vcc, 22, v6
	s_mov_b64 s[2:3], -1
	s_cbranch_vccz .LBB47_3085
; %bb.3054:
	v_cmp_gt_i16_e32 vcc, 24, v6
	s_cbranch_vccnz .LBB47_3074
; %bb.3055:
	v_cmp_lt_i16_e32 vcc, 24, v6
	s_cbranch_vccz .LBB47_3063
; %bb.3056:
	v_lshlrev_b32_e32 v4, 16, v9
	v_and_b32_e32 v3, 0x7fffffff, v4
	s_mov_b32 s2, 0x47800000
	v_cmp_gt_u32_e32 vcc, s2, v3
	v_mov_b32_e32 v5, 0x80
	s_and_saveexec_b64 s[2:3], vcc
	s_cbranch_execz .LBB47_3062
; %bb.3057:
	s_mov_b32 s8, 0x37ffffff
	v_and_b32_e32 v2, 0xffff, v9
	v_cmp_lt_u32_e32 vcc, s8, v3
	s_mov_b64 s[8:9], 0
                                        ; implicit-def: $vgpr3
	s_and_saveexec_b64 s[10:11], vcc
	s_xor_b64 s[10:11], exec, s[10:11]
	s_cbranch_execz .LBB47_3104
; %bb.3058:
	v_bfe_u32 v3, v2, 5, 1
	s_mov_b32 s12, 0x88fffff
	v_add3_u32 v3, v4, v3, s12
	s_mov_b64 s[8:9], exec
	v_lshrrev_b32_e32 v3, 21, v3
                                        ; implicit-def: $vgpr4
	s_or_saveexec_b64 s[10:11], s[10:11]
                                        ; implicit-def: $sgpr12
	s_xor_b64 exec, exec, s[10:11]
	s_cbranch_execnz .LBB47_3105
.LBB47_3059:
	s_or_b64 exec, exec, s[10:11]
	v_mov_b32_e32 v5, s12
	s_and_saveexec_b64 s[10:11], s[8:9]
.LBB47_3060:
	v_lshrrev_b32_e32 v2, 8, v2
	s_movk_i32 s8, 0x80
	v_and_or_b32 v5, v2, s8, v3
.LBB47_3061:
	s_or_b64 exec, exec, s[10:11]
.LBB47_3062:
	s_or_b64 exec, exec, s[2:3]
	s_mov_b64 s[2:3], 0
	global_store_byte v[0:1], v5, off
.LBB47_3063:
	s_and_b64 vcc, exec, s[2:3]
	s_cbranch_vccz .LBB47_3073
; %bb.3064:
	v_lshlrev_b32_e32 v4, 16, v9
	v_and_b32_e32 v5, 0x7fffffff, v4
	s_mov_b32 s2, 0x43f00000
	v_and_b32_e32 v2, 0xffff, v9
	v_cmp_gt_u32_e32 vcc, s2, v5
                                        ; implicit-def: $vgpr3
	s_and_saveexec_b64 s[2:3], vcc
	s_xor_b64 s[2:3], exec, s[2:3]
	s_cbranch_execz .LBB47_3070
; %bb.3065:
	s_mov_b32 s8, 0x3c7fffff
	v_cmp_lt_u32_e32 vcc, s8, v5
                                        ; implicit-def: $vgpr3
	s_and_saveexec_b64 s[8:9], vcc
	s_xor_b64 s[8:9], exec, s[8:9]
; %bb.3066:
	v_bfe_u32 v3, v2, 4, 1
	s_mov_b32 s10, 0x407ffff
	v_add3_u32 v3, v4, v3, s10
	v_lshrrev_b32_e32 v4, 20, v3
	v_and_b32_e32 v3, 0xff00000, v3
	s_mov_b32 s10, 0x7f00000
	v_mov_b32_e32 v5, 0x7e
	v_cmp_ne_u32_e32 vcc, s10, v3
	v_cndmask_b32_e32 v3, v5, v4, vcc
                                        ; implicit-def: $vgpr4
; %bb.3067:
	s_andn2_saveexec_b64 s[8:9], s[8:9]
; %bb.3068:
	s_mov_b32 s10, 0x46800000
	v_add_f32_e64 v3, |v4|, s10
; %bb.3069:
	s_or_b64 exec, exec, s[8:9]
                                        ; implicit-def: $vgpr5
.LBB47_3070:
	s_andn2_saveexec_b64 s[2:3], s[2:3]
; %bb.3071:
	s_mov_b32 s8, 0x7f800000
	v_mov_b32_e32 v3, 0x7e
	v_mov_b32_e32 v4, 0x7f
	v_cmp_lt_u32_e32 vcc, s8, v5
	v_cndmask_b32_e32 v3, v3, v4, vcc
; %bb.3072:
	s_or_b64 exec, exec, s[2:3]
	v_lshrrev_b32_e32 v2, 8, v2
	s_movk_i32 s2, 0x80
	v_and_or_b32 v2, v2, s2, v3
	global_store_byte v[0:1], v2, off
.LBB47_3073:
	s_mov_b64 s[2:3], 0
.LBB47_3074:
	s_andn2_b64 vcc, exec, s[2:3]
	s_cbranch_vccnz .LBB47_3084
; %bb.3075:
	v_lshlrev_b32_e32 v4, 16, v9
	v_and_b32_e32 v5, 0x7fffffff, v4
	s_mov_b32 s2, 0x47800000
	v_and_b32_e32 v2, 0xffff, v9
	v_cmp_gt_u32_e32 vcc, s2, v5
                                        ; implicit-def: $vgpr3
	s_and_saveexec_b64 s[2:3], vcc
	s_xor_b64 s[2:3], exec, s[2:3]
	s_cbranch_execz .LBB47_3081
; %bb.3076:
	s_mov_b32 s8, 0x387fffff
	v_cmp_lt_u32_e32 vcc, s8, v5
                                        ; implicit-def: $vgpr3
	s_and_saveexec_b64 s[8:9], vcc
	s_xor_b64 s[8:9], exec, s[8:9]
; %bb.3077:
	v_bfe_u32 v3, v2, 5, 1
	s_mov_b32 s10, 0x80fffff
	v_add3_u32 v3, v4, v3, s10
	v_lshrrev_b32_e32 v3, 21, v3
                                        ; implicit-def: $vgpr4
; %bb.3078:
	s_andn2_saveexec_b64 s[8:9], s[8:9]
; %bb.3079:
	s_mov_b32 s10, 0x43000000
	v_add_f32_e64 v3, |v4|, s10
; %bb.3080:
	s_or_b64 exec, exec, s[8:9]
                                        ; implicit-def: $vgpr5
.LBB47_3081:
	s_andn2_saveexec_b64 s[2:3], s[2:3]
; %bb.3082:
	s_mov_b32 s8, 0x7f800000
	v_mov_b32_e32 v3, 0x7c
	v_mov_b32_e32 v4, 0x7f
	v_cmp_lt_u32_e32 vcc, s8, v5
	v_cndmask_b32_e32 v3, v3, v4, vcc
; %bb.3083:
	s_or_b64 exec, exec, s[2:3]
	v_lshrrev_b32_e32 v2, 8, v2
	s_movk_i32 s2, 0x80
	v_and_or_b32 v2, v2, s2, v3
	global_store_byte v[0:1], v2, off
.LBB47_3084:
	s_mov_b64 s[2:3], 0
.LBB47_3085:
	s_andn2_b64 vcc, exec, s[2:3]
	s_mov_b64 s[2:3], 0
	s_cbranch_vccnz .LBB47_3092
; %bb.3086:
	v_cmp_lt_i16_e32 vcc, 14, v6
	s_mov_b64 s[8:9], -1
	s_cbranch_vccz .LBB47_3090
; %bb.3087:
	v_cmp_eq_u16_e32 vcc, 15, v6
	s_mov_b64 s[0:1], -1
	s_cbranch_vccz .LBB47_3089
; %bb.3088:
	global_store_short v[0:1], v9, off
	s_mov_b64 s[0:1], 0
.LBB47_3089:
	s_mov_b64 s[8:9], 0
.LBB47_3090:
	s_and_b64 vcc, exec, s[8:9]
	s_cbranch_vccz .LBB47_3092
; %bb.3091:
	v_cmp_ne_u16_e64 s[0:1], 11, v6
	s_mov_b64 s[2:3], -1
.LBB47_3092:
	s_and_b64 vcc, exec, s[0:1]
	s_cbranch_vccnz .LBB47_3103
.LBB47_3093:
	s_mov_b64 s[0:1], 0
	s_branch .LBB47_2604
.LBB47_3094:
	s_mov_b64 s[0:1], 0
                                        ; implicit-def: $vgpr6
                                        ; implicit-def: $vgpr0_vgpr1
	s_branch .LBB47_2603
.LBB47_3095:
	s_mov_b64 s[2:3], 0
	s_mov_b64 s[0:1], -1
	s_branch .LBB47_2604
.LBB47_3096:
	s_or_saveexec_b64 s[14:15], s[14:15]
                                        ; implicit-def: $sgpr17
	s_xor_b64 exec, exec, s[14:15]
	s_cbranch_execz .LBB47_2928
.LBB47_3097:
	s_mov_b32 s17, 0x46000000
	v_add_f32_e64 v5, |v6|, s17
	v_and_b32_e32 v5, 0xff, v5
	v_cmp_ne_u32_e32 vcc, 0, v5
	s_andn2_b64 s[12:13], s[12:13], exec
	s_and_b64 s[20:21], vcc, exec
	s_mov_b32 s17, 0
	s_or_b64 s[12:13], s[12:13], s[20:21]
	s_or_b64 exec, exec, s[14:15]
	v_mov_b32_e32 v7, s17
	s_and_saveexec_b64 s[14:15], s[12:13]
	s_cbranch_execnz .LBB47_2929
	s_branch .LBB47_2930
.LBB47_3098:
	s_trap 2
	s_or_b64 s[18:19], s[18:19], exec
	s_cbranch_execz .LBB47_2976
	s_branch .LBB47_2977
.LBB47_3099:
	s_or_saveexec_b64 s[12:13], s[12:13]
                                        ; implicit-def: $sgpr14
	s_xor_b64 exec, exec, s[12:13]
	s_cbranch_execz .LBB47_2941
.LBB47_3100:
	s_mov_b32 s14, 0x42800000
	v_add_f32_e64 v5, |v6|, s14
	v_and_b32_e32 v5, 0xff, v5
	v_cmp_ne_u32_e32 vcc, 0, v5
	s_andn2_b64 s[10:11], s[10:11], exec
	s_and_b64 s[20:21], vcc, exec
	s_mov_b32 s14, 0
	s_or_b64 s[10:11], s[10:11], s[20:21]
	s_or_b64 exec, exec, s[12:13]
	v_mov_b32_e32 v7, s14
	s_and_saveexec_b64 s[12:13], s[10:11]
	s_cbranch_execnz .LBB47_2942
	s_branch .LBB47_2943
.LBB47_3101:
	s_or_saveexec_b64 s[12:13], s[12:13]
                                        ; implicit-def: $sgpr14
	s_xor_b64 exec, exec, s[12:13]
	s_cbranch_execz .LBB47_3047
.LBB47_3102:
	s_mov_b32 s14, 0x46000000
	v_add_f32_e64 v3, |v4|, s14
	v_and_b32_e32 v3, 0xff, v3
	v_cmp_ne_u32_e32 vcc, 0, v3
	s_andn2_b64 s[10:11], s[10:11], exec
	s_and_b64 s[16:17], vcc, exec
	s_mov_b32 s14, 0
	s_or_b64 s[10:11], s[10:11], s[16:17]
	s_or_b64 exec, exec, s[12:13]
	v_mov_b32_e32 v5, s14
	s_and_saveexec_b64 s[12:13], s[10:11]
	s_cbranch_execnz .LBB47_3048
	s_branch .LBB47_3049
.LBB47_3103:
	s_mov_b64 s[2:3], 0
	s_or_b64 s[18:19], s[18:19], exec
	s_trap 2
	s_branch .LBB47_3093
.LBB47_3104:
	s_or_saveexec_b64 s[10:11], s[10:11]
                                        ; implicit-def: $sgpr12
	s_xor_b64 exec, exec, s[10:11]
	s_cbranch_execz .LBB47_3059
.LBB47_3105:
	s_mov_b32 s12, 0x42800000
	v_add_f32_e64 v3, |v4|, s12
	v_and_b32_e32 v3, 0xff, v3
	v_cmp_ne_u32_e32 vcc, 0, v3
	s_andn2_b64 s[8:9], s[8:9], exec
	s_and_b64 s[14:15], vcc, exec
	s_mov_b32 s12, 0
	s_or_b64 s[8:9], s[8:9], s[14:15]
	s_or_b64 exec, exec, s[10:11]
	v_mov_b32_e32 v5, s12
	s_and_saveexec_b64 s[10:11], s[8:9]
	s_cbranch_execnz .LBB47_3060
	s_branch .LBB47_3061
	.section	.rodata,"a",@progbits
	.p2align	6, 0x0
	.amdhsa_kernel _ZN2at6native32elementwise_kernel_manual_unrollILi128ELi4EZNS0_15gpu_kernel_implIZZZNS0_12prelu_kernelERNS_14TensorIteratorEENKUlvE_clEvENKUlvE1_clEvEUlN3c108BFloat16ES8_E_EEvRNS_18TensorIteratorBaseERKT_EUlibE_EEviT1_
		.amdhsa_group_segment_fixed_size 0
		.amdhsa_private_segment_fixed_size 0
		.amdhsa_kernarg_size 48
		.amdhsa_user_sgpr_count 6
		.amdhsa_user_sgpr_private_segment_buffer 1
		.amdhsa_user_sgpr_dispatch_ptr 0
		.amdhsa_user_sgpr_queue_ptr 0
		.amdhsa_user_sgpr_kernarg_segment_ptr 1
		.amdhsa_user_sgpr_dispatch_id 0
		.amdhsa_user_sgpr_flat_scratch_init 0
		.amdhsa_user_sgpr_kernarg_preload_length 0
		.amdhsa_user_sgpr_kernarg_preload_offset 0
		.amdhsa_user_sgpr_private_segment_size 0
		.amdhsa_uses_dynamic_stack 0
		.amdhsa_system_sgpr_private_segment_wavefront_offset 0
		.amdhsa_system_sgpr_workgroup_id_x 1
		.amdhsa_system_sgpr_workgroup_id_y 0
		.amdhsa_system_sgpr_workgroup_id_z 0
		.amdhsa_system_sgpr_workgroup_info 0
		.amdhsa_system_vgpr_workitem_id 0
		.amdhsa_next_free_vgpr 17
		.amdhsa_next_free_sgpr 54
		.amdhsa_accum_offset 20
		.amdhsa_reserve_vcc 1
		.amdhsa_reserve_flat_scratch 0
		.amdhsa_float_round_mode_32 0
		.amdhsa_float_round_mode_16_64 0
		.amdhsa_float_denorm_mode_32 3
		.amdhsa_float_denorm_mode_16_64 3
		.amdhsa_dx10_clamp 1
		.amdhsa_ieee_mode 1
		.amdhsa_fp16_overflow 0
		.amdhsa_tg_split 0
		.amdhsa_exception_fp_ieee_invalid_op 0
		.amdhsa_exception_fp_denorm_src 0
		.amdhsa_exception_fp_ieee_div_zero 0
		.amdhsa_exception_fp_ieee_overflow 0
		.amdhsa_exception_fp_ieee_underflow 0
		.amdhsa_exception_fp_ieee_inexact 0
		.amdhsa_exception_int_div_zero 0
	.end_amdhsa_kernel
	.section	.text._ZN2at6native32elementwise_kernel_manual_unrollILi128ELi4EZNS0_15gpu_kernel_implIZZZNS0_12prelu_kernelERNS_14TensorIteratorEENKUlvE_clEvENKUlvE1_clEvEUlN3c108BFloat16ES8_E_EEvRNS_18TensorIteratorBaseERKT_EUlibE_EEviT1_,"axG",@progbits,_ZN2at6native32elementwise_kernel_manual_unrollILi128ELi4EZNS0_15gpu_kernel_implIZZZNS0_12prelu_kernelERNS_14TensorIteratorEENKUlvE_clEvENKUlvE1_clEvEUlN3c108BFloat16ES8_E_EEvRNS_18TensorIteratorBaseERKT_EUlibE_EEviT1_,comdat
.Lfunc_end47:
	.size	_ZN2at6native32elementwise_kernel_manual_unrollILi128ELi4EZNS0_15gpu_kernel_implIZZZNS0_12prelu_kernelERNS_14TensorIteratorEENKUlvE_clEvENKUlvE1_clEvEUlN3c108BFloat16ES8_E_EEvRNS_18TensorIteratorBaseERKT_EUlibE_EEviT1_, .Lfunc_end47-_ZN2at6native32elementwise_kernel_manual_unrollILi128ELi4EZNS0_15gpu_kernel_implIZZZNS0_12prelu_kernelERNS_14TensorIteratorEENKUlvE_clEvENKUlvE1_clEvEUlN3c108BFloat16ES8_E_EEvRNS_18TensorIteratorBaseERKT_EUlibE_EEviT1_
                                        ; -- End function
	.section	.AMDGPU.csdata,"",@progbits
; Kernel info:
; codeLenInByte = 64704
; NumSgprs: 58
; NumVgprs: 17
; NumAgprs: 0
; TotalNumVgprs: 17
; ScratchSize: 0
; MemoryBound: 0
; FloatMode: 240
; IeeeMode: 1
; LDSByteSize: 0 bytes/workgroup (compile time only)
; SGPRBlocks: 7
; VGPRBlocks: 2
; NumSGPRsForWavesPerEU: 58
; NumVGPRsForWavesPerEU: 17
; AccumOffset: 20
; Occupancy: 8
; WaveLimiterHint : 0
; COMPUTE_PGM_RSRC2:SCRATCH_EN: 0
; COMPUTE_PGM_RSRC2:USER_SGPR: 6
; COMPUTE_PGM_RSRC2:TRAP_HANDLER: 0
; COMPUTE_PGM_RSRC2:TGID_X_EN: 1
; COMPUTE_PGM_RSRC2:TGID_Y_EN: 0
; COMPUTE_PGM_RSRC2:TGID_Z_EN: 0
; COMPUTE_PGM_RSRC2:TIDIG_COMP_CNT: 0
; COMPUTE_PGM_RSRC3_GFX90A:ACCUM_OFFSET: 4
; COMPUTE_PGM_RSRC3_GFX90A:TG_SPLIT: 0
	.section	.text._ZN2at6native32elementwise_kernel_manual_unrollILi128ELi4EZNS0_15gpu_kernel_implIZZZNS0_12prelu_kernelERNS_14TensorIteratorEENKUlvE_clEvENKUlvE1_clEvEUlN3c108BFloat16ES8_E_EEvRNS_18TensorIteratorBaseERKT_EUlibE0_EEviT1_,"axG",@progbits,_ZN2at6native32elementwise_kernel_manual_unrollILi128ELi4EZNS0_15gpu_kernel_implIZZZNS0_12prelu_kernelERNS_14TensorIteratorEENKUlvE_clEvENKUlvE1_clEvEUlN3c108BFloat16ES8_E_EEvRNS_18TensorIteratorBaseERKT_EUlibE0_EEviT1_,comdat
	.globl	_ZN2at6native32elementwise_kernel_manual_unrollILi128ELi4EZNS0_15gpu_kernel_implIZZZNS0_12prelu_kernelERNS_14TensorIteratorEENKUlvE_clEvENKUlvE1_clEvEUlN3c108BFloat16ES8_E_EEvRNS_18TensorIteratorBaseERKT_EUlibE0_EEviT1_ ; -- Begin function _ZN2at6native32elementwise_kernel_manual_unrollILi128ELi4EZNS0_15gpu_kernel_implIZZZNS0_12prelu_kernelERNS_14TensorIteratorEENKUlvE_clEvENKUlvE1_clEvEUlN3c108BFloat16ES8_E_EEvRNS_18TensorIteratorBaseERKT_EUlibE0_EEviT1_
	.p2align	8
	.type	_ZN2at6native32elementwise_kernel_manual_unrollILi128ELi4EZNS0_15gpu_kernel_implIZZZNS0_12prelu_kernelERNS_14TensorIteratorEENKUlvE_clEvENKUlvE1_clEvEUlN3c108BFloat16ES8_E_EEvRNS_18TensorIteratorBaseERKT_EUlibE0_EEviT1_,@function
_ZN2at6native32elementwise_kernel_manual_unrollILi128ELi4EZNS0_15gpu_kernel_implIZZZNS0_12prelu_kernelERNS_14TensorIteratorEENKUlvE_clEvENKUlvE1_clEvEUlN3c108BFloat16ES8_E_EEvRNS_18TensorIteratorBaseERKT_EUlibE0_EEviT1_: ; @_ZN2at6native32elementwise_kernel_manual_unrollILi128ELi4EZNS0_15gpu_kernel_implIZZZNS0_12prelu_kernelERNS_14TensorIteratorEENKUlvE_clEvENKUlvE1_clEvEUlN3c108BFloat16ES8_E_EEvRNS_18TensorIteratorBaseERKT_EUlibE0_EEviT1_
; %bb.0:
	s_load_dword s66, s[4:5], 0x0
	s_load_dword s33, s[4:5], 0x8
	s_or_b32 s2, s4, 8
	v_lshl_or_b32 v8, s6, 9, v0
	v_or_b32_e32 v24, 0x180, v8
	s_mov_b32 s3, s5
	s_waitcnt lgkmcnt(0)
	s_add_i32 s68, s33, -1
	s_cmp_gt_u32 s68, 1
	v_cmp_le_i32_e32 vcc, s66, v24
	s_cselect_b64 s[20:21], -1, 0
	s_mov_b64 s[6:7], 0
	s_mov_b64 s[12:13], 0
	s_and_saveexec_b64 s[0:1], vcc
	s_xor_b64 s[22:23], exec, s[0:1]
	s_cbranch_execz .LBB48_1593
; %bb.1:
	v_mov_b32_e32 v0, 0
	global_load_ushort v6, v0, s[2:3] offset:417
	global_load_sbyte v7, v0, s[2:3] offset:419
	s_load_dwordx4 s[16:19], s[2:3], 0x4
	s_load_dwordx2 s[28:29], s[2:3], 0x14
	s_load_dwordx4 s[12:15], s[2:3], 0xc4
	s_load_dwordx2 s[26:27], s[2:3], 0xd4
	s_load_dwordx2 s[24:25], s[2:3], 0x198
	s_load_dwordx4 s[8:11], s[2:3], 0x188
	s_cmp_lg_u32 s33, 0
	s_cselect_b64 s[34:35], -1, 0
	s_min_u32 s69, s68, 15
	s_cmp_gt_u32 s33, 1
	v_cmp_gt_i32_e32 vcc, s66, v8
	s_mov_b64 s[0:1], -1
	s_mov_b64 s[46:47], 0
	s_mov_b64 s[40:41], 0
	;; [unrolled: 1-line block ×3, first 2 shown]
	s_cselect_b64 s[30:31], -1, 0
	s_mov_b64 s[36:37], 0
	s_waitcnt vmcnt(1)
	v_lshrrev_b32_e32 v9, 8, v6
	s_and_saveexec_b64 s[42:43], vcc
	s_cbranch_execz .LBB48_395
; %bb.2:
	s_andn2_b64 vcc, exec, s[20:21]
	s_cbranch_vccnz .LBB48_9
; %bb.3:
	s_andn2_b64 vcc, exec, s[34:35]
	v_mov_b32_e32 v2, 0
	v_mov_b32_e32 v4, 0
	;; [unrolled: 1-line block ×3, first 2 shown]
	s_cbranch_vccnz .LBB48_8
; %bb.4:
	s_add_i32 s0, s69, 1
	s_and_b32 s36, s0, 30
	s_add_u32 s0, s2, 0xffffffec
	s_addc_u32 s1, s3, -1
	v_mov_b32_e32 v0, 0
	v_mov_b32_e32 v1, v8
	;; [unrolled: 1-line block ×4, first 2 shown]
.LBB48_5:                               ; =>This Inner Loop Header: Depth=1
	s_mov_b64 s[38:39], s[0:1]
	s_load_dwordx4 s[48:51], s[38:39], 0x18
	s_load_dwordx2 s[40:41], s[38:39], 0x28
	s_load_dwordx2 s[44:45], s[38:39], 0xe8
	s_load_dwordx4 s[52:55], s[38:39], 0xd8
	s_add_u32 s0, s38, 24
	s_waitcnt lgkmcnt(0)
	v_mul_hi_u32 v3, s49, v1
	v_add_u32_e32 v3, v1, v3
	v_lshrrev_b32_e32 v3, s50, v3
	v_mul_lo_u32 v5, v3, s48
	v_mul_hi_u32 v10, s40, v3
	v_sub_u32_e32 v1, v1, v5
	v_add_u32_e32 v5, v3, v10
	v_mul_lo_u32 v10, v1, s52
	v_mul_lo_u32 v11, v1, s53
	;; [unrolled: 1-line block ×3, first 2 shown]
	v_lshrrev_b32_e32 v1, s41, v5
	v_mul_lo_u32 v5, v1, s51
	v_sub_u32_e32 v3, v3, v5
	s_addc_u32 s1, s39, 0
	s_add_i32 s36, s36, -2
	v_mul_lo_u32 v5, v3, s55
	v_mul_lo_u32 v13, v3, s44
	;; [unrolled: 1-line block ×3, first 2 shown]
	s_cmp_lg_u32 s36, 0
	v_add3_u32 v0, v10, v0, v5
	v_add3_u32 v2, v12, v2, v3
	;; [unrolled: 1-line block ×3, first 2 shown]
	s_cbranch_scc1 .LBB48_5
; %bb.6:
	s_bitcmp1_b32 s69, 0
	s_cselect_b64 s[36:37], -1, 0
	s_and_b64 vcc, exec, s[36:37]
	s_cbranch_vccnz .LBB48_8
; %bb.7:
	s_load_dwordx2 s[36:37], s[0:1], 0x18
	s_load_dword s38, s[0:1], 0x20
	s_load_dword s39, s[0:1], 0xe0
	s_nop 0
	s_load_dwordx2 s[0:1], s[0:1], 0xd8
	s_waitcnt lgkmcnt(0)
	v_mul_hi_u32 v3, s37, v1
	v_add_u32_e32 v3, v1, v3
	v_lshrrev_b32_e32 v3, s38, v3
	v_mul_lo_u32 v3, v3, s36
	v_sub_u32_e32 v3, v1, v3
	v_mad_u64_u32 v[0:1], s[36:37], v3, s0, v[0:1]
	v_mad_u64_u32 v[4:5], s[0:1], v3, s1, v[4:5]
	;; [unrolled: 1-line block ×3, first 2 shown]
.LBB48_8:
	s_cbranch_execz .LBB48_10
	s_branch .LBB48_12
.LBB48_9:
                                        ; implicit-def: $vgpr2
                                        ; implicit-def: $vgpr4
                                        ; implicit-def: $vgpr0
	s_andn2_b64 vcc, exec, s[0:1]
	s_cbranch_vccnz .LBB48_12
.LBB48_10:
	s_waitcnt lgkmcnt(0)
	v_mul_hi_u32 v0, s17, v8
	v_add_u32_e32 v0, v8, v0
	v_lshrrev_b32_e32 v1, s18, v0
	v_mul_lo_u32 v0, v1, s16
	v_sub_u32_e32 v3, v8, v0
	v_mul_lo_u32 v0, v3, s12
	v_mul_lo_u32 v2, v3, s14
	s_andn2_b64 vcc, exec, s[30:31]
	v_mul_lo_u32 v4, v3, s13
	s_cbranch_vccnz .LBB48_12
; %bb.11:
	v_mul_hi_u32 v3, s28, v1
	v_add_u32_e32 v3, v1, v3
	v_lshrrev_b32_e32 v3, s29, v3
	v_mul_lo_u32 v3, v3, s19
	v_sub_u32_e32 v3, v1, v3
	v_mad_u64_u32 v[0:1], s[0:1], v3, s15, v[0:1]
	v_mad_u64_u32 v[4:5], s[0:1], v3, s26, v[4:5]
	;; [unrolled: 1-line block ×3, first 2 shown]
.LBB48_12:
	s_waitcnt lgkmcnt(0)
	v_mov_b32_e32 v1, s11
	v_add_co_u32_e32 v4, vcc, s10, v4
	v_addc_co_u32_e32 v5, vcc, 0, v1, vcc
	v_mov_b32_e32 v1, 11
	v_cmp_lt_i16_sdwa s[0:1], v9, v1 src0_sel:BYTE_0 src1_sel:DWORD
	s_and_b64 vcc, exec, s[0:1]
	s_cbranch_vccnz .LBB48_19
; %bb.13:
	v_mov_b32_e32 v1, 25
	v_cmp_gt_i16_sdwa s[0:1], v9, v1 src0_sel:BYTE_0 src1_sel:DWORD
	s_and_b64 vcc, exec, s[0:1]
	s_cbranch_vccz .LBB48_28
; %bb.14:
	v_mov_b32_e32 v1, 28
	v_cmp_gt_i16_sdwa s[0:1], v9, v1 src0_sel:BYTE_0 src1_sel:DWORD
	s_and_b64 vcc, exec, s[0:1]
	s_cbranch_vccz .LBB48_40
; %bb.15:
	v_mov_b32_e32 v1, 43
	v_cmp_gt_i16_sdwa s[0:1], v9, v1 src0_sel:BYTE_0 src1_sel:DWORD
	s_and_b64 vcc, exec, s[0:1]
	s_cbranch_vccz .LBB48_43
; %bb.16:
	v_mov_b32_e32 v1, 45
	v_cmp_gt_i16_sdwa s[0:1], v9, v1 src0_sel:BYTE_0 src1_sel:DWORD
	s_and_b64 vcc, exec, s[0:1]
	s_cbranch_vccz .LBB48_46
; %bb.17:
	v_mov_b32_e32 v1, 46
	v_cmp_eq_u16_sdwa s[0:1], v9, v1 src0_sel:BYTE_0 src1_sel:DWORD
	s_mov_b64 s[36:37], 0
	s_and_b64 vcc, exec, s[0:1]
	s_cbranch_vccz .LBB48_49
; %bb.18:
	global_load_dword v10, v[4:5], off
	s_mov_b64 s[0:1], -1
	s_mov_b64 s[40:41], 0
	s_branch .LBB48_51
.LBB48_19:
	s_mov_b64 s[40:41], 0
                                        ; implicit-def: $vgpr10
	s_mov_b64 s[0:1], 0
	s_cbranch_execnz .LBB48_117
.LBB48_20:
	s_andn2_b64 vcc, exec, s[0:1]
	s_cbranch_vccnz .LBB48_164
.LBB48_21:
	v_mov_b32_e32 v1, s25
	v_add_co_u32_e32 v2, vcc, s24, v2
	v_addc_co_u32_e32 v3, vcc, 0, v1, vcc
	v_mov_b32_e32 v1, 11
	s_waitcnt vmcnt(0)
	v_cmp_lt_i16_sdwa s[0:1], v7, v1 src0_sel:BYTE_0 src1_sel:DWORD
	s_and_b64 vcc, exec, s[0:1]
	s_cbranch_vccnz .LBB48_29
; %bb.22:
	v_mov_b32_e32 v1, 25
	v_cmp_gt_i16_sdwa s[0:1], v7, v1 src0_sel:BYTE_0 src1_sel:DWORD
	s_and_b64 vcc, exec, s[0:1]
	s_cbranch_vccz .LBB48_41
; %bb.23:
	v_mov_b32_e32 v1, 28
	v_cmp_gt_i16_sdwa s[0:1], v7, v1 src0_sel:BYTE_0 src1_sel:DWORD
	s_and_b64 vcc, exec, s[0:1]
	s_cbranch_vccz .LBB48_44
	;; [unrolled: 5-line block ×4, first 2 shown]
; %bb.26:
	v_mov_b32_e32 v1, 46
	v_cmp_eq_u16_sdwa s[0:1], v7, v1 src0_sel:BYTE_0 src1_sel:DWORD
	s_mov_b64 s[36:37], 0
	s_and_b64 vcc, exec, s[0:1]
	s_cbranch_vccz .LBB48_165
; %bb.27:
	global_load_dword v1, v[2:3], off
	s_mov_b64 s[0:1], -1
	s_mov_b64 s[38:39], 0
	s_branch .LBB48_167
.LBB48_28:
	s_mov_b64 s[40:41], 0
	s_mov_b64 s[0:1], 0
                                        ; implicit-def: $vgpr10
	s_cbranch_execnz .LBB48_82
	s_branch .LBB48_116
.LBB48_29:
	s_mov_b64 s[38:39], 0
                                        ; implicit-def: $vgpr1
	s_mov_b64 s[0:1], 0
	s_cbranch_execnz .LBB48_344
.LBB48_30:
	s_andn2_b64 vcc, exec, s[0:1]
	s_cbranch_vccnz .LBB48_392
.LBB48_31:
	v_lshlrev_b32_e32 v2, 16, v10
	v_cmp_nlt_f32_e32 vcc, 0, v2
	s_and_saveexec_b64 s[0:1], vcc
	s_cbranch_execz .LBB48_33
; %bb.32:
	s_waitcnt vmcnt(0)
	v_lshlrev_b32_e32 v1, 16, v1
	v_mul_f32_e32 v1, v2, v1
	v_bfe_u32 v2, v1, 16, 1
	s_movk_i32 s36, 0x7fff
	v_add3_u32 v2, v1, v2, s36
	v_lshrrev_b32_e32 v2, 16, v2
	v_mov_b32_e32 v3, 0x7fc0
	v_cmp_o_f32_e32 vcc, v1, v1
	v_cndmask_b32_e32 v10, v3, v2, vcc
.LBB48_33:
	s_or_b64 exec, exec, s[0:1]
	s_waitcnt vmcnt(0)
	v_mov_b32_e32 v1, s9
	v_add_co_u32_e32 v0, vcc, s8, v0
	v_mov_b32_e32 v2, 11
	v_addc_co_u32_e32 v1, vcc, 0, v1, vcc
	v_cmp_lt_i16_sdwa s[0:1], v6, v2 src0_sel:BYTE_0 src1_sel:DWORD
	s_and_b64 vcc, exec, s[0:1]
	s_cbranch_vccnz .LBB48_42
; %bb.34:
	v_mov_b32_e32 v2, 25
	v_cmp_gt_i16_sdwa s[0:1], v6, v2 src0_sel:BYTE_0 src1_sel:DWORD
	s_and_b64 vcc, exec, s[0:1]
	s_cbranch_vccz .LBB48_45
; %bb.35:
	v_mov_b32_e32 v2, 28
	v_cmp_gt_i16_sdwa s[0:1], v6, v2 src0_sel:BYTE_0 src1_sel:DWORD
	s_and_b64 vcc, exec, s[0:1]
	s_cbranch_vccz .LBB48_48
	;; [unrolled: 5-line block ×4, first 2 shown]
; %bb.38:
	v_mov_b32_e32 v2, 46
	v_cmp_eq_u16_sdwa s[36:37], v6, v2 src0_sel:BYTE_0 src1_sel:DWORD
	s_mov_b64 s[44:45], 0
	s_mov_b64 s[0:1], -1
	s_and_b64 vcc, exec, s[36:37]
	s_mov_b64 s[36:37], 0
	s_cbranch_vccz .LBB48_171
; %bb.39:
	v_and_b32_e32 v2, 0xffff, v10
	global_store_dword v[0:1], v2, off
	s_mov_b64 s[36:37], -1
	s_mov_b64 s[0:1], 0
	s_branch .LBB48_171
.LBB48_40:
	s_mov_b64 s[36:37], -1
	s_mov_b64 s[40:41], 0
	s_mov_b64 s[0:1], 0
                                        ; implicit-def: $vgpr10
	s_branch .LBB48_63
.LBB48_41:
	s_mov_b64 s[36:37], -1
	s_mov_b64 s[38:39], 0
	s_mov_b64 s[0:1], 0
                                        ; implicit-def: $vgpr1
	s_branch .LBB48_308
.LBB48_42:
	s_mov_b64 s[44:45], -1
	s_mov_b64 s[0:1], 0
	s_mov_b64 s[36:37], 0
	s_branch .LBB48_240
.LBB48_43:
	s_mov_b64 s[36:37], -1
	s_mov_b64 s[40:41], 0
	s_mov_b64 s[0:1], 0
                                        ; implicit-def: $vgpr10
	s_branch .LBB48_58
.LBB48_44:
	s_mov_b64 s[36:37], -1
	s_mov_b64 s[38:39], 0
	s_mov_b64 s[0:1], 0
                                        ; implicit-def: $vgpr1
	s_branch .LBB48_289
.LBB48_45:
	s_mov_b64 s[44:45], -1
	s_mov_b64 s[0:1], 0
	s_mov_b64 s[36:37], 0
	s_branch .LBB48_198
.LBB48_46:
	s_mov_b64 s[36:37], -1
	s_mov_b64 s[40:41], 0
	s_branch .LBB48_50
.LBB48_47:
	s_mov_b64 s[36:37], -1
	s_mov_b64 s[38:39], 0
	s_mov_b64 s[0:1], 0
                                        ; implicit-def: $vgpr1
	s_branch .LBB48_284
.LBB48_48:
	s_mov_b64 s[44:45], -1
	s_mov_b64 s[0:1], 0
	s_mov_b64 s[36:37], 0
	s_branch .LBB48_181
.LBB48_49:
	s_mov_b64 s[40:41], -1
.LBB48_50:
	s_mov_b64 s[0:1], 0
                                        ; implicit-def: $vgpr10
.LBB48_51:
	s_and_b64 vcc, exec, s[36:37]
	s_cbranch_vccz .LBB48_57
; %bb.52:
	v_mov_b32_e32 v1, 44
	v_cmp_eq_u16_sdwa s[36:37], v9, v1 src0_sel:BYTE_0 src1_sel:DWORD
	s_and_b64 vcc, exec, s[36:37]
	s_cbranch_vccz .LBB48_56
; %bb.53:
	global_load_ubyte v1, v[4:5], off
	s_movk_i32 s36, 0xff
	v_mov_b32_e32 v3, 0x7f800001
	s_waitcnt vmcnt(1)
	v_mov_b32_e32 v10, 0x400000
	v_mov_b32_e32 v11, 0x7fc0
	s_mov_b64 s[0:1], -1
	s_mov_b64 s[40:41], 0
	s_waitcnt vmcnt(0)
	v_lshlrev_b32_e32 v12, 23, v1
	v_cmp_ne_u32_e32 vcc, s36, v1
	v_cndmask_b32_e32 v3, v3, v12, vcc
	v_cmp_ne_u32_e32 vcc, 0, v1
	v_cndmask_b32_e32 v1, v10, v3, vcc
	v_add_u32_e32 v3, 0x7fff, v1
	v_lshrrev_b32_e32 v3, 16, v3
	v_cmp_o_f32_e32 vcc, v1, v1
	v_cndmask_b32_e32 v10, v11, v3, vcc
	s_branch .LBB48_57
.LBB48_54:
	s_mov_b64 s[36:37], -1
	s_mov_b64 s[38:39], 0
	s_branch .LBB48_166
.LBB48_55:
	s_mov_b64 s[44:45], -1
	s_mov_b64 s[0:1], 0
	s_mov_b64 s[36:37], 0
	s_branch .LBB48_177
.LBB48_56:
	s_mov_b64 s[40:41], -1
                                        ; implicit-def: $vgpr10
.LBB48_57:
	s_mov_b64 s[36:37], 0
.LBB48_58:
	s_and_b64 vcc, exec, s[36:37]
	s_cbranch_vccz .LBB48_62
; %bb.59:
	v_mov_b32_e32 v1, 29
	v_cmp_eq_u16_sdwa s[36:37], v9, v1 src0_sel:BYTE_0 src1_sel:DWORD
	s_and_b64 vcc, exec, s[36:37]
	s_cbranch_vccz .LBB48_61
; %bb.60:
	global_load_dwordx2 v[10:11], v[4:5], off
	s_movk_i32 s36, 0x7fff
	s_mov_b64 s[0:1], -1
	s_mov_b64 s[40:41], 0
	s_waitcnt vmcnt(0)
	v_ffbh_u32_e32 v1, v11
	v_min_u32_e32 v1, 32, v1
	v_lshlrev_b64 v[10:11], v1, v[10:11]
	v_min_u32_e32 v3, 1, v10
	v_or_b32_e32 v3, v11, v3
	v_cvt_f32_u32_e32 v3, v3
	v_sub_u32_e32 v1, 32, v1
	v_ldexp_f32 v1, v3, v1
	v_bfe_u32 v3, v1, 16, 1
	v_add3_u32 v1, v1, v3, s36
	v_lshrrev_b32_e32 v10, 16, v1
	s_branch .LBB48_62
.LBB48_61:
	s_mov_b64 s[40:41], -1
                                        ; implicit-def: $vgpr10
.LBB48_62:
	s_mov_b64 s[36:37], 0
.LBB48_63:
	s_and_b64 vcc, exec, s[36:37]
	s_cbranch_vccz .LBB48_81
; %bb.64:
	v_mov_b32_e32 v1, 27
	v_cmp_lt_i16_sdwa s[0:1], v9, v1 src0_sel:BYTE_0 src1_sel:DWORD
	s_and_b64 vcc, exec, s[0:1]
	s_cbranch_vccnz .LBB48_67
; %bb.65:
	v_cmp_gt_i16_sdwa s[0:1], v9, v1 src0_sel:BYTE_0 src1_sel:DWORD
	s_and_b64 vcc, exec, s[0:1]
	s_cbranch_vccz .LBB48_68
; %bb.66:
	global_load_dword v1, v[4:5], off
	s_movk_i32 s0, 0x7fff
	s_waitcnt vmcnt(0)
	v_cvt_f32_u32_e32 v1, v1
	v_bfe_u32 v3, v1, 16, 1
	v_add3_u32 v1, v1, v3, s0
	v_lshrrev_b32_e32 v10, 16, v1
	s_mov_b64 s[0:1], 0
	s_branch .LBB48_69
.LBB48_67:
	s_mov_b64 s[0:1], -1
                                        ; implicit-def: $vgpr10
	s_branch .LBB48_72
.LBB48_68:
	s_mov_b64 s[0:1], -1
                                        ; implicit-def: $vgpr10
.LBB48_69:
	s_andn2_b64 vcc, exec, s[0:1]
	s_cbranch_vccnz .LBB48_71
; %bb.70:
	global_load_ushort v1, v[4:5], off
	s_movk_i32 s0, 0x7fff
	s_waitcnt vmcnt(0)
	v_cvt_f32_u32_e32 v1, v1
	v_bfe_u32 v3, v1, 16, 1
	v_add3_u32 v1, v1, v3, s0
	v_lshrrev_b32_e32 v10, 16, v1
.LBB48_71:
	s_mov_b64 s[0:1], 0
.LBB48_72:
	s_andn2_b64 vcc, exec, s[0:1]
	s_cbranch_vccnz .LBB48_80
; %bb.73:
	global_load_ubyte v1, v[4:5], off
	s_movk_i32 s0, 0x7f
                                        ; implicit-def: $sgpr44
	s_waitcnt vmcnt(0)
	v_cmp_lt_i16_e32 vcc, s0, v1
	s_mov_b64 s[0:1], 0
	s_and_saveexec_b64 s[36:37], vcc
	s_xor_b64 s[36:37], exec, s[36:37]
	s_cbranch_execz .LBB48_93
; %bb.74:
	s_movk_i32 s0, 0x80
	v_cmp_eq_u16_e32 vcc, s0, v1
	s_mov_b64 s[0:1], -1
                                        ; implicit-def: $sgpr44
	s_and_saveexec_b64 s[38:39], vcc
; %bb.75:
	s_mov_b32 s44, 0x7f800001
	s_xor_b64 s[0:1], exec, -1
; %bb.76:
	s_or_b64 exec, exec, s[38:39]
	s_and_b64 s[0:1], s[0:1], exec
	s_or_saveexec_b64 s[36:37], s[36:37]
	v_mov_b32_e32 v3, s44
	s_xor_b64 exec, exec, s[36:37]
	s_cbranch_execnz .LBB48_94
.LBB48_77:
	s_or_b64 exec, exec, s[36:37]
	s_and_saveexec_b64 s[36:37], s[0:1]
	s_cbranch_execz .LBB48_79
.LBB48_78:
	v_lshlrev_b32_e32 v3, 24, v1
	v_and_b32_e32 v1, 0xffff, v1
	v_and_b32_e32 v10, 7, v1
	v_ffbh_u32_e32 v12, v10
	v_min_u32_e32 v12, 32, v12
	v_subrev_u32_e32 v13, 28, v12
	v_bfe_u32 v11, v1, 3, 4
	v_lshlrev_b32_e32 v1, v13, v1
	v_sub_u32_e32 v12, 29, v12
	v_and_b32_e32 v1, 7, v1
	v_cmp_eq_u32_e32 vcc, 0, v11
	v_cndmask_b32_e32 v11, v11, v12, vcc
	v_cndmask_b32_e32 v1, v10, v1, vcc
	v_mov_b32_e32 v10, 0x3b800000
	v_lshlrev_b32_e32 v1, 20, v1
	v_and_b32_e32 v3, 0x80000000, v3
	v_lshl_add_u32 v10, v11, 23, v10
	v_or3_b32 v3, v3, v10, v1
.LBB48_79:
	s_or_b64 exec, exec, s[36:37]
	v_bfe_u32 v1, v3, 16, 1
	s_movk_i32 s0, 0x7fff
	v_add3_u32 v1, v3, v1, s0
	v_lshrrev_b32_e32 v1, 16, v1
	v_mov_b32_e32 v10, 0x7fc0
	v_cmp_o_f32_e32 vcc, v3, v3
	v_cndmask_b32_e32 v10, v10, v1, vcc
.LBB48_80:
	s_mov_b64 s[0:1], -1
.LBB48_81:
	s_branch .LBB48_116
.LBB48_82:
	v_mov_b32_e32 v1, 22
	v_cmp_gt_i16_sdwa s[36:37], v9, v1 src0_sel:BYTE_0 src1_sel:DWORD
	s_and_b64 vcc, exec, s[36:37]
	s_cbranch_vccz .LBB48_92
; %bb.83:
	v_mov_b32_e32 v1, 24
	v_cmp_lt_i16_sdwa s[0:1], v9, v1 src0_sel:BYTE_0 src1_sel:DWORD
	s_and_b64 vcc, exec, s[0:1]
	s_cbranch_vccnz .LBB48_95
; %bb.84:
	v_cmp_gt_i16_sdwa s[0:1], v9, v1 src0_sel:BYTE_0 src1_sel:DWORD
	s_and_b64 vcc, exec, s[0:1]
	s_cbranch_vccz .LBB48_96
; %bb.85:
	global_load_ubyte v1, v[4:5], off
	s_movk_i32 s0, 0x7f
                                        ; implicit-def: $sgpr44
	s_waitcnt vmcnt(0)
	v_cmp_lt_i16_e32 vcc, s0, v1
	s_mov_b64 s[0:1], 0
	s_and_saveexec_b64 s[36:37], vcc
	s_xor_b64 s[36:37], exec, s[36:37]
	s_cbranch_execz .LBB48_108
; %bb.86:
	s_movk_i32 s0, 0x80
	v_cmp_eq_u16_e32 vcc, s0, v1
	s_mov_b64 s[0:1], -1
                                        ; implicit-def: $sgpr44
	s_and_saveexec_b64 s[38:39], vcc
; %bb.87:
	s_mov_b32 s44, 0x7f800001
	s_xor_b64 s[0:1], exec, -1
; %bb.88:
	s_or_b64 exec, exec, s[38:39]
	s_and_b64 s[0:1], s[0:1], exec
	s_or_saveexec_b64 s[36:37], s[36:37]
	v_mov_b32_e32 v3, s44
	s_xor_b64 exec, exec, s[36:37]
	s_cbranch_execnz .LBB48_109
.LBB48_89:
	s_or_b64 exec, exec, s[36:37]
	s_and_saveexec_b64 s[36:37], s[0:1]
	s_cbranch_execz .LBB48_91
.LBB48_90:
	v_lshlrev_b32_e32 v3, 24, v1
	v_and_b32_e32 v1, 0xffff, v1
	v_and_b32_e32 v10, 3, v1
	v_ffbh_u32_e32 v12, v10
	v_min_u32_e32 v12, 32, v12
	v_subrev_u32_e32 v13, 29, v12
	v_bfe_u32 v11, v1, 2, 5
	v_lshlrev_b32_e32 v1, v13, v1
	v_sub_u32_e32 v12, 30, v12
	v_and_b32_e32 v1, 3, v1
	v_cmp_eq_u32_e32 vcc, 0, v11
	v_cndmask_b32_e32 v11, v11, v12, vcc
	v_cndmask_b32_e32 v1, v10, v1, vcc
	v_mov_b32_e32 v10, 0x37800000
	v_lshlrev_b32_e32 v1, 21, v1
	v_and_b32_e32 v3, 0x80000000, v3
	v_lshl_add_u32 v10, v11, 23, v10
	v_or3_b32 v3, v3, v10, v1
.LBB48_91:
	s_or_b64 exec, exec, s[36:37]
	v_bfe_u32 v1, v3, 16, 1
	s_movk_i32 s0, 0x7fff
	v_add3_u32 v1, v3, v1, s0
	v_lshrrev_b32_e32 v1, 16, v1
	v_mov_b32_e32 v10, 0x7fc0
	v_cmp_o_f32_e32 vcc, v3, v3
	v_cndmask_b32_e32 v10, v10, v1, vcc
	s_mov_b64 s[0:1], 0
	s_branch .LBB48_97
.LBB48_92:
	s_mov_b64 s[36:37], -1
                                        ; implicit-def: $vgpr10
	s_branch .LBB48_103
.LBB48_93:
	s_or_saveexec_b64 s[36:37], s[36:37]
	v_mov_b32_e32 v3, s44
	s_xor_b64 exec, exec, s[36:37]
	s_cbranch_execz .LBB48_77
.LBB48_94:
	v_cmp_ne_u16_e32 vcc, 0, v1
	s_andn2_b64 s[0:1], s[0:1], exec
	s_and_b64 s[38:39], vcc, exec
	v_mov_b32_e32 v3, 0
	s_or_b64 s[0:1], s[0:1], s[38:39]
	s_or_b64 exec, exec, s[36:37]
	s_and_saveexec_b64 s[36:37], s[0:1]
	s_cbranch_execnz .LBB48_78
	s_branch .LBB48_79
.LBB48_95:
	s_mov_b64 s[0:1], -1
                                        ; implicit-def: $vgpr10
	s_branch .LBB48_100
.LBB48_96:
	s_mov_b64 s[0:1], -1
                                        ; implicit-def: $vgpr10
.LBB48_97:
	s_and_b64 vcc, exec, s[0:1]
	s_cbranch_vccz .LBB48_99
; %bb.98:
	global_load_ubyte v1, v[4:5], off
	s_mov_b32 s0, 0x7f800000
	s_brev_b32 s1, 1
	s_movk_i32 s36, 0x7fff
	v_mov_b32_e32 v3, 0x7fc0
	s_waitcnt vmcnt(0)
	v_lshlrev_b32_e32 v1, 24, v1
	v_and_b32_e32 v10, 0x7f000000, v1
	v_ffbh_u32_e32 v11, v10
	v_min_u32_e32 v11, 32, v11
	v_sub_u32_e64 v11, v11, 4 clamp
	v_lshlrev_b32_e32 v13, v11, v10
	v_lshlrev_b32_e32 v11, 23, v11
	v_lshrrev_b32_e32 v13, 4, v13
	v_add_u32_e32 v12, 0x1000000, v10
	v_sub_u32_e32 v11, v13, v11
	v_ashrrev_i32_e32 v12, 8, v12
	v_add_u32_e32 v11, 0x3c000000, v11
	v_and_or_b32 v11, v12, s0, v11
	v_cmp_ne_u32_e32 vcc, 0, v10
	v_cndmask_b32_e32 v10, 0, v11, vcc
	v_and_or_b32 v1, v1, s1, v10
	v_bfe_u32 v10, v10, 16, 1
	v_add3_u32 v10, v1, v10, s36
	v_lshrrev_b32_e32 v10, 16, v10
	v_cmp_o_f32_e32 vcc, v1, v1
	v_cndmask_b32_e32 v10, v3, v10, vcc
.LBB48_99:
	s_mov_b64 s[0:1], 0
.LBB48_100:
	s_andn2_b64 vcc, exec, s[0:1]
	s_cbranch_vccnz .LBB48_102
; %bb.101:
	global_load_ubyte v1, v[4:5], off
	s_movk_i32 s0, 0x7f00
	s_brev_b32 s1, 16
	s_brev_b32 s36, 1
	s_movk_i32 s37, 0x7fff
	v_mov_b32_e32 v3, 0x7fc0
	s_waitcnt vmcnt(0)
	v_lshlrev_b16_e32 v10, 8, v1
	v_lshlrev_b32_e32 v1, 25, v1
	v_lshrrev_b32_e32 v11, 4, v1
	v_and_or_b32 v12, v10, s0, 0.5
	v_or_b32_e32 v11, 0x70000000, v11
	v_add_f32_e32 v12, -0.5, v12
	v_mul_f32_e32 v11, 0x7800000, v11
	v_cmp_gt_u32_e32 vcc, s1, v1
	v_bfe_i32 v10, v10, 0, 16
	v_cndmask_b32_e32 v1, v11, v12, vcc
	v_and_or_b32 v10, v10, s36, v1
	v_bfe_u32 v1, v1, 16, 1
	v_add3_u32 v1, v10, v1, s37
	v_lshrrev_b32_e32 v1, 16, v1
	v_cmp_o_f32_e32 vcc, v10, v10
	v_cndmask_b32_e32 v10, v3, v1, vcc
.LBB48_102:
	s_mov_b64 s[36:37], 0
	s_mov_b64 s[0:1], -1
.LBB48_103:
	s_andn2_b64 vcc, exec, s[36:37]
	s_cbranch_vccnz .LBB48_116
; %bb.104:
	v_mov_b32_e32 v1, 14
	v_cmp_gt_i16_sdwa s[36:37], v9, v1 src0_sel:BYTE_0 src1_sel:DWORD
	s_and_b64 vcc, exec, s[36:37]
	s_cbranch_vccz .LBB48_107
; %bb.105:
	v_mov_b32_e32 v1, 15
	v_cmp_eq_u16_sdwa s[36:37], v9, v1 src0_sel:BYTE_0 src1_sel:DWORD
	s_and_b64 vcc, exec, s[36:37]
	s_cbranch_vccz .LBB48_110
; %bb.106:
	global_load_ushort v10, v[4:5], off
	s_mov_b64 s[0:1], -1
	s_mov_b64 s[40:41], 0
	s_branch .LBB48_111
.LBB48_107:
	s_mov_b64 s[36:37], -1
                                        ; implicit-def: $vgpr10
	s_branch .LBB48_112
.LBB48_108:
	s_or_saveexec_b64 s[36:37], s[36:37]
	v_mov_b32_e32 v3, s44
	s_xor_b64 exec, exec, s[36:37]
	s_cbranch_execz .LBB48_89
.LBB48_109:
	v_cmp_ne_u16_e32 vcc, 0, v1
	s_andn2_b64 s[0:1], s[0:1], exec
	s_and_b64 s[38:39], vcc, exec
	v_mov_b32_e32 v3, 0
	s_or_b64 s[0:1], s[0:1], s[38:39]
	s_or_b64 exec, exec, s[36:37]
	s_and_saveexec_b64 s[36:37], s[0:1]
	s_cbranch_execnz .LBB48_90
	s_branch .LBB48_91
.LBB48_110:
	s_mov_b64 s[40:41], -1
                                        ; implicit-def: $vgpr10
.LBB48_111:
	s_mov_b64 s[36:37], 0
.LBB48_112:
	s_and_b64 vcc, exec, s[36:37]
	s_cbranch_vccz .LBB48_116
; %bb.113:
	v_mov_b32_e32 v1, 11
	v_cmp_eq_u16_sdwa s[36:37], v9, v1 src0_sel:BYTE_0 src1_sel:DWORD
	s_and_b64 vcc, exec, s[36:37]
	s_cbranch_vccz .LBB48_115
; %bb.114:
	global_load_ubyte v1, v[4:5], off
	s_mov_b64 s[0:1], -1
	s_mov_b64 s[40:41], 0
	s_waitcnt vmcnt(0)
	v_cmp_ne_u16_e32 vcc, 0, v1
	v_cndmask_b32_e64 v1, 0, 1.0, vcc
	v_lshrrev_b32_e32 v10, 16, v1
	s_branch .LBB48_116
.LBB48_115:
	s_mov_b64 s[40:41], -1
                                        ; implicit-def: $vgpr10
.LBB48_116:
	s_branch .LBB48_20
.LBB48_117:
	v_mov_b32_e32 v1, 5
	v_cmp_lt_i16_sdwa s[0:1], v9, v1 src0_sel:BYTE_0 src1_sel:DWORD
	s_and_b64 vcc, exec, s[0:1]
	s_cbranch_vccnz .LBB48_122
; %bb.118:
	v_mov_b32_e32 v1, 8
	v_cmp_lt_i16_sdwa s[0:1], v9, v1 src0_sel:BYTE_0 src1_sel:DWORD
	s_and_b64 vcc, exec, s[0:1]
	s_cbranch_vccnz .LBB48_123
; %bb.119:
	;; [unrolled: 5-line block ×3, first 2 shown]
	v_cmp_gt_i16_sdwa s[0:1], v9, v1 src0_sel:BYTE_0 src1_sel:DWORD
	s_and_b64 vcc, exec, s[0:1]
	s_cbranch_vccz .LBB48_125
; %bb.121:
	global_load_dwordx2 v[10:11], v[4:5], off
	s_movk_i32 s0, 0x7fff
	v_mov_b32_e32 v1, 0x7fc0
	s_waitcnt vmcnt(0)
	v_cvt_f32_f64_e32 v3, v[10:11]
	v_bfe_u32 v10, v3, 16, 1
	v_add3_u32 v10, v3, v10, s0
	v_lshrrev_b32_e32 v10, 16, v10
	v_cmp_o_f32_e32 vcc, v3, v3
	v_cndmask_b32_e32 v10, v1, v10, vcc
	s_mov_b64 s[0:1], 0
	s_branch .LBB48_126
.LBB48_122:
                                        ; implicit-def: $vgpr10
	s_branch .LBB48_144
.LBB48_123:
	s_mov_b64 s[0:1], -1
                                        ; implicit-def: $vgpr10
	s_branch .LBB48_132
.LBB48_124:
	s_mov_b64 s[0:1], -1
                                        ; implicit-def: $vgpr10
	s_branch .LBB48_129
.LBB48_125:
	s_mov_b64 s[0:1], -1
                                        ; implicit-def: $vgpr10
.LBB48_126:
	s_andn2_b64 vcc, exec, s[0:1]
	s_cbranch_vccnz .LBB48_128
; %bb.127:
	global_load_dword v1, v[4:5], off
	s_movk_i32 s0, 0x7fff
	v_mov_b32_e32 v3, 0x7fc0
	s_waitcnt vmcnt(0)
	v_bfe_u32 v10, v1, 16, 1
	v_add3_u32 v10, v1, v10, s0
	v_lshrrev_b32_e32 v10, 16, v10
	v_cmp_o_f32_e32 vcc, v1, v1
	v_cndmask_b32_e32 v10, v3, v10, vcc
.LBB48_128:
	s_mov_b64 s[0:1], 0
.LBB48_129:
	s_andn2_b64 vcc, exec, s[0:1]
	s_cbranch_vccnz .LBB48_131
; %bb.130:
	global_load_dword v1, v[4:5], off
	s_movk_i32 s0, 0x7fff
	s_waitcnt vmcnt(1)
	v_mov_b32_e32 v10, 0x7fc0
	s_waitcnt vmcnt(0)
	v_cvt_f32_f16_e32 v3, v1
	v_cmp_o_f16_e32 vcc, v1, v1
	v_bfe_u32 v11, v3, 16, 1
	v_add3_u32 v3, v3, v11, s0
	v_lshrrev_b32_e32 v3, 16, v3
	v_cndmask_b32_e32 v10, v10, v3, vcc
.LBB48_131:
	s_mov_b64 s[0:1], 0
.LBB48_132:
	s_andn2_b64 vcc, exec, s[0:1]
	s_cbranch_vccnz .LBB48_143
; %bb.133:
	v_mov_b32_e32 v1, 6
	v_cmp_lt_i16_sdwa s[0:1], v9, v1 src0_sel:BYTE_0 src1_sel:DWORD
	s_and_b64 vcc, exec, s[0:1]
	s_cbranch_vccnz .LBB48_136
; %bb.134:
	v_cmp_gt_i16_sdwa s[0:1], v9, v1 src0_sel:BYTE_0 src1_sel:DWORD
	s_and_b64 vcc, exec, s[0:1]
	s_cbranch_vccz .LBB48_137
; %bb.135:
	global_load_dwordx2 v[10:11], v[4:5], off
	s_movk_i32 s0, 0x7fff
	v_mov_b32_e32 v1, 0x7fc0
	s_waitcnt vmcnt(0)
	v_cvt_f32_f64_e32 v3, v[10:11]
	v_bfe_u32 v10, v3, 16, 1
	v_add3_u32 v10, v3, v10, s0
	v_lshrrev_b32_e32 v10, 16, v10
	v_cmp_o_f32_e32 vcc, v3, v3
	v_cndmask_b32_e32 v10, v1, v10, vcc
	s_mov_b64 s[0:1], 0
	s_branch .LBB48_138
.LBB48_136:
	s_mov_b64 s[0:1], -1
                                        ; implicit-def: $vgpr10
	s_branch .LBB48_141
.LBB48_137:
	s_mov_b64 s[0:1], -1
                                        ; implicit-def: $vgpr10
.LBB48_138:
	s_andn2_b64 vcc, exec, s[0:1]
	s_cbranch_vccnz .LBB48_140
; %bb.139:
	global_load_dword v1, v[4:5], off
	s_movk_i32 s0, 0x7fff
	v_mov_b32_e32 v3, 0x7fc0
	s_waitcnt vmcnt(0)
	v_bfe_u32 v10, v1, 16, 1
	v_add3_u32 v10, v1, v10, s0
	v_lshrrev_b32_e32 v10, 16, v10
	v_cmp_o_f32_e32 vcc, v1, v1
	v_cndmask_b32_e32 v10, v3, v10, vcc
.LBB48_140:
	s_mov_b64 s[0:1], 0
.LBB48_141:
	s_andn2_b64 vcc, exec, s[0:1]
	s_cbranch_vccnz .LBB48_143
; %bb.142:
	global_load_ushort v1, v[4:5], off
	s_movk_i32 s0, 0x7fff
	s_waitcnt vmcnt(1)
	v_mov_b32_e32 v10, 0x7fc0
	s_waitcnt vmcnt(0)
	v_cvt_f32_f16_e32 v3, v1
	v_cmp_o_f16_e32 vcc, v1, v1
	v_bfe_u32 v11, v3, 16, 1
	v_add3_u32 v3, v3, v11, s0
	v_lshrrev_b32_e32 v3, 16, v3
	v_cndmask_b32_e32 v10, v10, v3, vcc
.LBB48_143:
	s_cbranch_execnz .LBB48_163
.LBB48_144:
	v_mov_b32_e32 v1, 2
	v_cmp_lt_i16_sdwa s[0:1], v9, v1 src0_sel:BYTE_0 src1_sel:DWORD
	s_and_b64 vcc, exec, s[0:1]
	s_cbranch_vccnz .LBB48_148
; %bb.145:
	v_mov_b32_e32 v1, 3
	v_cmp_lt_i16_sdwa s[0:1], v9, v1 src0_sel:BYTE_0 src1_sel:DWORD
	s_and_b64 vcc, exec, s[0:1]
	s_cbranch_vccnz .LBB48_149
; %bb.146:
	v_cmp_gt_i16_sdwa s[0:1], v9, v1 src0_sel:BYTE_0 src1_sel:DWORD
	s_and_b64 vcc, exec, s[0:1]
	s_cbranch_vccz .LBB48_150
; %bb.147:
	global_load_dwordx2 v[10:11], v[4:5], off
	s_movk_i32 s0, 0x7fff
	s_waitcnt vmcnt(0)
	v_xor_b32_e32 v3, v10, v11
	v_ffbh_i32_e32 v1, v11
	v_ashrrev_i32_e32 v3, 31, v3
	v_add_u32_e32 v1, -1, v1
	v_add_u32_e32 v3, 32, v3
	v_min_u32_e32 v1, v1, v3
	v_lshlrev_b64 v[10:11], v1, v[10:11]
	v_min_u32_e32 v3, 1, v10
	v_or_b32_e32 v3, v11, v3
	v_cvt_f32_i32_e32 v3, v3
	v_sub_u32_e32 v1, 32, v1
	v_ldexp_f32 v1, v3, v1
	v_bfe_u32 v3, v1, 16, 1
	v_add3_u32 v1, v1, v3, s0
	v_lshrrev_b32_e32 v10, 16, v1
	s_mov_b64 s[0:1], 0
	s_branch .LBB48_151
.LBB48_148:
	s_mov_b64 s[0:1], -1
                                        ; implicit-def: $vgpr10
	s_branch .LBB48_157
.LBB48_149:
	s_mov_b64 s[0:1], -1
                                        ; implicit-def: $vgpr10
	s_branch .LBB48_154
.LBB48_150:
	s_mov_b64 s[0:1], -1
                                        ; implicit-def: $vgpr10
.LBB48_151:
	s_andn2_b64 vcc, exec, s[0:1]
	s_cbranch_vccnz .LBB48_153
; %bb.152:
	global_load_dword v1, v[4:5], off
	s_movk_i32 s0, 0x7fff
	s_waitcnt vmcnt(0)
	v_cvt_f32_i32_e32 v1, v1
	v_bfe_u32 v3, v1, 16, 1
	v_add3_u32 v1, v1, v3, s0
	v_lshrrev_b32_e32 v10, 16, v1
.LBB48_153:
	s_mov_b64 s[0:1], 0
.LBB48_154:
	s_andn2_b64 vcc, exec, s[0:1]
	s_cbranch_vccnz .LBB48_156
; %bb.155:
	global_load_sshort v1, v[4:5], off
	s_movk_i32 s0, 0x7fff
	s_waitcnt vmcnt(0)
	v_cvt_f32_i32_e32 v1, v1
	v_bfe_u32 v3, v1, 16, 1
	v_add3_u32 v1, v1, v3, s0
	v_lshrrev_b32_e32 v10, 16, v1
.LBB48_156:
	s_mov_b64 s[0:1], 0
.LBB48_157:
	s_andn2_b64 vcc, exec, s[0:1]
	s_cbranch_vccnz .LBB48_163
; %bb.158:
	v_mov_b32_e32 v1, 0
	v_cmp_gt_i16_sdwa s[0:1], v9, v1 src0_sel:BYTE_0 src1_sel:DWORD
	s_and_b64 vcc, exec, s[0:1]
	s_cbranch_vccz .LBB48_160
; %bb.159:
	global_load_sbyte v1, v[4:5], off
	s_movk_i32 s0, 0x7fff
	s_waitcnt vmcnt(0)
	v_cvt_f32_i32_e32 v1, v1
	v_bfe_u32 v3, v1, 16, 1
	v_add3_u32 v1, v1, v3, s0
	v_lshrrev_b32_e32 v10, 16, v1
	s_mov_b64 s[0:1], 0
	s_branch .LBB48_161
.LBB48_160:
	s_mov_b64 s[0:1], -1
                                        ; implicit-def: $vgpr10
.LBB48_161:
	s_andn2_b64 vcc, exec, s[0:1]
	s_cbranch_vccnz .LBB48_163
; %bb.162:
	global_load_ubyte v1, v[4:5], off
	s_movk_i32 s0, 0x7fff
	s_waitcnt vmcnt(0)
	v_cvt_f32_ubyte0_e32 v1, v1
	v_bfe_u32 v3, v1, 16, 1
	v_add3_u32 v1, v1, v3, s0
	v_lshrrev_b32_e32 v10, 16, v1
.LBB48_163:
	s_branch .LBB48_21
.LBB48_164:
	s_mov_b64 s[0:1], 0
	s_mov_b64 s[38:39], 0
	s_branch .LBB48_393
.LBB48_165:
	s_mov_b64 s[38:39], -1
.LBB48_166:
	s_mov_b64 s[0:1], 0
                                        ; implicit-def: $vgpr1
.LBB48_167:
	s_and_b64 vcc, exec, s[36:37]
	s_cbranch_vccz .LBB48_283
; %bb.168:
	s_waitcnt vmcnt(0)
	v_mov_b32_e32 v1, 44
	v_cmp_eq_u16_sdwa s[36:37], v7, v1 src0_sel:BYTE_0 src1_sel:DWORD
	s_and_b64 vcc, exec, s[36:37]
	s_cbranch_vccz .LBB48_282
; %bb.169:
	global_load_ubyte v1, v[2:3], off
	s_movk_i32 s36, 0xff
	v_mov_b32_e32 v4, 0x7f800001
	v_mov_b32_e32 v5, 0x400000
	;; [unrolled: 1-line block ×3, first 2 shown]
	s_mov_b64 s[0:1], -1
	s_mov_b64 s[38:39], 0
	s_waitcnt vmcnt(0)
	v_lshlrev_b32_e32 v12, 23, v1
	v_cmp_ne_u32_e32 vcc, s36, v1
	v_cndmask_b32_e32 v4, v4, v12, vcc
	v_cmp_ne_u32_e32 vcc, 0, v1
	v_cndmask_b32_e32 v1, v5, v4, vcc
	v_add_u32_e32 v4, 0x7fff, v1
	v_lshrrev_b32_e32 v4, 16, v4
	v_cmp_o_f32_e32 vcc, v1, v1
	v_cndmask_b32_e32 v1, v11, v4, vcc
	s_branch .LBB48_283
.LBB48_170:
	s_mov_b64 s[44:45], -1
	s_mov_b64 s[0:1], 0
	s_mov_b64 s[36:37], 0
.LBB48_171:
	s_and_b64 vcc, exec, s[44:45]
	s_cbranch_vccz .LBB48_176
; %bb.172:
	v_mov_b32_e32 v2, 44
	v_cmp_eq_u16_sdwa s[44:45], v6, v2 src0_sel:BYTE_0 src1_sel:DWORD
	s_mov_b64 s[0:1], -1
	s_and_b64 vcc, exec, s[44:45]
	s_cbranch_vccz .LBB48_176
; %bb.173:
	v_and_b32_e32 v3, 0xffff, v10
	v_bfe_u32 v2, v3, 7, 8
	s_movk_i32 s0, 0xff
	v_cmp_ne_u32_e32 vcc, s0, v2
	v_mov_b32_e32 v4, 0xff
	s_and_saveexec_b64 s[36:37], vcc
; %bb.174:
	v_lshlrev_b32_e32 v5, 16, v3
	s_mov_b32 s0, 0x3f0000
	v_lshrrev_b32_e32 v4, 7, v3
	v_and_b32_e32 v3, 64, v3
	v_and_or_b32 v2, v5, s0, v2
	v_cmp_ne_u32_e32 vcc, 0, v3
	v_cmp_ne_u32_e64 s[0:1], 0, v2
	s_and_b64 s[0:1], vcc, s[0:1]
	v_cndmask_b32_e64 v2, 0, 1, s[0:1]
	v_add_u32_e32 v4, v4, v2
; %bb.175:
	s_or_b64 exec, exec, s[36:37]
	s_mov_b64 s[36:37], -1
	s_mov_b64 s[0:1], 0
	global_store_byte v[0:1], v4, off
.LBB48_176:
	s_mov_b64 s[44:45], 0
.LBB48_177:
	s_and_b64 vcc, exec, s[44:45]
	s_cbranch_vccz .LBB48_180
; %bb.178:
	v_mov_b32_e32 v2, 29
	v_cmp_eq_u16_sdwa s[44:45], v6, v2 src0_sel:BYTE_0 src1_sel:DWORD
	s_mov_b64 s[0:1], -1
	s_and_b64 vcc, exec, s[44:45]
	s_cbranch_vccz .LBB48_180
; %bb.179:
	v_lshlrev_b32_e32 v2, 16, v10
	v_trunc_f32_e32 v2, v2
	v_mul_f32_e32 v3, 0x2f800000, v2
	v_floor_f32_e32 v4, v3
	v_fmac_f32_e32 v2, 0xcf800000, v4
	v_cvt_u32_f32_e32 v3, v4
	v_cvt_u32_f32_e32 v2, v2
	s_mov_b64 s[36:37], -1
	s_mov_b64 s[0:1], 0
	s_mov_b64 s[44:45], 0
	global_store_dwordx2 v[0:1], v[2:3], off
	s_branch .LBB48_181
.LBB48_180:
	s_mov_b64 s[44:45], 0
.LBB48_181:
	s_and_b64 vcc, exec, s[44:45]
	s_cbranch_vccz .LBB48_197
; %bb.182:
	v_mov_b32_e32 v2, 27
	v_cmp_lt_i16_sdwa s[44:45], v6, v2 src0_sel:BYTE_0 src1_sel:DWORD
	s_mov_b64 s[36:37], -1
	s_and_b64 vcc, exec, s[44:45]
	s_cbranch_vccnz .LBB48_188
; %bb.183:
	v_cmp_gt_i16_sdwa s[44:45], v6, v2 src0_sel:BYTE_0 src1_sel:DWORD
	s_and_b64 vcc, exec, s[44:45]
	s_cbranch_vccz .LBB48_185
; %bb.184:
	v_lshlrev_b32_e32 v2, 16, v10
	v_cvt_u32_f32_e32 v2, v2
	s_mov_b64 s[36:37], 0
	global_store_dword v[0:1], v2, off
.LBB48_185:
	s_andn2_b64 vcc, exec, s[36:37]
	s_cbranch_vccnz .LBB48_187
; %bb.186:
	v_lshlrev_b32_e32 v2, 16, v10
	v_cvt_u32_f32_e32 v2, v2
	global_store_short v[0:1], v2, off
.LBB48_187:
	s_mov_b64 s[36:37], 0
.LBB48_188:
	s_andn2_b64 vcc, exec, s[36:37]
	s_cbranch_vccnz .LBB48_196
; %bb.189:
	v_lshlrev_b32_e32 v4, 16, v10
	v_and_b32_e32 v3, 0x7fffffff, v4
	s_mov_b32 s36, 0x43800000
	v_cmp_gt_u32_e32 vcc, s36, v3
	v_mov_b32_e32 v5, 0x80
	s_and_saveexec_b64 s[36:37], vcc
	s_cbranch_execz .LBB48_195
; %bb.190:
	s_mov_b32 s44, 0x3bffffff
	v_and_b32_e32 v2, 0xffff, v10
	v_cmp_lt_u32_e32 vcc, s44, v3
	s_mov_b64 s[44:45], 0
                                        ; implicit-def: $vgpr3
	s_and_saveexec_b64 s[48:49], vcc
	s_xor_b64 s[48:49], exec, s[48:49]
	s_cbranch_execz .LBB48_434
; %bb.191:
	v_bfe_u32 v3, v2, 4, 1
	s_mov_b32 s50, 0x487ffff
	v_add3_u32 v3, v4, v3, s50
	s_mov_b64 s[44:45], exec
	v_lshrrev_b32_e32 v3, 20, v3
                                        ; implicit-def: $vgpr4
	s_or_saveexec_b64 s[48:49], s[48:49]
                                        ; implicit-def: $sgpr50
	s_xor_b64 exec, exec, s[48:49]
	s_cbranch_execnz .LBB48_435
.LBB48_192:
	s_or_b64 exec, exec, s[48:49]
	v_mov_b32_e32 v5, s50
	s_and_saveexec_b64 s[48:49], s[44:45]
.LBB48_193:
	v_lshrrev_b32_e32 v2, 8, v2
	s_movk_i32 s44, 0x80
	v_and_or_b32 v5, v2, s44, v3
.LBB48_194:
	s_or_b64 exec, exec, s[48:49]
.LBB48_195:
	s_or_b64 exec, exec, s[36:37]
	global_store_byte v[0:1], v5, off
.LBB48_196:
	s_mov_b64 s[36:37], -1
.LBB48_197:
	s_mov_b64 s[44:45], 0
.LBB48_198:
	s_and_b64 vcc, exec, s[44:45]
	s_cbranch_vccz .LBB48_239
; %bb.199:
	v_mov_b32_e32 v2, 22
	v_cmp_gt_i16_sdwa s[48:49], v6, v2 src0_sel:BYTE_0 src1_sel:DWORD
	s_mov_b64 s[44:45], -1
	s_and_b64 vcc, exec, s[48:49]
	s_cbranch_vccz .LBB48_231
; %bb.200:
	v_mov_b32_e32 v2, 24
	v_cmp_lt_i16_sdwa s[44:45], v6, v2 src0_sel:BYTE_0 src1_sel:DWORD
	s_mov_b64 s[36:37], -1
	s_and_b64 vcc, exec, s[44:45]
	s_cbranch_vccnz .LBB48_220
; %bb.201:
	v_cmp_gt_i16_sdwa s[44:45], v6, v2 src0_sel:BYTE_0 src1_sel:DWORD
	s_and_b64 vcc, exec, s[44:45]
	s_cbranch_vccz .LBB48_209
; %bb.202:
	v_lshlrev_b32_e32 v4, 16, v10
	v_and_b32_e32 v3, 0x7fffffff, v4
	s_mov_b32 s36, 0x47800000
	v_cmp_gt_u32_e32 vcc, s36, v3
	v_mov_b32_e32 v5, 0x80
	s_and_saveexec_b64 s[36:37], vcc
	s_cbranch_execz .LBB48_208
; %bb.203:
	s_mov_b32 s44, 0x37ffffff
	v_and_b32_e32 v2, 0xffff, v10
	v_cmp_lt_u32_e32 vcc, s44, v3
	s_mov_b64 s[44:45], 0
                                        ; implicit-def: $vgpr3
	s_and_saveexec_b64 s[48:49], vcc
	s_xor_b64 s[48:49], exec, s[48:49]
	s_cbranch_execz .LBB48_553
; %bb.204:
	v_bfe_u32 v3, v2, 5, 1
	s_mov_b32 s50, 0x88fffff
	v_add3_u32 v3, v4, v3, s50
	s_mov_b64 s[44:45], exec
	v_lshrrev_b32_e32 v3, 21, v3
                                        ; implicit-def: $vgpr4
	s_or_saveexec_b64 s[48:49], s[48:49]
                                        ; implicit-def: $sgpr50
	s_xor_b64 exec, exec, s[48:49]
	s_cbranch_execnz .LBB48_554
.LBB48_205:
	s_or_b64 exec, exec, s[48:49]
	v_mov_b32_e32 v5, s50
	s_and_saveexec_b64 s[48:49], s[44:45]
.LBB48_206:
	v_lshrrev_b32_e32 v2, 8, v2
	s_movk_i32 s44, 0x80
	v_and_or_b32 v5, v2, s44, v3
.LBB48_207:
	s_or_b64 exec, exec, s[48:49]
.LBB48_208:
	s_or_b64 exec, exec, s[36:37]
	s_mov_b64 s[36:37], 0
	global_store_byte v[0:1], v5, off
.LBB48_209:
	s_and_b64 vcc, exec, s[36:37]
	s_cbranch_vccz .LBB48_219
; %bb.210:
	v_lshlrev_b32_e32 v4, 16, v10
	v_and_b32_e32 v5, 0x7fffffff, v4
	s_mov_b32 s36, 0x43f00000
	v_and_b32_e32 v2, 0xffff, v10
	v_cmp_gt_u32_e32 vcc, s36, v5
                                        ; implicit-def: $vgpr3
	s_and_saveexec_b64 s[36:37], vcc
	s_xor_b64 s[36:37], exec, s[36:37]
	s_cbranch_execz .LBB48_216
; %bb.211:
	s_mov_b32 s44, 0x3c7fffff
	v_cmp_lt_u32_e32 vcc, s44, v5
                                        ; implicit-def: $vgpr3
	s_and_saveexec_b64 s[44:45], vcc
	s_xor_b64 s[44:45], exec, s[44:45]
; %bb.212:
	v_bfe_u32 v3, v2, 4, 1
	s_mov_b32 s48, 0x407ffff
	v_add3_u32 v3, v4, v3, s48
	v_lshrrev_b32_e32 v4, 20, v3
	v_and_b32_e32 v3, 0xff00000, v3
	s_mov_b32 s48, 0x7f00000
	v_mov_b32_e32 v5, 0x7e
	v_cmp_ne_u32_e32 vcc, s48, v3
	v_cndmask_b32_e32 v3, v5, v4, vcc
                                        ; implicit-def: $vgpr4
; %bb.213:
	s_andn2_saveexec_b64 s[44:45], s[44:45]
; %bb.214:
	s_mov_b32 s48, 0x46800000
	v_add_f32_e64 v3, |v4|, s48
; %bb.215:
	s_or_b64 exec, exec, s[44:45]
                                        ; implicit-def: $vgpr5
.LBB48_216:
	s_andn2_saveexec_b64 s[36:37], s[36:37]
; %bb.217:
	s_mov_b32 s44, 0x7f800000
	v_mov_b32_e32 v3, 0x7e
	v_mov_b32_e32 v4, 0x7f
	v_cmp_lt_u32_e32 vcc, s44, v5
	v_cndmask_b32_e32 v3, v3, v4, vcc
; %bb.218:
	s_or_b64 exec, exec, s[36:37]
	v_lshrrev_b32_e32 v2, 8, v2
	s_movk_i32 s36, 0x80
	v_and_or_b32 v2, v2, s36, v3
	global_store_byte v[0:1], v2, off
.LBB48_219:
	s_mov_b64 s[36:37], 0
.LBB48_220:
	s_andn2_b64 vcc, exec, s[36:37]
	s_cbranch_vccnz .LBB48_230
; %bb.221:
	v_lshlrev_b32_e32 v4, 16, v10
	v_and_b32_e32 v5, 0x7fffffff, v4
	s_mov_b32 s36, 0x47800000
	v_and_b32_e32 v2, 0xffff, v10
	v_cmp_gt_u32_e32 vcc, s36, v5
                                        ; implicit-def: $vgpr3
	s_and_saveexec_b64 s[36:37], vcc
	s_xor_b64 s[36:37], exec, s[36:37]
	s_cbranch_execz .LBB48_227
; %bb.222:
	s_mov_b32 s44, 0x387fffff
	v_cmp_lt_u32_e32 vcc, s44, v5
                                        ; implicit-def: $vgpr3
	s_and_saveexec_b64 s[44:45], vcc
	s_xor_b64 s[44:45], exec, s[44:45]
; %bb.223:
	v_bfe_u32 v3, v2, 5, 1
	s_mov_b32 s48, 0x80fffff
	v_add3_u32 v3, v4, v3, s48
	v_lshrrev_b32_e32 v3, 21, v3
                                        ; implicit-def: $vgpr4
; %bb.224:
	s_andn2_saveexec_b64 s[44:45], s[44:45]
; %bb.225:
	s_mov_b32 s48, 0x43000000
	v_add_f32_e64 v3, |v4|, s48
; %bb.226:
	s_or_b64 exec, exec, s[44:45]
                                        ; implicit-def: $vgpr5
.LBB48_227:
	s_andn2_saveexec_b64 s[36:37], s[36:37]
; %bb.228:
	s_mov_b32 s44, 0x7f800000
	v_mov_b32_e32 v3, 0x7c
	v_mov_b32_e32 v4, 0x7f
	v_cmp_lt_u32_e32 vcc, s44, v5
	v_cndmask_b32_e32 v3, v3, v4, vcc
; %bb.229:
	s_or_b64 exec, exec, s[36:37]
	v_lshrrev_b32_e32 v2, 8, v2
	s_movk_i32 s36, 0x80
	v_and_or_b32 v2, v2, s36, v3
	global_store_byte v[0:1], v2, off
.LBB48_230:
	s_mov_b64 s[44:45], 0
	s_mov_b64 s[36:37], -1
.LBB48_231:
	s_andn2_b64 vcc, exec, s[44:45]
	s_cbranch_vccnz .LBB48_239
; %bb.232:
	v_mov_b32_e32 v2, 14
	v_cmp_gt_i16_sdwa s[48:49], v6, v2 src0_sel:BYTE_0 src1_sel:DWORD
	s_mov_b64 s[44:45], -1
	s_and_b64 vcc, exec, s[48:49]
	s_cbranch_vccz .LBB48_236
; %bb.233:
	v_mov_b32_e32 v2, 15
	v_cmp_eq_u16_sdwa s[44:45], v6, v2 src0_sel:BYTE_0 src1_sel:DWORD
	s_mov_b64 s[0:1], -1
	s_and_b64 vcc, exec, s[44:45]
	s_cbranch_vccz .LBB48_235
; %bb.234:
	global_store_short v[0:1], v10, off
	s_mov_b64 s[36:37], -1
	s_mov_b64 s[0:1], 0
.LBB48_235:
	s_mov_b64 s[44:45], 0
.LBB48_236:
	s_and_b64 vcc, exec, s[44:45]
	s_cbranch_vccz .LBB48_239
; %bb.237:
	v_mov_b32_e32 v2, 11
	v_cmp_eq_u16_sdwa s[44:45], v6, v2 src0_sel:BYTE_0 src1_sel:DWORD
	s_mov_b64 s[0:1], -1
	s_and_b64 vcc, exec, s[44:45]
	s_cbranch_vccz .LBB48_239
; %bb.238:
	v_and_b32_e32 v2, 0x7fff, v10
	v_cmp_ne_u16_e32 vcc, 0, v2
	v_cndmask_b32_e64 v2, 0, 1, vcc
	s_mov_b64 s[36:37], -1
	s_mov_b64 s[0:1], 0
	global_store_byte v[0:1], v2, off
.LBB48_239:
	s_mov_b64 s[44:45], 0
.LBB48_240:
	s_and_b64 vcc, exec, s[44:45]
	s_cbranch_vccz .LBB48_279
; %bb.241:
	v_mov_b32_e32 v2, 5
	v_cmp_lt_i16_sdwa s[44:45], v6, v2 src0_sel:BYTE_0 src1_sel:DWORD
	s_mov_b64 s[36:37], -1
	s_and_b64 vcc, exec, s[44:45]
	s_cbranch_vccnz .LBB48_262
; %bb.242:
	v_mov_b32_e32 v2, 8
	v_cmp_lt_i16_sdwa s[44:45], v6, v2 src0_sel:BYTE_0 src1_sel:DWORD
	s_and_b64 vcc, exec, s[44:45]
	s_cbranch_vccnz .LBB48_252
; %bb.243:
	v_mov_b32_e32 v2, 9
	v_cmp_lt_i16_sdwa s[44:45], v6, v2 src0_sel:BYTE_0 src1_sel:DWORD
	s_and_b64 vcc, exec, s[44:45]
	s_cbranch_vccnz .LBB48_249
; %bb.244:
	v_cmp_gt_i16_sdwa s[44:45], v6, v2 src0_sel:BYTE_0 src1_sel:DWORD
	s_and_b64 vcc, exec, s[44:45]
	s_cbranch_vccz .LBB48_246
; %bb.245:
	v_lshlrev_b32_e32 v2, 16, v10
	v_mov_b32_e32 v4, 0
	v_cvt_f64_f32_e32 v[2:3], v2
	v_mov_b32_e32 v5, v4
	global_store_dwordx4 v[0:1], v[2:5], off
	s_mov_b64 s[36:37], 0
.LBB48_246:
	s_andn2_b64 vcc, exec, s[36:37]
	s_cbranch_vccnz .LBB48_248
; %bb.247:
	v_lshlrev_b32_e32 v2, 16, v10
	v_mov_b32_e32 v3, 0
	global_store_dwordx2 v[0:1], v[2:3], off
.LBB48_248:
	s_mov_b64 s[36:37], 0
.LBB48_249:
	s_andn2_b64 vcc, exec, s[36:37]
	s_cbranch_vccnz .LBB48_251
; %bb.250:
	v_lshlrev_b32_e32 v2, 16, v10
	v_cvt_f16_f32_e32 v2, v2
	global_store_dword v[0:1], v2, off
.LBB48_251:
	s_mov_b64 s[36:37], 0
.LBB48_252:
	s_andn2_b64 vcc, exec, s[36:37]
	s_cbranch_vccnz .LBB48_261
; %bb.253:
	v_mov_b32_e32 v2, 6
	v_cmp_lt_i16_sdwa s[44:45], v6, v2 src0_sel:BYTE_0 src1_sel:DWORD
	s_mov_b64 s[36:37], -1
	s_and_b64 vcc, exec, s[44:45]
	s_cbranch_vccnz .LBB48_259
; %bb.254:
	v_cmp_gt_i16_sdwa s[44:45], v6, v2 src0_sel:BYTE_0 src1_sel:DWORD
	s_and_b64 vcc, exec, s[44:45]
	s_cbranch_vccz .LBB48_256
; %bb.255:
	v_lshlrev_b32_e32 v2, 16, v10
	v_cvt_f64_f32_e32 v[2:3], v2
	global_store_dwordx2 v[0:1], v[2:3], off
	s_mov_b64 s[36:37], 0
.LBB48_256:
	s_andn2_b64 vcc, exec, s[36:37]
	s_cbranch_vccnz .LBB48_258
; %bb.257:
	v_lshlrev_b32_e32 v2, 16, v10
	global_store_dword v[0:1], v2, off
.LBB48_258:
	s_mov_b64 s[36:37], 0
.LBB48_259:
	s_andn2_b64 vcc, exec, s[36:37]
	s_cbranch_vccnz .LBB48_261
; %bb.260:
	v_lshlrev_b32_e32 v2, 16, v10
	v_cvt_f16_f32_e32 v2, v2
	global_store_short v[0:1], v2, off
.LBB48_261:
	s_mov_b64 s[36:37], 0
.LBB48_262:
	s_andn2_b64 vcc, exec, s[36:37]
	s_cbranch_vccnz .LBB48_278
; %bb.263:
	v_mov_b32_e32 v2, 2
	v_cmp_lt_i16_sdwa s[44:45], v6, v2 src0_sel:BYTE_0 src1_sel:DWORD
	s_mov_b64 s[36:37], -1
	s_and_b64 vcc, exec, s[44:45]
	s_cbranch_vccnz .LBB48_273
; %bb.264:
	v_mov_b32_e32 v2, 3
	v_cmp_lt_i16_sdwa s[44:45], v6, v2 src0_sel:BYTE_0 src1_sel:DWORD
	s_and_b64 vcc, exec, s[44:45]
	s_cbranch_vccnz .LBB48_270
; %bb.265:
	v_cmp_gt_i16_sdwa s[44:45], v6, v2 src0_sel:BYTE_0 src1_sel:DWORD
	s_and_b64 vcc, exec, s[44:45]
	s_cbranch_vccz .LBB48_267
; %bb.266:
	v_lshlrev_b32_e32 v2, 16, v10
	v_trunc_f32_e32 v2, v2
	s_mov_b32 s36, 0x2f800000
	v_mul_f32_e64 v3, |v2|, s36
	v_floor_f32_e32 v3, v3
	s_mov_b32 s36, 0xcf800000
	v_cvt_u32_f32_e32 v4, v3
	v_fma_f32 v3, v3, s36, |v2|
	v_cvt_u32_f32_e32 v3, v3
	v_ashrrev_i32_e32 v5, 31, v2
	v_xor_b32_e32 v4, v4, v5
	s_mov_b64 s[36:37], 0
	v_xor_b32_e32 v2, v3, v5
	v_sub_co_u32_e32 v2, vcc, v2, v5
	v_subb_co_u32_e32 v3, vcc, v4, v5, vcc
	global_store_dwordx2 v[0:1], v[2:3], off
.LBB48_267:
	s_andn2_b64 vcc, exec, s[36:37]
	s_cbranch_vccnz .LBB48_269
; %bb.268:
	v_lshlrev_b32_e32 v2, 16, v10
	v_cvt_i32_f32_e32 v2, v2
	global_store_dword v[0:1], v2, off
.LBB48_269:
	s_mov_b64 s[36:37], 0
.LBB48_270:
	s_andn2_b64 vcc, exec, s[36:37]
	s_cbranch_vccnz .LBB48_272
; %bb.271:
	v_lshlrev_b32_e32 v2, 16, v10
	v_cvt_i32_f32_e32 v2, v2
	global_store_short v[0:1], v2, off
.LBB48_272:
	s_mov_b64 s[36:37], 0
.LBB48_273:
	s_andn2_b64 vcc, exec, s[36:37]
	s_cbranch_vccnz .LBB48_278
; %bb.274:
	v_mov_b32_e32 v2, 0
	v_cmp_gt_i16_sdwa s[44:45], v6, v2 src0_sel:BYTE_0 src1_sel:DWORD
	s_mov_b64 s[36:37], -1
	s_and_b64 vcc, exec, s[44:45]
	s_cbranch_vccz .LBB48_276
; %bb.275:
	v_lshlrev_b32_e32 v2, 16, v10
	v_cvt_i32_f32_e32 v2, v2
	s_mov_b64 s[36:37], 0
	global_store_byte v[0:1], v2, off
.LBB48_276:
	s_andn2_b64 vcc, exec, s[36:37]
	s_cbranch_vccnz .LBB48_278
; %bb.277:
	v_lshlrev_b32_e32 v2, 16, v10
	v_trunc_f32_e32 v2, v2
	s_mov_b32 s36, 0x2f800000
	v_mul_f32_e64 v3, |v2|, s36
	v_floor_f32_e32 v3, v3
	s_mov_b32 s36, 0xcf800000
	v_fma_f32 v3, v3, s36, |v2|
	v_cvt_u32_f32_e32 v3, v3
	v_ashrrev_i32_e32 v2, 31, v2
	v_xor_b32_e32 v3, v3, v2
	v_sub_u32_e32 v2, v3, v2
	global_store_byte v[0:1], v2, off
.LBB48_278:
	s_mov_b64 s[36:37], -1
.LBB48_279:
	s_andn2_b64 vcc, exec, s[36:37]
	s_cbranch_vccnz .LBB48_281
; %bb.280:
	v_add_u32_e32 v8, 0x80, v8
	s_mov_b64 s[44:45], -1
	s_branch .LBB48_394
.LBB48_281:
	s_mov_b64 s[44:45], 0
                                        ; implicit-def: $vgpr8
	s_branch .LBB48_394
.LBB48_282:
	s_mov_b64 s[38:39], -1
                                        ; implicit-def: $vgpr1
.LBB48_283:
	s_mov_b64 s[36:37], 0
.LBB48_284:
	s_and_b64 vcc, exec, s[36:37]
	s_cbranch_vccz .LBB48_288
; %bb.285:
	s_waitcnt vmcnt(0)
	v_mov_b32_e32 v1, 29
	v_cmp_eq_u16_sdwa s[36:37], v7, v1 src0_sel:BYTE_0 src1_sel:DWORD
	s_and_b64 vcc, exec, s[36:37]
	s_cbranch_vccz .LBB48_287
; %bb.286:
	global_load_dwordx2 v[4:5], v[2:3], off
	s_movk_i32 s36, 0x7fff
	s_mov_b64 s[0:1], -1
	s_mov_b64 s[38:39], 0
	s_waitcnt vmcnt(0)
	v_ffbh_u32_e32 v1, v5
	v_min_u32_e32 v1, 32, v1
	v_lshlrev_b64 v[4:5], v1, v[4:5]
	v_min_u32_e32 v4, 1, v4
	v_or_b32_e32 v4, v5, v4
	v_cvt_f32_u32_e32 v4, v4
	v_sub_u32_e32 v1, 32, v1
	v_ldexp_f32 v1, v4, v1
	v_bfe_u32 v4, v1, 16, 1
	v_add3_u32 v1, v1, v4, s36
	v_lshrrev_b32_e32 v1, 16, v1
	s_branch .LBB48_288
.LBB48_287:
	s_mov_b64 s[38:39], -1
                                        ; implicit-def: $vgpr1
.LBB48_288:
	s_mov_b64 s[36:37], 0
.LBB48_289:
	s_and_b64 vcc, exec, s[36:37]
	s_cbranch_vccz .LBB48_307
; %bb.290:
	s_waitcnt vmcnt(0)
	v_mov_b32_e32 v1, 27
	v_cmp_lt_i16_sdwa s[0:1], v7, v1 src0_sel:BYTE_0 src1_sel:DWORD
	s_and_b64 vcc, exec, s[0:1]
	s_cbranch_vccnz .LBB48_293
; %bb.291:
	v_cmp_gt_i16_sdwa s[0:1], v7, v1 src0_sel:BYTE_0 src1_sel:DWORD
	s_and_b64 vcc, exec, s[0:1]
	s_cbranch_vccz .LBB48_294
; %bb.292:
	global_load_dword v1, v[2:3], off
	s_movk_i32 s0, 0x7fff
	s_waitcnt vmcnt(0)
	v_cvt_f32_u32_e32 v1, v1
	v_bfe_u32 v4, v1, 16, 1
	v_add3_u32 v1, v1, v4, s0
	v_lshrrev_b32_e32 v1, 16, v1
	s_mov_b64 s[0:1], 0
	s_branch .LBB48_295
.LBB48_293:
	s_mov_b64 s[0:1], -1
                                        ; implicit-def: $vgpr1
	s_branch .LBB48_298
.LBB48_294:
	s_mov_b64 s[0:1], -1
                                        ; implicit-def: $vgpr1
.LBB48_295:
	s_andn2_b64 vcc, exec, s[0:1]
	s_cbranch_vccnz .LBB48_297
; %bb.296:
	global_load_ushort v1, v[2:3], off
	s_movk_i32 s0, 0x7fff
	s_waitcnt vmcnt(0)
	v_cvt_f32_u32_e32 v1, v1
	v_bfe_u32 v4, v1, 16, 1
	v_add3_u32 v1, v1, v4, s0
	v_lshrrev_b32_e32 v1, 16, v1
.LBB48_297:
	s_mov_b64 s[0:1], 0
.LBB48_298:
	s_andn2_b64 vcc, exec, s[0:1]
	s_cbranch_vccnz .LBB48_306
; %bb.299:
	global_load_ubyte v1, v[2:3], off
	s_movk_i32 s0, 0x7f
                                        ; implicit-def: $sgpr48
	s_waitcnt vmcnt(0)
	v_cmp_lt_i16_e32 vcc, s0, v1
	s_mov_b64 s[0:1], 0
	s_and_saveexec_b64 s[36:37], vcc
	s_xor_b64 s[36:37], exec, s[36:37]
	s_cbranch_execz .LBB48_320
; %bb.300:
	s_movk_i32 s0, 0x80
	v_cmp_eq_u16_e32 vcc, s0, v1
	s_mov_b64 s[0:1], -1
                                        ; implicit-def: $sgpr48
	s_and_saveexec_b64 s[44:45], vcc
; %bb.301:
	s_mov_b32 s48, 0x7f800001
	s_xor_b64 s[0:1], exec, -1
; %bb.302:
	s_or_b64 exec, exec, s[44:45]
	s_and_b64 s[0:1], s[0:1], exec
	s_or_saveexec_b64 s[36:37], s[36:37]
	v_mov_b32_e32 v4, s48
	s_xor_b64 exec, exec, s[36:37]
	s_cbranch_execnz .LBB48_321
.LBB48_303:
	s_or_b64 exec, exec, s[36:37]
	s_and_saveexec_b64 s[36:37], s[0:1]
	s_cbranch_execz .LBB48_305
.LBB48_304:
	v_lshlrev_b32_e32 v4, 24, v1
	v_and_b32_e32 v1, 0xffff, v1
	v_and_b32_e32 v5, 7, v1
	v_ffbh_u32_e32 v12, v5
	v_min_u32_e32 v12, 32, v12
	v_subrev_u32_e32 v13, 28, v12
	v_bfe_u32 v11, v1, 3, 4
	v_lshlrev_b32_e32 v1, v13, v1
	v_sub_u32_e32 v12, 29, v12
	v_and_b32_e32 v1, 7, v1
	v_cmp_eq_u32_e32 vcc, 0, v11
	v_cndmask_b32_e32 v11, v11, v12, vcc
	v_cndmask_b32_e32 v1, v5, v1, vcc
	v_mov_b32_e32 v5, 0x3b800000
	v_lshlrev_b32_e32 v1, 20, v1
	v_and_b32_e32 v4, 0x80000000, v4
	v_lshl_add_u32 v5, v11, 23, v5
	v_or3_b32 v4, v4, v5, v1
.LBB48_305:
	s_or_b64 exec, exec, s[36:37]
	v_bfe_u32 v1, v4, 16, 1
	s_movk_i32 s0, 0x7fff
	v_add3_u32 v1, v4, v1, s0
	v_lshrrev_b32_e32 v1, 16, v1
	v_mov_b32_e32 v5, 0x7fc0
	v_cmp_o_f32_e32 vcc, v4, v4
	v_cndmask_b32_e32 v1, v5, v1, vcc
.LBB48_306:
	s_mov_b64 s[0:1], -1
.LBB48_307:
	s_mov_b64 s[36:37], 0
.LBB48_308:
	s_and_b64 vcc, exec, s[36:37]
	s_cbranch_vccz .LBB48_343
; %bb.309:
	s_waitcnt vmcnt(0)
	v_mov_b32_e32 v1, 22
	v_cmp_gt_i16_sdwa s[36:37], v7, v1 src0_sel:BYTE_0 src1_sel:DWORD
	s_and_b64 vcc, exec, s[36:37]
	s_cbranch_vccz .LBB48_319
; %bb.310:
	v_mov_b32_e32 v1, 24
	v_cmp_lt_i16_sdwa s[0:1], v7, v1 src0_sel:BYTE_0 src1_sel:DWORD
	s_and_b64 vcc, exec, s[0:1]
	s_cbranch_vccnz .LBB48_322
; %bb.311:
	v_cmp_gt_i16_sdwa s[0:1], v7, v1 src0_sel:BYTE_0 src1_sel:DWORD
	s_and_b64 vcc, exec, s[0:1]
	s_cbranch_vccz .LBB48_323
; %bb.312:
	global_load_ubyte v1, v[2:3], off
	s_movk_i32 s0, 0x7f
                                        ; implicit-def: $sgpr48
	s_waitcnt vmcnt(0)
	v_cmp_lt_i16_e32 vcc, s0, v1
	s_mov_b64 s[0:1], 0
	s_and_saveexec_b64 s[36:37], vcc
	s_xor_b64 s[36:37], exec, s[36:37]
	s_cbranch_execz .LBB48_335
; %bb.313:
	s_movk_i32 s0, 0x80
	v_cmp_eq_u16_e32 vcc, s0, v1
	s_mov_b64 s[0:1], -1
                                        ; implicit-def: $sgpr48
	s_and_saveexec_b64 s[44:45], vcc
; %bb.314:
	s_mov_b32 s48, 0x7f800001
	s_xor_b64 s[0:1], exec, -1
; %bb.315:
	s_or_b64 exec, exec, s[44:45]
	s_and_b64 s[0:1], s[0:1], exec
	s_or_saveexec_b64 s[36:37], s[36:37]
	v_mov_b32_e32 v4, s48
	s_xor_b64 exec, exec, s[36:37]
	s_cbranch_execnz .LBB48_336
.LBB48_316:
	s_or_b64 exec, exec, s[36:37]
	s_and_saveexec_b64 s[36:37], s[0:1]
	s_cbranch_execz .LBB48_318
.LBB48_317:
	v_lshlrev_b32_e32 v4, 24, v1
	v_and_b32_e32 v1, 0xffff, v1
	v_and_b32_e32 v5, 3, v1
	v_ffbh_u32_e32 v12, v5
	v_min_u32_e32 v12, 32, v12
	v_subrev_u32_e32 v13, 29, v12
	v_bfe_u32 v11, v1, 2, 5
	v_lshlrev_b32_e32 v1, v13, v1
	v_sub_u32_e32 v12, 30, v12
	v_and_b32_e32 v1, 3, v1
	v_cmp_eq_u32_e32 vcc, 0, v11
	v_cndmask_b32_e32 v11, v11, v12, vcc
	v_cndmask_b32_e32 v1, v5, v1, vcc
	v_mov_b32_e32 v5, 0x37800000
	v_lshlrev_b32_e32 v1, 21, v1
	v_and_b32_e32 v4, 0x80000000, v4
	v_lshl_add_u32 v5, v11, 23, v5
	v_or3_b32 v4, v4, v5, v1
.LBB48_318:
	s_or_b64 exec, exec, s[36:37]
	v_bfe_u32 v1, v4, 16, 1
	s_movk_i32 s0, 0x7fff
	v_add3_u32 v1, v4, v1, s0
	v_lshrrev_b32_e32 v1, 16, v1
	v_mov_b32_e32 v5, 0x7fc0
	v_cmp_o_f32_e32 vcc, v4, v4
	v_cndmask_b32_e32 v1, v5, v1, vcc
	s_mov_b64 s[0:1], 0
	s_branch .LBB48_324
.LBB48_319:
	s_mov_b64 s[36:37], -1
                                        ; implicit-def: $vgpr1
	s_branch .LBB48_330
.LBB48_320:
	s_or_saveexec_b64 s[36:37], s[36:37]
	v_mov_b32_e32 v4, s48
	s_xor_b64 exec, exec, s[36:37]
	s_cbranch_execz .LBB48_303
.LBB48_321:
	v_cmp_ne_u16_e32 vcc, 0, v1
	s_andn2_b64 s[0:1], s[0:1], exec
	s_and_b64 s[44:45], vcc, exec
	v_mov_b32_e32 v4, 0
	s_or_b64 s[0:1], s[0:1], s[44:45]
	s_or_b64 exec, exec, s[36:37]
	s_and_saveexec_b64 s[36:37], s[0:1]
	s_cbranch_execnz .LBB48_304
	s_branch .LBB48_305
.LBB48_322:
	s_mov_b64 s[0:1], -1
                                        ; implicit-def: $vgpr1
	s_branch .LBB48_327
.LBB48_323:
	s_mov_b64 s[0:1], -1
                                        ; implicit-def: $vgpr1
.LBB48_324:
	s_and_b64 vcc, exec, s[0:1]
	s_cbranch_vccz .LBB48_326
; %bb.325:
	global_load_ubyte v1, v[2:3], off
	s_mov_b32 s0, 0x7f800000
	s_brev_b32 s1, 1
	s_movk_i32 s36, 0x7fff
	v_mov_b32_e32 v4, 0x7fc0
	s_waitcnt vmcnt(0)
	v_lshlrev_b32_e32 v1, 24, v1
	v_and_b32_e32 v5, 0x7f000000, v1
	v_ffbh_u32_e32 v11, v5
	v_min_u32_e32 v11, 32, v11
	v_sub_u32_e64 v11, v11, 4 clamp
	v_lshlrev_b32_e32 v13, v11, v5
	v_lshlrev_b32_e32 v11, 23, v11
	v_lshrrev_b32_e32 v13, 4, v13
	v_add_u32_e32 v12, 0x1000000, v5
	v_sub_u32_e32 v11, v13, v11
	v_ashrrev_i32_e32 v12, 8, v12
	v_add_u32_e32 v11, 0x3c000000, v11
	v_and_or_b32 v11, v12, s0, v11
	v_cmp_ne_u32_e32 vcc, 0, v5
	v_cndmask_b32_e32 v5, 0, v11, vcc
	v_and_or_b32 v1, v1, s1, v5
	v_bfe_u32 v5, v5, 16, 1
	v_add3_u32 v5, v1, v5, s36
	v_lshrrev_b32_e32 v5, 16, v5
	v_cmp_o_f32_e32 vcc, v1, v1
	v_cndmask_b32_e32 v1, v4, v5, vcc
.LBB48_326:
	s_mov_b64 s[0:1], 0
.LBB48_327:
	s_andn2_b64 vcc, exec, s[0:1]
	s_cbranch_vccnz .LBB48_329
; %bb.328:
	global_load_ubyte v1, v[2:3], off
	s_movk_i32 s0, 0x7f00
	s_brev_b32 s1, 16
	s_brev_b32 s36, 1
	s_movk_i32 s37, 0x7fff
	v_mov_b32_e32 v4, 0x7fc0
	s_waitcnt vmcnt(0)
	v_lshlrev_b16_e32 v5, 8, v1
	v_lshlrev_b32_e32 v1, 25, v1
	v_lshrrev_b32_e32 v11, 4, v1
	v_and_or_b32 v12, v5, s0, 0.5
	v_or_b32_e32 v11, 0x70000000, v11
	v_add_f32_e32 v12, -0.5, v12
	v_mul_f32_e32 v11, 0x7800000, v11
	v_cmp_gt_u32_e32 vcc, s1, v1
	v_bfe_i32 v5, v5, 0, 16
	v_cndmask_b32_e32 v1, v11, v12, vcc
	v_and_or_b32 v5, v5, s36, v1
	v_bfe_u32 v1, v1, 16, 1
	v_add3_u32 v1, v5, v1, s37
	v_lshrrev_b32_e32 v1, 16, v1
	v_cmp_o_f32_e32 vcc, v5, v5
	v_cndmask_b32_e32 v1, v4, v1, vcc
.LBB48_329:
	s_mov_b64 s[36:37], 0
	s_mov_b64 s[0:1], -1
.LBB48_330:
	s_andn2_b64 vcc, exec, s[36:37]
	s_cbranch_vccnz .LBB48_343
; %bb.331:
	v_mov_b32_e32 v1, 14
	v_cmp_gt_i16_sdwa s[36:37], v7, v1 src0_sel:BYTE_0 src1_sel:DWORD
	s_and_b64 vcc, exec, s[36:37]
	s_cbranch_vccz .LBB48_334
; %bb.332:
	v_mov_b32_e32 v1, 15
	v_cmp_eq_u16_sdwa s[36:37], v7, v1 src0_sel:BYTE_0 src1_sel:DWORD
	s_and_b64 vcc, exec, s[36:37]
	s_cbranch_vccz .LBB48_337
; %bb.333:
	global_load_ushort v1, v[2:3], off
	s_mov_b64 s[0:1], -1
	s_mov_b64 s[38:39], 0
	s_branch .LBB48_338
.LBB48_334:
	s_mov_b64 s[36:37], -1
                                        ; implicit-def: $vgpr1
	s_branch .LBB48_339
.LBB48_335:
	s_or_saveexec_b64 s[36:37], s[36:37]
	v_mov_b32_e32 v4, s48
	s_xor_b64 exec, exec, s[36:37]
	s_cbranch_execz .LBB48_316
.LBB48_336:
	v_cmp_ne_u16_e32 vcc, 0, v1
	s_andn2_b64 s[0:1], s[0:1], exec
	s_and_b64 s[44:45], vcc, exec
	v_mov_b32_e32 v4, 0
	s_or_b64 s[0:1], s[0:1], s[44:45]
	s_or_b64 exec, exec, s[36:37]
	s_and_saveexec_b64 s[36:37], s[0:1]
	s_cbranch_execnz .LBB48_317
	s_branch .LBB48_318
.LBB48_337:
	s_mov_b64 s[38:39], -1
                                        ; implicit-def: $vgpr1
.LBB48_338:
	s_mov_b64 s[36:37], 0
.LBB48_339:
	s_and_b64 vcc, exec, s[36:37]
	s_cbranch_vccz .LBB48_343
; %bb.340:
	s_waitcnt vmcnt(0)
	v_mov_b32_e32 v1, 11
	v_cmp_eq_u16_sdwa s[36:37], v7, v1 src0_sel:BYTE_0 src1_sel:DWORD
	s_and_b64 vcc, exec, s[36:37]
	s_cbranch_vccz .LBB48_342
; %bb.341:
	global_load_ubyte v1, v[2:3], off
	s_mov_b64 s[0:1], -1
	s_mov_b64 s[38:39], 0
	s_waitcnt vmcnt(0)
	v_cmp_ne_u16_e32 vcc, 0, v1
	v_cndmask_b32_e64 v1, 0, 1.0, vcc
	v_lshrrev_b32_e32 v1, 16, v1
	s_branch .LBB48_343
.LBB48_342:
	s_mov_b64 s[38:39], -1
                                        ; implicit-def: $vgpr1
.LBB48_343:
	s_branch .LBB48_30
.LBB48_344:
	s_waitcnt vmcnt(0)
	v_mov_b32_e32 v1, 5
	v_cmp_lt_i16_sdwa s[0:1], v7, v1 src0_sel:BYTE_0 src1_sel:DWORD
	s_and_b64 vcc, exec, s[0:1]
	s_cbranch_vccnz .LBB48_349
; %bb.345:
	v_mov_b32_e32 v1, 8
	v_cmp_lt_i16_sdwa s[0:1], v7, v1 src0_sel:BYTE_0 src1_sel:DWORD
	s_and_b64 vcc, exec, s[0:1]
	s_cbranch_vccnz .LBB48_350
; %bb.346:
	;; [unrolled: 5-line block ×3, first 2 shown]
	v_cmp_gt_i16_sdwa s[0:1], v7, v1 src0_sel:BYTE_0 src1_sel:DWORD
	s_and_b64 vcc, exec, s[0:1]
	s_cbranch_vccz .LBB48_352
; %bb.348:
	global_load_dwordx2 v[4:5], v[2:3], off
	s_movk_i32 s0, 0x7fff
	v_mov_b32_e32 v1, 0x7fc0
	s_waitcnt vmcnt(0)
	v_cvt_f32_f64_e32 v4, v[4:5]
	v_bfe_u32 v5, v4, 16, 1
	v_add3_u32 v5, v4, v5, s0
	v_lshrrev_b32_e32 v5, 16, v5
	v_cmp_o_f32_e32 vcc, v4, v4
	v_cndmask_b32_e32 v1, v1, v5, vcc
	s_mov_b64 s[0:1], 0
	s_branch .LBB48_353
.LBB48_349:
	s_mov_b64 s[0:1], -1
                                        ; implicit-def: $vgpr1
	s_branch .LBB48_371
.LBB48_350:
	s_mov_b64 s[0:1], -1
                                        ; implicit-def: $vgpr1
	s_branch .LBB48_359
.LBB48_351:
	s_mov_b64 s[0:1], -1
                                        ; implicit-def: $vgpr1
	s_branch .LBB48_356
.LBB48_352:
	s_mov_b64 s[0:1], -1
                                        ; implicit-def: $vgpr1
.LBB48_353:
	s_andn2_b64 vcc, exec, s[0:1]
	s_cbranch_vccnz .LBB48_355
; %bb.354:
	global_load_dword v1, v[2:3], off
	s_movk_i32 s0, 0x7fff
	v_mov_b32_e32 v4, 0x7fc0
	s_waitcnt vmcnt(0)
	v_bfe_u32 v5, v1, 16, 1
	v_add3_u32 v5, v1, v5, s0
	v_lshrrev_b32_e32 v5, 16, v5
	v_cmp_o_f32_e32 vcc, v1, v1
	v_cndmask_b32_e32 v1, v4, v5, vcc
.LBB48_355:
	s_mov_b64 s[0:1], 0
.LBB48_356:
	s_andn2_b64 vcc, exec, s[0:1]
	s_cbranch_vccnz .LBB48_358
; %bb.357:
	global_load_dword v1, v[2:3], off
	s_movk_i32 s0, 0x7fff
	v_mov_b32_e32 v5, 0x7fc0
	s_waitcnt vmcnt(0)
	v_cvt_f32_f16_e32 v4, v1
	v_cmp_o_f16_e32 vcc, v1, v1
	v_bfe_u32 v11, v4, 16, 1
	v_add3_u32 v4, v4, v11, s0
	v_lshrrev_b32_e32 v4, 16, v4
	v_cndmask_b32_e32 v1, v5, v4, vcc
.LBB48_358:
	s_mov_b64 s[0:1], 0
.LBB48_359:
	s_andn2_b64 vcc, exec, s[0:1]
	s_cbranch_vccnz .LBB48_370
; %bb.360:
	v_mov_b32_e32 v1, 6
	v_cmp_lt_i16_sdwa s[0:1], v7, v1 src0_sel:BYTE_0 src1_sel:DWORD
	s_and_b64 vcc, exec, s[0:1]
	s_cbranch_vccnz .LBB48_363
; %bb.361:
	v_cmp_gt_i16_sdwa s[0:1], v7, v1 src0_sel:BYTE_0 src1_sel:DWORD
	s_and_b64 vcc, exec, s[0:1]
	s_cbranch_vccz .LBB48_364
; %bb.362:
	global_load_dwordx2 v[4:5], v[2:3], off
	s_movk_i32 s0, 0x7fff
	v_mov_b32_e32 v1, 0x7fc0
	s_waitcnt vmcnt(0)
	v_cvt_f32_f64_e32 v4, v[4:5]
	v_bfe_u32 v5, v4, 16, 1
	v_add3_u32 v5, v4, v5, s0
	v_lshrrev_b32_e32 v5, 16, v5
	v_cmp_o_f32_e32 vcc, v4, v4
	v_cndmask_b32_e32 v1, v1, v5, vcc
	s_mov_b64 s[0:1], 0
	s_branch .LBB48_365
.LBB48_363:
	s_mov_b64 s[0:1], -1
                                        ; implicit-def: $vgpr1
	s_branch .LBB48_368
.LBB48_364:
	s_mov_b64 s[0:1], -1
                                        ; implicit-def: $vgpr1
.LBB48_365:
	s_andn2_b64 vcc, exec, s[0:1]
	s_cbranch_vccnz .LBB48_367
; %bb.366:
	global_load_dword v1, v[2:3], off
	s_movk_i32 s0, 0x7fff
	v_mov_b32_e32 v4, 0x7fc0
	s_waitcnt vmcnt(0)
	v_bfe_u32 v5, v1, 16, 1
	v_add3_u32 v5, v1, v5, s0
	v_lshrrev_b32_e32 v5, 16, v5
	v_cmp_o_f32_e32 vcc, v1, v1
	v_cndmask_b32_e32 v1, v4, v5, vcc
.LBB48_367:
	s_mov_b64 s[0:1], 0
.LBB48_368:
	s_andn2_b64 vcc, exec, s[0:1]
	s_cbranch_vccnz .LBB48_370
; %bb.369:
	global_load_ushort v1, v[2:3], off
	s_movk_i32 s0, 0x7fff
	v_mov_b32_e32 v5, 0x7fc0
	s_waitcnt vmcnt(0)
	v_cvt_f32_f16_e32 v4, v1
	v_cmp_o_f16_e32 vcc, v1, v1
	v_bfe_u32 v11, v4, 16, 1
	v_add3_u32 v4, v4, v11, s0
	v_lshrrev_b32_e32 v4, 16, v4
	v_cndmask_b32_e32 v1, v5, v4, vcc
.LBB48_370:
	s_mov_b64 s[0:1], 0
.LBB48_371:
	s_andn2_b64 vcc, exec, s[0:1]
	s_cbranch_vccnz .LBB48_391
; %bb.372:
	v_mov_b32_e32 v1, 2
	v_cmp_lt_i16_sdwa s[0:1], v7, v1 src0_sel:BYTE_0 src1_sel:DWORD
	s_and_b64 vcc, exec, s[0:1]
	s_cbranch_vccnz .LBB48_376
; %bb.373:
	v_mov_b32_e32 v1, 3
	v_cmp_lt_i16_sdwa s[0:1], v7, v1 src0_sel:BYTE_0 src1_sel:DWORD
	s_and_b64 vcc, exec, s[0:1]
	s_cbranch_vccnz .LBB48_377
; %bb.374:
	v_cmp_gt_i16_sdwa s[0:1], v7, v1 src0_sel:BYTE_0 src1_sel:DWORD
	s_and_b64 vcc, exec, s[0:1]
	s_cbranch_vccz .LBB48_378
; %bb.375:
	global_load_dwordx2 v[4:5], v[2:3], off
	s_movk_i32 s0, 0x7fff
	s_waitcnt vmcnt(0)
	v_xor_b32_e32 v11, v4, v5
	v_ffbh_i32_e32 v1, v5
	v_ashrrev_i32_e32 v11, 31, v11
	v_add_u32_e32 v1, -1, v1
	v_add_u32_e32 v11, 32, v11
	v_min_u32_e32 v1, v1, v11
	v_lshlrev_b64 v[4:5], v1, v[4:5]
	v_min_u32_e32 v4, 1, v4
	v_or_b32_e32 v4, v5, v4
	v_cvt_f32_i32_e32 v4, v4
	v_sub_u32_e32 v1, 32, v1
	v_ldexp_f32 v1, v4, v1
	v_bfe_u32 v4, v1, 16, 1
	v_add3_u32 v1, v1, v4, s0
	v_lshrrev_b32_e32 v1, 16, v1
	s_mov_b64 s[0:1], 0
	s_branch .LBB48_379
.LBB48_376:
	s_mov_b64 s[0:1], -1
                                        ; implicit-def: $vgpr1
	s_branch .LBB48_385
.LBB48_377:
	s_mov_b64 s[0:1], -1
                                        ; implicit-def: $vgpr1
	s_branch .LBB48_382
.LBB48_378:
	s_mov_b64 s[0:1], -1
                                        ; implicit-def: $vgpr1
.LBB48_379:
	s_andn2_b64 vcc, exec, s[0:1]
	s_cbranch_vccnz .LBB48_381
; %bb.380:
	global_load_dword v1, v[2:3], off
	s_movk_i32 s0, 0x7fff
	s_waitcnt vmcnt(0)
	v_cvt_f32_i32_e32 v1, v1
	v_bfe_u32 v4, v1, 16, 1
	v_add3_u32 v1, v1, v4, s0
	v_lshrrev_b32_e32 v1, 16, v1
.LBB48_381:
	s_mov_b64 s[0:1], 0
.LBB48_382:
	s_andn2_b64 vcc, exec, s[0:1]
	s_cbranch_vccnz .LBB48_384
; %bb.383:
	global_load_sshort v1, v[2:3], off
	s_movk_i32 s0, 0x7fff
	s_waitcnt vmcnt(0)
	v_cvt_f32_i32_e32 v1, v1
	v_bfe_u32 v4, v1, 16, 1
	v_add3_u32 v1, v1, v4, s0
	v_lshrrev_b32_e32 v1, 16, v1
.LBB48_384:
	s_mov_b64 s[0:1], 0
.LBB48_385:
	s_andn2_b64 vcc, exec, s[0:1]
	s_cbranch_vccnz .LBB48_391
; %bb.386:
	v_mov_b32_e32 v1, 0
	v_cmp_gt_i16_sdwa s[0:1], v7, v1 src0_sel:BYTE_0 src1_sel:DWORD
	s_and_b64 vcc, exec, s[0:1]
	s_cbranch_vccz .LBB48_388
; %bb.387:
	global_load_sbyte v1, v[2:3], off
	s_movk_i32 s0, 0x7fff
	s_waitcnt vmcnt(0)
	v_cvt_f32_i32_e32 v1, v1
	v_bfe_u32 v4, v1, 16, 1
	v_add3_u32 v1, v1, v4, s0
	v_lshrrev_b32_e32 v1, 16, v1
	s_mov_b64 s[0:1], 0
	s_branch .LBB48_389
.LBB48_388:
	s_mov_b64 s[0:1], -1
                                        ; implicit-def: $vgpr1
.LBB48_389:
	s_andn2_b64 vcc, exec, s[0:1]
	s_cbranch_vccnz .LBB48_391
; %bb.390:
	global_load_ubyte v1, v[2:3], off
	s_movk_i32 s0, 0x7fff
	s_waitcnt vmcnt(0)
	v_cvt_f32_ubyte0_e32 v1, v1
	v_bfe_u32 v2, v1, 16, 1
	v_add3_u32 v1, v1, v2, s0
	v_lshrrev_b32_e32 v1, 16, v1
.LBB48_391:
	s_branch .LBB48_31
.LBB48_392:
	s_mov_b64 s[0:1], 0
.LBB48_393:
                                        ; implicit-def: $vgpr8
	s_mov_b64 s[44:45], 0
.LBB48_394:
	s_and_b64 s[36:37], s[0:1], exec
	s_and_b64 s[38:39], s[38:39], exec
	;; [unrolled: 1-line block ×3, first 2 shown]
	s_orn2_b64 s[0:1], s[44:45], exec
.LBB48_395:
	s_or_b64 exec, exec, s[42:43]
	s_mov_b64 s[50:51], 0
	s_mov_b64 s[48:49], 0
                                        ; implicit-def: $vgpr3
                                        ; implicit-def: $vgpr4_vgpr5
                                        ; implicit-def: $vgpr2
                                        ; implicit-def: $vgpr0
                                        ; implicit-def: $vgpr1
	s_and_saveexec_b64 s[42:43], s[0:1]
	s_cbranch_execz .LBB48_404
; %bb.396:
	v_cmp_gt_i32_e32 vcc, s66, v8
	s_mov_b64 s[0:1], -1
	s_mov_b64 s[44:45], s[40:41]
	s_mov_b64 s[46:47], s[38:39]
	;; [unrolled: 1-line block ×3, first 2 shown]
	s_and_saveexec_b64 s[50:51], vcc
	s_cbranch_execz .LBB48_797
; %bb.397:
	s_andn2_b64 vcc, exec, s[20:21]
	s_cbranch_vccnz .LBB48_407
; %bb.398:
	s_andn2_b64 vcc, exec, s[34:35]
	v_mov_b32_e32 v2, 0
	v_mov_b32_e32 v4, 0
	;; [unrolled: 1-line block ×3, first 2 shown]
	s_cbranch_vccnz .LBB48_403
; %bb.399:
	s_add_i32 s0, s69, 1
	s_and_b32 s44, s0, 30
	s_add_u32 s0, s2, 0xffffffec
	s_addc_u32 s1, s3, -1
	v_mov_b32_e32 v0, 0
	s_waitcnt vmcnt(0)
	v_mov_b32_e32 v1, v8
	v_mov_b32_e32 v4, 0
	;; [unrolled: 1-line block ×3, first 2 shown]
.LBB48_400:                             ; =>This Inner Loop Header: Depth=1
	s_mov_b64 s[46:47], s[0:1]
	s_load_dwordx4 s[52:55], s[46:47], 0x18
	s_load_dwordx2 s[48:49], s[46:47], 0x28
	s_load_dwordx2 s[60:61], s[46:47], 0xe8
	s_load_dwordx4 s[56:59], s[46:47], 0xd8
	s_add_u32 s0, s46, 24
	s_waitcnt lgkmcnt(0)
	v_mul_hi_u32 v3, s53, v1
	v_add_u32_e32 v3, v1, v3
	v_lshrrev_b32_e32 v3, s54, v3
	v_mul_lo_u32 v5, v3, s52
	v_mul_hi_u32 v10, s48, v3
	v_sub_u32_e32 v1, v1, v5
	v_add_u32_e32 v5, v3, v10
	v_mul_lo_u32 v10, v1, s56
	v_mul_lo_u32 v11, v1, s57
	;; [unrolled: 1-line block ×3, first 2 shown]
	v_lshrrev_b32_e32 v1, s49, v5
	v_mul_lo_u32 v5, v1, s55
	v_sub_u32_e32 v3, v3, v5
	s_addc_u32 s1, s47, 0
	s_add_i32 s44, s44, -2
	v_mul_lo_u32 v5, v3, s59
	v_mul_lo_u32 v13, v3, s60
	;; [unrolled: 1-line block ×3, first 2 shown]
	s_cmp_eq_u32 s44, 0
	v_add3_u32 v0, v10, v0, v5
	v_add3_u32 v2, v12, v2, v3
	v_add3_u32 v4, v11, v4, v13
	s_cbranch_scc0 .LBB48_400
; %bb.401:
	s_bitcmp1_b32 s69, 0
	s_cselect_b64 s[44:45], -1, 0
	s_and_b64 vcc, exec, s[44:45]
	s_cbranch_vccnz .LBB48_403
; %bb.402:
	s_load_dwordx2 s[44:45], s[0:1], 0x18
	s_load_dword s46, s[0:1], 0x20
	s_load_dword s47, s[0:1], 0xe0
	s_nop 0
	s_load_dwordx2 s[0:1], s[0:1], 0xd8
	s_waitcnt lgkmcnt(0)
	v_mul_hi_u32 v3, s45, v1
	v_add_u32_e32 v3, v1, v3
	v_lshrrev_b32_e32 v3, s46, v3
	v_mul_lo_u32 v3, v3, s44
	v_sub_u32_e32 v3, v1, v3
	v_mad_u64_u32 v[0:1], s[44:45], v3, s0, v[0:1]
	v_mad_u64_u32 v[4:5], s[0:1], v3, s1, v[4:5]
	;; [unrolled: 1-line block ×3, first 2 shown]
.LBB48_403:
	s_cbranch_execz .LBB48_408
	s_branch .LBB48_410
.LBB48_404:
	s_or_b64 exec, exec, s[42:43]
	s_waitcnt lgkmcnt(0)
	s_mov_b64 s[10:11], 0
	s_and_saveexec_b64 s[0:1], s[40:41]
	s_cbranch_execnz .LBB48_1295
.LBB48_405:
	s_or_b64 exec, exec, s[0:1]
	s_and_saveexec_b64 s[0:1], s[46:47]
	s_xor_b64 s[0:1], exec, s[0:1]
	s_cbranch_execz .LBB48_1296
.LBB48_406:
	global_load_ubyte v1, v[4:5], off
	s_or_b64 s[48:49], s[48:49], exec
	s_waitcnt vmcnt(0)
	v_cmp_ne_u16_e32 vcc, 0, v1
	v_cndmask_b32_e64 v1, 0, 1.0, vcc
	v_lshrrev_b32_e32 v1, 16, v1
	s_or_b64 exec, exec, s[0:1]
	s_and_saveexec_b64 s[0:1], s[50:51]
	s_cbranch_execz .LBB48_1342
	s_branch .LBB48_1297
.LBB48_407:
                                        ; implicit-def: $vgpr2
                                        ; implicit-def: $vgpr4
                                        ; implicit-def: $vgpr0
	s_andn2_b64 vcc, exec, s[0:1]
	s_cbranch_vccnz .LBB48_410
.LBB48_408:
	s_waitcnt lgkmcnt(0)
	v_mul_hi_u32 v0, s17, v8
	v_add_u32_e32 v0, v8, v0
	s_waitcnt vmcnt(0)
	v_lshrrev_b32_e32 v1, s18, v0
	v_mul_lo_u32 v0, v1, s16
	v_sub_u32_e32 v3, v8, v0
	v_mul_lo_u32 v0, v3, s12
	v_mul_lo_u32 v2, v3, s14
	s_andn2_b64 vcc, exec, s[30:31]
	v_mul_lo_u32 v4, v3, s13
	s_cbranch_vccnz .LBB48_410
; %bb.409:
	v_mul_hi_u32 v3, s28, v1
	v_add_u32_e32 v3, v1, v3
	v_lshrrev_b32_e32 v3, s29, v3
	v_mul_lo_u32 v3, v3, s19
	v_sub_u32_e32 v3, v1, v3
	v_mad_u64_u32 v[0:1], s[0:1], v3, s15, v[0:1]
	v_mad_u64_u32 v[4:5], s[0:1], v3, s26, v[4:5]
	;; [unrolled: 1-line block ×3, first 2 shown]
.LBB48_410:
	s_waitcnt vmcnt(0) lgkmcnt(0)
	v_mov_b32_e32 v1, s11
	v_add_co_u32_e32 v4, vcc, s10, v4
	v_addc_co_u32_e32 v5, vcc, 0, v1, vcc
	v_mov_b32_e32 v1, 11
	v_cmp_lt_i16_sdwa s[0:1], v9, v1 src0_sel:BYTE_0 src1_sel:DWORD
	s_and_b64 vcc, exec, s[0:1]
	s_cbranch_vccnz .LBB48_417
; %bb.411:
	v_mov_b32_e32 v1, 25
	v_cmp_gt_i16_sdwa s[0:1], v9, v1 src0_sel:BYTE_0 src1_sel:DWORD
	s_and_b64 vcc, exec, s[0:1]
	s_cbranch_vccz .LBB48_426
; %bb.412:
	v_mov_b32_e32 v1, 28
	v_cmp_gt_i16_sdwa s[0:1], v9, v1 src0_sel:BYTE_0 src1_sel:DWORD
	s_and_b64 vcc, exec, s[0:1]
	s_cbranch_vccz .LBB48_428
	;; [unrolled: 5-line block ×4, first 2 shown]
; %bb.415:
	v_mov_b32_e32 v1, 46
	v_cmp_eq_u16_sdwa s[0:1], v9, v1 src0_sel:BYTE_0 src1_sel:DWORD
	s_mov_b64 s[46:47], 0
	s_and_b64 vcc, exec, s[0:1]
	s_cbranch_vccz .LBB48_436
; %bb.416:
	global_load_dword v10, v[4:5], off
	s_mov_b64 s[0:1], -1
	s_mov_b64 s[44:45], 0
	s_branch .LBB48_437
.LBB48_417:
	s_mov_b64 s[0:1], 0
                                        ; implicit-def: $vgpr10
	s_mov_b64 s[44:45], s[40:41]
	s_cbranch_execnz .LBB48_503
.LBB48_418:
	s_andn2_b64 vcc, exec, s[0:1]
	s_cbranch_vccnz .LBB48_551
.LBB48_419:
	v_mov_b32_e32 v1, s25
	v_add_co_u32_e32 v2, vcc, s24, v2
	v_addc_co_u32_e32 v3, vcc, 0, v1, vcc
	v_mov_b32_e32 v1, 11
	v_cmp_lt_i16_sdwa s[0:1], v7, v1 src0_sel:BYTE_0 src1_sel:DWORD
	s_and_b64 vcc, exec, s[0:1]
	s_cbranch_vccnz .LBB48_427
; %bb.420:
	v_mov_b32_e32 v1, 25
	v_cmp_gt_i16_sdwa s[0:1], v7, v1 src0_sel:BYTE_0 src1_sel:DWORD
	s_and_b64 vcc, exec, s[0:1]
	s_cbranch_vccz .LBB48_429
; %bb.421:
	v_mov_b32_e32 v1, 28
	v_cmp_gt_i16_sdwa s[0:1], v7, v1 src0_sel:BYTE_0 src1_sel:DWORD
	s_and_b64 vcc, exec, s[0:1]
	s_cbranch_vccz .LBB48_431
	;; [unrolled: 5-line block ×4, first 2 shown]
; %bb.424:
	v_mov_b32_e32 v1, 46
	v_cmp_eq_u16_sdwa s[0:1], v7, v1 src0_sel:BYTE_0 src1_sel:DWORD
	s_mov_b64 s[48:49], 0
	s_and_b64 vcc, exec, s[0:1]
	s_cbranch_vccz .LBB48_555
; %bb.425:
	global_load_dword v1, v[2:3], off
	s_mov_b64 s[0:1], -1
	s_mov_b64 s[46:47], 0
	s_branch .LBB48_556
.LBB48_426:
	s_mov_b64 s[46:47], -1
	s_mov_b64 s[0:1], 0
	s_mov_b64 s[44:45], s[40:41]
                                        ; implicit-def: $vgpr10
	s_branch .LBB48_467
.LBB48_427:
	s_mov_b64 s[48:49], -1
	s_mov_b64 s[0:1], 0
                                        ; implicit-def: $vgpr1
	s_mov_b64 s[46:47], s[38:39]
	s_branch .LBB48_621
.LBB48_428:
	s_mov_b64 s[46:47], -1
	s_mov_b64 s[0:1], 0
	s_mov_b64 s[44:45], s[40:41]
                                        ; implicit-def: $vgpr10
	s_branch .LBB48_448
.LBB48_429:
	s_mov_b64 s[48:49], -1
	s_mov_b64 s[0:1], 0
	s_mov_b64 s[46:47], s[38:39]
                                        ; implicit-def: $vgpr1
	s_branch .LBB48_585
.LBB48_430:
	s_mov_b64 s[46:47], -1
	s_mov_b64 s[0:1], 0
	s_mov_b64 s[44:45], s[40:41]
                                        ; implicit-def: $vgpr10
	s_branch .LBB48_443
.LBB48_431:
	s_mov_b64 s[48:49], -1
	s_mov_b64 s[0:1], 0
	s_mov_b64 s[46:47], s[38:39]
                                        ; implicit-def: $vgpr1
	s_branch .LBB48_566
.LBB48_432:
	s_mov_b64 s[46:47], -1
	s_mov_b64 s[0:1], 0
	s_mov_b64 s[44:45], s[40:41]
                                        ; implicit-def: $vgpr10
	s_branch .LBB48_437
.LBB48_433:
	s_mov_b64 s[48:49], -1
	s_mov_b64 s[0:1], 0
	s_mov_b64 s[46:47], s[38:39]
                                        ; implicit-def: $vgpr1
	s_branch .LBB48_561
.LBB48_434:
	s_or_saveexec_b64 s[48:49], s[48:49]
                                        ; implicit-def: $sgpr50
	s_xor_b64 exec, exec, s[48:49]
	s_cbranch_execz .LBB48_192
.LBB48_435:
	s_mov_b32 s50, 0x46000000
	v_add_f32_e64 v3, |v4|, s50
	v_and_b32_e32 v3, 0xff, v3
	v_cmp_ne_u32_e32 vcc, 0, v3
	s_andn2_b64 s[44:45], s[44:45], exec
	s_and_b64 s[52:53], vcc, exec
	s_mov_b32 s50, 0
	s_or_b64 s[44:45], s[44:45], s[52:53]
	s_or_b64 exec, exec, s[48:49]
	v_mov_b32_e32 v5, s50
	s_and_saveexec_b64 s[48:49], s[44:45]
	s_cbranch_execnz .LBB48_193
	s_branch .LBB48_194
.LBB48_436:
	s_mov_b64 s[44:45], -1
                                        ; implicit-def: $vgpr10
	s_mov_b64 s[0:1], 0
.LBB48_437:
	s_and_b64 vcc, exec, s[46:47]
	s_cbranch_vccz .LBB48_442
; %bb.438:
	v_mov_b32_e32 v1, 44
	v_cmp_eq_u16_sdwa s[44:45], v9, v1 src0_sel:BYTE_0 src1_sel:DWORD
	s_and_b64 vcc, exec, s[44:45]
	s_cbranch_vccz .LBB48_441
; %bb.439:
	global_load_ubyte v1, v[4:5], off
	s_movk_i32 s44, 0xff
	v_mov_b32_e32 v3, 0x7f800001
	s_waitcnt vmcnt(1)
	v_mov_b32_e32 v10, 0x400000
	v_mov_b32_e32 v11, 0x7fc0
	s_mov_b64 s[0:1], -1
	s_waitcnt vmcnt(0)
	v_lshlrev_b32_e32 v12, 23, v1
	v_cmp_ne_u32_e32 vcc, s44, v1
	v_cndmask_b32_e32 v3, v3, v12, vcc
	v_cmp_ne_u32_e32 vcc, 0, v1
	v_cndmask_b32_e32 v1, v10, v3, vcc
	v_add_u32_e32 v3, 0x7fff, v1
	v_lshrrev_b32_e32 v3, 16, v3
	v_cmp_o_f32_e32 vcc, v1, v1
	v_cndmask_b32_e32 v10, v11, v3, vcc
	s_mov_b64 s[44:45], 0
	s_branch .LBB48_442
.LBB48_440:
	s_mov_b64 s[48:49], -1
	s_mov_b64 s[0:1], 0
	s_mov_b64 s[46:47], s[38:39]
                                        ; implicit-def: $vgpr1
	s_branch .LBB48_556
.LBB48_441:
	s_mov_b64 s[44:45], -1
                                        ; implicit-def: $vgpr10
.LBB48_442:
	s_mov_b64 s[46:47], 0
.LBB48_443:
	s_and_b64 vcc, exec, s[46:47]
	s_cbranch_vccz .LBB48_447
; %bb.444:
	v_mov_b32_e32 v1, 29
	v_cmp_eq_u16_sdwa s[44:45], v9, v1 src0_sel:BYTE_0 src1_sel:DWORD
	s_and_b64 vcc, exec, s[44:45]
	s_cbranch_vccz .LBB48_446
; %bb.445:
	global_load_dwordx2 v[10:11], v[4:5], off
	s_movk_i32 s44, 0x7fff
	s_mov_b64 s[0:1], -1
	s_mov_b64 s[46:47], 0
	s_waitcnt vmcnt(0)
	v_ffbh_u32_e32 v1, v11
	v_min_u32_e32 v1, 32, v1
	v_lshlrev_b64 v[10:11], v1, v[10:11]
	v_min_u32_e32 v3, 1, v10
	v_or_b32_e32 v3, v11, v3
	v_cvt_f32_u32_e32 v3, v3
	v_sub_u32_e32 v1, 32, v1
	v_ldexp_f32 v1, v3, v1
	v_bfe_u32 v3, v1, 16, 1
	v_add3_u32 v1, v1, v3, s44
	v_lshrrev_b32_e32 v10, 16, v1
	s_mov_b64 s[44:45], 0
	s_branch .LBB48_448
.LBB48_446:
	s_mov_b64 s[44:45], -1
                                        ; implicit-def: $vgpr10
.LBB48_447:
	s_mov_b64 s[46:47], 0
.LBB48_448:
	s_and_b64 vcc, exec, s[46:47]
	s_cbranch_vccz .LBB48_466
; %bb.449:
	v_mov_b32_e32 v1, 27
	v_cmp_lt_i16_sdwa s[0:1], v9, v1 src0_sel:BYTE_0 src1_sel:DWORD
	s_and_b64 vcc, exec, s[0:1]
	s_cbranch_vccnz .LBB48_452
; %bb.450:
	v_cmp_gt_i16_sdwa s[0:1], v9, v1 src0_sel:BYTE_0 src1_sel:DWORD
	s_and_b64 vcc, exec, s[0:1]
	s_cbranch_vccz .LBB48_453
; %bb.451:
	global_load_dword v1, v[4:5], off
	s_movk_i32 s0, 0x7fff
	s_waitcnt vmcnt(0)
	v_cvt_f32_u32_e32 v1, v1
	v_bfe_u32 v3, v1, 16, 1
	v_add3_u32 v1, v1, v3, s0
	v_lshrrev_b32_e32 v10, 16, v1
	s_mov_b64 s[0:1], 0
	s_branch .LBB48_454
.LBB48_452:
	s_mov_b64 s[0:1], -1
                                        ; implicit-def: $vgpr10
	s_branch .LBB48_457
.LBB48_453:
	s_mov_b64 s[0:1], -1
                                        ; implicit-def: $vgpr10
.LBB48_454:
	s_andn2_b64 vcc, exec, s[0:1]
	s_cbranch_vccnz .LBB48_456
; %bb.455:
	global_load_ushort v1, v[4:5], off
	s_movk_i32 s0, 0x7fff
	s_waitcnt vmcnt(0)
	v_cvt_f32_u32_e32 v1, v1
	v_bfe_u32 v3, v1, 16, 1
	v_add3_u32 v1, v1, v3, s0
	v_lshrrev_b32_e32 v10, 16, v1
.LBB48_456:
	s_mov_b64 s[0:1], 0
.LBB48_457:
	s_andn2_b64 vcc, exec, s[0:1]
	s_cbranch_vccnz .LBB48_465
; %bb.458:
	global_load_ubyte v1, v[4:5], off
	s_movk_i32 s0, 0x7f
                                        ; implicit-def: $sgpr52
	s_waitcnt vmcnt(0)
	v_cmp_lt_i16_e32 vcc, s0, v1
	s_mov_b64 s[0:1], 0
	s_and_saveexec_b64 s[46:47], vcc
	s_xor_b64 s[46:47], exec, s[46:47]
	s_cbranch_execz .LBB48_479
; %bb.459:
	s_movk_i32 s0, 0x80
	v_cmp_eq_u16_e32 vcc, s0, v1
	s_mov_b64 s[0:1], -1
                                        ; implicit-def: $sgpr52
	s_and_saveexec_b64 s[48:49], vcc
; %bb.460:
	s_mov_b32 s52, 0x7f800001
	s_xor_b64 s[0:1], exec, -1
; %bb.461:
	s_or_b64 exec, exec, s[48:49]
	s_and_b64 s[0:1], s[0:1], exec
	s_or_saveexec_b64 s[46:47], s[46:47]
	v_mov_b32_e32 v3, s52
	s_xor_b64 exec, exec, s[46:47]
	s_cbranch_execnz .LBB48_480
.LBB48_462:
	s_or_b64 exec, exec, s[46:47]
	s_and_saveexec_b64 s[46:47], s[0:1]
	s_cbranch_execz .LBB48_464
.LBB48_463:
	v_lshlrev_b32_e32 v3, 24, v1
	v_and_b32_e32 v1, 0xffff, v1
	v_and_b32_e32 v10, 7, v1
	v_ffbh_u32_e32 v12, v10
	v_min_u32_e32 v12, 32, v12
	v_subrev_u32_e32 v13, 28, v12
	v_bfe_u32 v11, v1, 3, 4
	v_lshlrev_b32_e32 v1, v13, v1
	v_sub_u32_e32 v12, 29, v12
	v_and_b32_e32 v1, 7, v1
	v_cmp_eq_u32_e32 vcc, 0, v11
	v_cndmask_b32_e32 v11, v11, v12, vcc
	v_cndmask_b32_e32 v1, v10, v1, vcc
	v_mov_b32_e32 v10, 0x3b800000
	v_lshlrev_b32_e32 v1, 20, v1
	v_and_b32_e32 v3, 0x80000000, v3
	v_lshl_add_u32 v10, v11, 23, v10
	v_or3_b32 v3, v3, v10, v1
.LBB48_464:
	s_or_b64 exec, exec, s[46:47]
	v_bfe_u32 v1, v3, 16, 1
	s_movk_i32 s0, 0x7fff
	v_add3_u32 v1, v3, v1, s0
	v_lshrrev_b32_e32 v1, 16, v1
	v_mov_b32_e32 v10, 0x7fc0
	v_cmp_o_f32_e32 vcc, v3, v3
	v_cndmask_b32_e32 v10, v10, v1, vcc
.LBB48_465:
	s_mov_b64 s[0:1], -1
.LBB48_466:
	s_mov_b64 s[46:47], 0
.LBB48_467:
	s_and_b64 vcc, exec, s[46:47]
	s_cbranch_vccz .LBB48_502
; %bb.468:
	v_mov_b32_e32 v1, 22
	v_cmp_gt_i16_sdwa s[46:47], v9, v1 src0_sel:BYTE_0 src1_sel:DWORD
	s_and_b64 vcc, exec, s[46:47]
	s_cbranch_vccz .LBB48_478
; %bb.469:
	v_mov_b32_e32 v1, 24
	v_cmp_lt_i16_sdwa s[0:1], v9, v1 src0_sel:BYTE_0 src1_sel:DWORD
	s_and_b64 vcc, exec, s[0:1]
	s_cbranch_vccnz .LBB48_481
; %bb.470:
	v_cmp_gt_i16_sdwa s[0:1], v9, v1 src0_sel:BYTE_0 src1_sel:DWORD
	s_and_b64 vcc, exec, s[0:1]
	s_cbranch_vccz .LBB48_482
; %bb.471:
	global_load_ubyte v1, v[4:5], off
	s_movk_i32 s0, 0x7f
                                        ; implicit-def: $sgpr52
	s_waitcnt vmcnt(0)
	v_cmp_lt_i16_e32 vcc, s0, v1
	s_mov_b64 s[0:1], 0
	s_and_saveexec_b64 s[46:47], vcc
	s_xor_b64 s[46:47], exec, s[46:47]
	s_cbranch_execz .LBB48_494
; %bb.472:
	s_movk_i32 s0, 0x80
	v_cmp_eq_u16_e32 vcc, s0, v1
	s_mov_b64 s[0:1], -1
                                        ; implicit-def: $sgpr52
	s_and_saveexec_b64 s[48:49], vcc
; %bb.473:
	s_mov_b32 s52, 0x7f800001
	s_xor_b64 s[0:1], exec, -1
; %bb.474:
	s_or_b64 exec, exec, s[48:49]
	s_and_b64 s[0:1], s[0:1], exec
	s_or_saveexec_b64 s[46:47], s[46:47]
	v_mov_b32_e32 v3, s52
	s_xor_b64 exec, exec, s[46:47]
	s_cbranch_execnz .LBB48_495
.LBB48_475:
	s_or_b64 exec, exec, s[46:47]
	s_and_saveexec_b64 s[46:47], s[0:1]
	s_cbranch_execz .LBB48_477
.LBB48_476:
	v_lshlrev_b32_e32 v3, 24, v1
	v_and_b32_e32 v1, 0xffff, v1
	v_and_b32_e32 v10, 3, v1
	v_ffbh_u32_e32 v12, v10
	v_min_u32_e32 v12, 32, v12
	v_subrev_u32_e32 v13, 29, v12
	v_bfe_u32 v11, v1, 2, 5
	v_lshlrev_b32_e32 v1, v13, v1
	v_sub_u32_e32 v12, 30, v12
	v_and_b32_e32 v1, 3, v1
	v_cmp_eq_u32_e32 vcc, 0, v11
	v_cndmask_b32_e32 v11, v11, v12, vcc
	v_cndmask_b32_e32 v1, v10, v1, vcc
	v_mov_b32_e32 v10, 0x37800000
	v_lshlrev_b32_e32 v1, 21, v1
	v_and_b32_e32 v3, 0x80000000, v3
	v_lshl_add_u32 v10, v11, 23, v10
	v_or3_b32 v3, v3, v10, v1
.LBB48_477:
	s_or_b64 exec, exec, s[46:47]
	v_bfe_u32 v1, v3, 16, 1
	s_movk_i32 s0, 0x7fff
	v_add3_u32 v1, v3, v1, s0
	v_lshrrev_b32_e32 v1, 16, v1
	v_mov_b32_e32 v10, 0x7fc0
	v_cmp_o_f32_e32 vcc, v3, v3
	v_cndmask_b32_e32 v10, v10, v1, vcc
	s_mov_b64 s[0:1], 0
	s_branch .LBB48_483
.LBB48_478:
	s_mov_b64 s[46:47], -1
                                        ; implicit-def: $vgpr10
	s_branch .LBB48_489
.LBB48_479:
	s_or_saveexec_b64 s[46:47], s[46:47]
	v_mov_b32_e32 v3, s52
	s_xor_b64 exec, exec, s[46:47]
	s_cbranch_execz .LBB48_462
.LBB48_480:
	v_cmp_ne_u16_e32 vcc, 0, v1
	s_andn2_b64 s[0:1], s[0:1], exec
	s_and_b64 s[48:49], vcc, exec
	v_mov_b32_e32 v3, 0
	s_or_b64 s[0:1], s[0:1], s[48:49]
	s_or_b64 exec, exec, s[46:47]
	s_and_saveexec_b64 s[46:47], s[0:1]
	s_cbranch_execnz .LBB48_463
	s_branch .LBB48_464
.LBB48_481:
	s_mov_b64 s[0:1], -1
                                        ; implicit-def: $vgpr10
	s_branch .LBB48_486
.LBB48_482:
	s_mov_b64 s[0:1], -1
                                        ; implicit-def: $vgpr10
.LBB48_483:
	s_and_b64 vcc, exec, s[0:1]
	s_cbranch_vccz .LBB48_485
; %bb.484:
	global_load_ubyte v1, v[4:5], off
	s_mov_b32 s0, 0x7f800000
	s_brev_b32 s1, 1
	s_movk_i32 s46, 0x7fff
	v_mov_b32_e32 v3, 0x7fc0
	s_waitcnt vmcnt(0)
	v_lshlrev_b32_e32 v1, 24, v1
	v_and_b32_e32 v10, 0x7f000000, v1
	v_ffbh_u32_e32 v11, v10
	v_min_u32_e32 v11, 32, v11
	v_sub_u32_e64 v11, v11, 4 clamp
	v_lshlrev_b32_e32 v13, v11, v10
	v_lshlrev_b32_e32 v11, 23, v11
	v_lshrrev_b32_e32 v13, 4, v13
	v_add_u32_e32 v12, 0x1000000, v10
	v_sub_u32_e32 v11, v13, v11
	v_ashrrev_i32_e32 v12, 8, v12
	v_add_u32_e32 v11, 0x3c000000, v11
	v_and_or_b32 v11, v12, s0, v11
	v_cmp_ne_u32_e32 vcc, 0, v10
	v_cndmask_b32_e32 v10, 0, v11, vcc
	v_and_or_b32 v1, v1, s1, v10
	v_bfe_u32 v10, v10, 16, 1
	v_add3_u32 v10, v1, v10, s46
	v_lshrrev_b32_e32 v10, 16, v10
	v_cmp_o_f32_e32 vcc, v1, v1
	v_cndmask_b32_e32 v10, v3, v10, vcc
.LBB48_485:
	s_mov_b64 s[0:1], 0
.LBB48_486:
	s_andn2_b64 vcc, exec, s[0:1]
	s_cbranch_vccnz .LBB48_488
; %bb.487:
	global_load_ubyte v1, v[4:5], off
	s_movk_i32 s0, 0x7f00
	s_brev_b32 s1, 16
	s_brev_b32 s46, 1
	s_movk_i32 s47, 0x7fff
	v_mov_b32_e32 v3, 0x7fc0
	s_waitcnt vmcnt(0)
	v_lshlrev_b16_e32 v10, 8, v1
	v_lshlrev_b32_e32 v1, 25, v1
	v_lshrrev_b32_e32 v11, 4, v1
	v_and_or_b32 v12, v10, s0, 0.5
	v_or_b32_e32 v11, 0x70000000, v11
	v_add_f32_e32 v12, -0.5, v12
	v_mul_f32_e32 v11, 0x7800000, v11
	v_cmp_gt_u32_e32 vcc, s1, v1
	v_bfe_i32 v10, v10, 0, 16
	v_cndmask_b32_e32 v1, v11, v12, vcc
	v_and_or_b32 v10, v10, s46, v1
	v_bfe_u32 v1, v1, 16, 1
	v_add3_u32 v1, v10, v1, s47
	v_lshrrev_b32_e32 v1, 16, v1
	v_cmp_o_f32_e32 vcc, v10, v10
	v_cndmask_b32_e32 v10, v3, v1, vcc
.LBB48_488:
	s_mov_b64 s[46:47], 0
	s_mov_b64 s[0:1], -1
.LBB48_489:
	s_andn2_b64 vcc, exec, s[46:47]
	s_cbranch_vccnz .LBB48_502
; %bb.490:
	v_mov_b32_e32 v1, 14
	v_cmp_gt_i16_sdwa s[46:47], v9, v1 src0_sel:BYTE_0 src1_sel:DWORD
	s_and_b64 vcc, exec, s[46:47]
	s_cbranch_vccz .LBB48_493
; %bb.491:
	v_mov_b32_e32 v1, 15
	v_cmp_eq_u16_sdwa s[44:45], v9, v1 src0_sel:BYTE_0 src1_sel:DWORD
	s_and_b64 vcc, exec, s[44:45]
	s_cbranch_vccz .LBB48_496
; %bb.492:
	global_load_ushort v10, v[4:5], off
	s_mov_b64 s[0:1], -1
	s_mov_b64 s[44:45], 0
	s_branch .LBB48_497
.LBB48_493:
	s_mov_b64 s[46:47], -1
                                        ; implicit-def: $vgpr10
	s_branch .LBB48_498
.LBB48_494:
	s_or_saveexec_b64 s[46:47], s[46:47]
	v_mov_b32_e32 v3, s52
	s_xor_b64 exec, exec, s[46:47]
	s_cbranch_execz .LBB48_475
.LBB48_495:
	v_cmp_ne_u16_e32 vcc, 0, v1
	s_andn2_b64 s[0:1], s[0:1], exec
	s_and_b64 s[48:49], vcc, exec
	v_mov_b32_e32 v3, 0
	s_or_b64 s[0:1], s[0:1], s[48:49]
	s_or_b64 exec, exec, s[46:47]
	s_and_saveexec_b64 s[46:47], s[0:1]
	s_cbranch_execnz .LBB48_476
	s_branch .LBB48_477
.LBB48_496:
	s_mov_b64 s[44:45], -1
                                        ; implicit-def: $vgpr10
.LBB48_497:
	s_mov_b64 s[46:47], 0
.LBB48_498:
	s_and_b64 vcc, exec, s[46:47]
	s_cbranch_vccz .LBB48_502
; %bb.499:
	v_mov_b32_e32 v1, 11
	v_cmp_eq_u16_sdwa s[44:45], v9, v1 src0_sel:BYTE_0 src1_sel:DWORD
	s_and_b64 vcc, exec, s[44:45]
	s_cbranch_vccz .LBB48_501
; %bb.500:
	global_load_ubyte v1, v[4:5], off
	s_mov_b64 s[0:1], -1
	s_mov_b64 s[44:45], 0
	s_waitcnt vmcnt(0)
	v_cmp_ne_u16_e32 vcc, 0, v1
	v_cndmask_b32_e64 v1, 0, 1.0, vcc
	v_lshrrev_b32_e32 v10, 16, v1
	s_branch .LBB48_502
.LBB48_501:
	s_mov_b64 s[44:45], -1
                                        ; implicit-def: $vgpr10
.LBB48_502:
	s_branch .LBB48_418
.LBB48_503:
	v_mov_b32_e32 v1, 5
	v_cmp_lt_i16_sdwa s[0:1], v9, v1 src0_sel:BYTE_0 src1_sel:DWORD
	s_and_b64 vcc, exec, s[0:1]
	s_cbranch_vccnz .LBB48_508
; %bb.504:
	v_mov_b32_e32 v1, 8
	v_cmp_lt_i16_sdwa s[0:1], v9, v1 src0_sel:BYTE_0 src1_sel:DWORD
	s_and_b64 vcc, exec, s[0:1]
	s_cbranch_vccnz .LBB48_509
; %bb.505:
	;; [unrolled: 5-line block ×3, first 2 shown]
	v_cmp_gt_i16_sdwa s[0:1], v9, v1 src0_sel:BYTE_0 src1_sel:DWORD
	s_and_b64 vcc, exec, s[0:1]
	s_cbranch_vccz .LBB48_511
; %bb.507:
	global_load_dwordx2 v[10:11], v[4:5], off
	s_movk_i32 s0, 0x7fff
	v_mov_b32_e32 v1, 0x7fc0
	s_waitcnt vmcnt(0)
	v_cvt_f32_f64_e32 v3, v[10:11]
	v_bfe_u32 v10, v3, 16, 1
	v_add3_u32 v10, v3, v10, s0
	v_lshrrev_b32_e32 v10, 16, v10
	v_cmp_o_f32_e32 vcc, v3, v3
	v_cndmask_b32_e32 v10, v1, v10, vcc
	s_mov_b64 s[0:1], 0
	s_branch .LBB48_512
.LBB48_508:
	s_mov_b64 s[0:1], -1
                                        ; implicit-def: $vgpr10
	s_branch .LBB48_530
.LBB48_509:
	s_mov_b64 s[0:1], -1
                                        ; implicit-def: $vgpr10
	s_branch .LBB48_518
.LBB48_510:
	s_mov_b64 s[0:1], -1
                                        ; implicit-def: $vgpr10
	s_branch .LBB48_515
.LBB48_511:
	s_mov_b64 s[0:1], -1
                                        ; implicit-def: $vgpr10
.LBB48_512:
	s_andn2_b64 vcc, exec, s[0:1]
	s_cbranch_vccnz .LBB48_514
; %bb.513:
	global_load_dword v1, v[4:5], off
	s_movk_i32 s0, 0x7fff
	v_mov_b32_e32 v3, 0x7fc0
	s_waitcnt vmcnt(0)
	v_bfe_u32 v10, v1, 16, 1
	v_add3_u32 v10, v1, v10, s0
	v_lshrrev_b32_e32 v10, 16, v10
	v_cmp_o_f32_e32 vcc, v1, v1
	v_cndmask_b32_e32 v10, v3, v10, vcc
.LBB48_514:
	s_mov_b64 s[0:1], 0
.LBB48_515:
	s_andn2_b64 vcc, exec, s[0:1]
	s_cbranch_vccnz .LBB48_517
; %bb.516:
	global_load_dword v1, v[4:5], off
	s_movk_i32 s0, 0x7fff
	s_waitcnt vmcnt(1)
	v_mov_b32_e32 v10, 0x7fc0
	s_waitcnt vmcnt(0)
	v_cvt_f32_f16_e32 v3, v1
	v_cmp_o_f16_e32 vcc, v1, v1
	v_bfe_u32 v11, v3, 16, 1
	v_add3_u32 v3, v3, v11, s0
	v_lshrrev_b32_e32 v3, 16, v3
	v_cndmask_b32_e32 v10, v10, v3, vcc
.LBB48_517:
	s_mov_b64 s[0:1], 0
.LBB48_518:
	s_andn2_b64 vcc, exec, s[0:1]
	s_cbranch_vccnz .LBB48_529
; %bb.519:
	v_mov_b32_e32 v1, 6
	v_cmp_lt_i16_sdwa s[0:1], v9, v1 src0_sel:BYTE_0 src1_sel:DWORD
	s_and_b64 vcc, exec, s[0:1]
	s_cbranch_vccnz .LBB48_522
; %bb.520:
	v_cmp_gt_i16_sdwa s[0:1], v9, v1 src0_sel:BYTE_0 src1_sel:DWORD
	s_and_b64 vcc, exec, s[0:1]
	s_cbranch_vccz .LBB48_523
; %bb.521:
	global_load_dwordx2 v[10:11], v[4:5], off
	s_movk_i32 s0, 0x7fff
	v_mov_b32_e32 v1, 0x7fc0
	s_waitcnt vmcnt(0)
	v_cvt_f32_f64_e32 v3, v[10:11]
	v_bfe_u32 v10, v3, 16, 1
	v_add3_u32 v10, v3, v10, s0
	v_lshrrev_b32_e32 v10, 16, v10
	v_cmp_o_f32_e32 vcc, v3, v3
	v_cndmask_b32_e32 v10, v1, v10, vcc
	s_mov_b64 s[0:1], 0
	s_branch .LBB48_524
.LBB48_522:
	s_mov_b64 s[0:1], -1
                                        ; implicit-def: $vgpr10
	s_branch .LBB48_527
.LBB48_523:
	s_mov_b64 s[0:1], -1
                                        ; implicit-def: $vgpr10
.LBB48_524:
	s_andn2_b64 vcc, exec, s[0:1]
	s_cbranch_vccnz .LBB48_526
; %bb.525:
	global_load_dword v1, v[4:5], off
	s_movk_i32 s0, 0x7fff
	v_mov_b32_e32 v3, 0x7fc0
	s_waitcnt vmcnt(0)
	v_bfe_u32 v10, v1, 16, 1
	v_add3_u32 v10, v1, v10, s0
	v_lshrrev_b32_e32 v10, 16, v10
	v_cmp_o_f32_e32 vcc, v1, v1
	v_cndmask_b32_e32 v10, v3, v10, vcc
.LBB48_526:
	s_mov_b64 s[0:1], 0
.LBB48_527:
	s_andn2_b64 vcc, exec, s[0:1]
	s_cbranch_vccnz .LBB48_529
; %bb.528:
	global_load_ushort v1, v[4:5], off
	s_movk_i32 s0, 0x7fff
	s_waitcnt vmcnt(1)
	v_mov_b32_e32 v10, 0x7fc0
	s_waitcnt vmcnt(0)
	v_cvt_f32_f16_e32 v3, v1
	v_cmp_o_f16_e32 vcc, v1, v1
	v_bfe_u32 v11, v3, 16, 1
	v_add3_u32 v3, v3, v11, s0
	v_lshrrev_b32_e32 v3, 16, v3
	v_cndmask_b32_e32 v10, v10, v3, vcc
.LBB48_529:
	s_mov_b64 s[0:1], 0
.LBB48_530:
	s_andn2_b64 vcc, exec, s[0:1]
	s_cbranch_vccnz .LBB48_550
; %bb.531:
	v_mov_b32_e32 v1, 2
	v_cmp_lt_i16_sdwa s[0:1], v9, v1 src0_sel:BYTE_0 src1_sel:DWORD
	s_and_b64 vcc, exec, s[0:1]
	s_cbranch_vccnz .LBB48_535
; %bb.532:
	v_mov_b32_e32 v1, 3
	v_cmp_lt_i16_sdwa s[0:1], v9, v1 src0_sel:BYTE_0 src1_sel:DWORD
	s_and_b64 vcc, exec, s[0:1]
	s_cbranch_vccnz .LBB48_536
; %bb.533:
	v_cmp_gt_i16_sdwa s[0:1], v9, v1 src0_sel:BYTE_0 src1_sel:DWORD
	s_and_b64 vcc, exec, s[0:1]
	s_cbranch_vccz .LBB48_537
; %bb.534:
	global_load_dwordx2 v[10:11], v[4:5], off
	s_movk_i32 s0, 0x7fff
	s_waitcnt vmcnt(0)
	v_xor_b32_e32 v3, v10, v11
	v_ffbh_i32_e32 v1, v11
	v_ashrrev_i32_e32 v3, 31, v3
	v_add_u32_e32 v1, -1, v1
	v_add_u32_e32 v3, 32, v3
	v_min_u32_e32 v1, v1, v3
	v_lshlrev_b64 v[10:11], v1, v[10:11]
	v_min_u32_e32 v3, 1, v10
	v_or_b32_e32 v3, v11, v3
	v_cvt_f32_i32_e32 v3, v3
	v_sub_u32_e32 v1, 32, v1
	v_ldexp_f32 v1, v3, v1
	v_bfe_u32 v3, v1, 16, 1
	v_add3_u32 v1, v1, v3, s0
	v_lshrrev_b32_e32 v10, 16, v1
	s_mov_b64 s[0:1], 0
	s_branch .LBB48_538
.LBB48_535:
	s_mov_b64 s[0:1], -1
                                        ; implicit-def: $vgpr10
	s_branch .LBB48_544
.LBB48_536:
	s_mov_b64 s[0:1], -1
                                        ; implicit-def: $vgpr10
	s_branch .LBB48_541
.LBB48_537:
	s_mov_b64 s[0:1], -1
                                        ; implicit-def: $vgpr10
.LBB48_538:
	s_andn2_b64 vcc, exec, s[0:1]
	s_cbranch_vccnz .LBB48_540
; %bb.539:
	global_load_dword v1, v[4:5], off
	s_movk_i32 s0, 0x7fff
	s_waitcnt vmcnt(0)
	v_cvt_f32_i32_e32 v1, v1
	v_bfe_u32 v3, v1, 16, 1
	v_add3_u32 v1, v1, v3, s0
	v_lshrrev_b32_e32 v10, 16, v1
.LBB48_540:
	s_mov_b64 s[0:1], 0
.LBB48_541:
	s_andn2_b64 vcc, exec, s[0:1]
	s_cbranch_vccnz .LBB48_543
; %bb.542:
	global_load_sshort v1, v[4:5], off
	s_movk_i32 s0, 0x7fff
	s_waitcnt vmcnt(0)
	v_cvt_f32_i32_e32 v1, v1
	v_bfe_u32 v3, v1, 16, 1
	v_add3_u32 v1, v1, v3, s0
	v_lshrrev_b32_e32 v10, 16, v1
.LBB48_543:
	s_mov_b64 s[0:1], 0
.LBB48_544:
	s_andn2_b64 vcc, exec, s[0:1]
	s_cbranch_vccnz .LBB48_550
; %bb.545:
	v_mov_b32_e32 v1, 0
	v_cmp_gt_i16_sdwa s[0:1], v9, v1 src0_sel:BYTE_0 src1_sel:DWORD
	s_and_b64 vcc, exec, s[0:1]
	s_cbranch_vccz .LBB48_547
; %bb.546:
	global_load_sbyte v1, v[4:5], off
	s_movk_i32 s0, 0x7fff
	s_waitcnt vmcnt(0)
	v_cvt_f32_i32_e32 v1, v1
	v_bfe_u32 v3, v1, 16, 1
	v_add3_u32 v1, v1, v3, s0
	v_lshrrev_b32_e32 v10, 16, v1
	s_mov_b64 s[0:1], 0
	s_branch .LBB48_548
.LBB48_547:
	s_mov_b64 s[0:1], -1
                                        ; implicit-def: $vgpr10
.LBB48_548:
	s_andn2_b64 vcc, exec, s[0:1]
	s_cbranch_vccnz .LBB48_550
; %bb.549:
	global_load_ubyte v1, v[4:5], off
	s_movk_i32 s0, 0x7fff
	s_waitcnt vmcnt(0)
	v_cvt_f32_ubyte0_e32 v1, v1
	v_bfe_u32 v3, v1, 16, 1
	v_add3_u32 v1, v1, v3, s0
	v_lshrrev_b32_e32 v10, 16, v1
.LBB48_550:
	s_branch .LBB48_419
.LBB48_551:
	s_mov_b64 s[52:53], 0
	s_mov_b64 s[0:1], s[36:37]
	;; [unrolled: 1-line block ×3, first 2 shown]
.LBB48_552:
                                        ; implicit-def: $vgpr8
	s_branch .LBB48_796
.LBB48_553:
	s_or_saveexec_b64 s[48:49], s[48:49]
                                        ; implicit-def: $sgpr50
	s_xor_b64 exec, exec, s[48:49]
	s_cbranch_execz .LBB48_205
.LBB48_554:
	s_mov_b32 s50, 0x42800000
	v_add_f32_e64 v3, |v4|, s50
	v_and_b32_e32 v3, 0xff, v3
	v_cmp_ne_u32_e32 vcc, 0, v3
	s_andn2_b64 s[44:45], s[44:45], exec
	s_and_b64 s[52:53], vcc, exec
	s_mov_b32 s50, 0
	s_or_b64 s[44:45], s[44:45], s[52:53]
	s_or_b64 exec, exec, s[48:49]
	v_mov_b32_e32 v5, s50
	s_and_saveexec_b64 s[48:49], s[44:45]
	s_cbranch_execnz .LBB48_206
	s_branch .LBB48_207
.LBB48_555:
	s_mov_b64 s[46:47], -1
                                        ; implicit-def: $vgpr1
	s_mov_b64 s[0:1], 0
.LBB48_556:
	s_and_b64 vcc, exec, s[48:49]
	s_cbranch_vccz .LBB48_560
; %bb.557:
	s_waitcnt vmcnt(0)
	v_mov_b32_e32 v1, 44
	v_cmp_eq_u16_sdwa s[46:47], v7, v1 src0_sel:BYTE_0 src1_sel:DWORD
	s_and_b64 vcc, exec, s[46:47]
	s_cbranch_vccz .LBB48_559
; %bb.558:
	global_load_ubyte v1, v[2:3], off
	s_movk_i32 s46, 0xff
	v_mov_b32_e32 v4, 0x7f800001
	v_mov_b32_e32 v5, 0x400000
	;; [unrolled: 1-line block ×3, first 2 shown]
	s_mov_b64 s[0:1], -1
	s_waitcnt vmcnt(0)
	v_lshlrev_b32_e32 v12, 23, v1
	v_cmp_ne_u32_e32 vcc, s46, v1
	v_cndmask_b32_e32 v4, v4, v12, vcc
	v_cmp_ne_u32_e32 vcc, 0, v1
	v_cndmask_b32_e32 v1, v5, v4, vcc
	v_add_u32_e32 v4, 0x7fff, v1
	v_lshrrev_b32_e32 v4, 16, v4
	v_cmp_o_f32_e32 vcc, v1, v1
	v_cndmask_b32_e32 v1, v11, v4, vcc
	s_mov_b64 s[46:47], 0
	s_branch .LBB48_560
.LBB48_559:
	s_mov_b64 s[46:47], -1
                                        ; implicit-def: $vgpr1
.LBB48_560:
	s_mov_b64 s[48:49], 0
.LBB48_561:
	s_and_b64 vcc, exec, s[48:49]
	s_cbranch_vccz .LBB48_565
; %bb.562:
	s_waitcnt vmcnt(0)
	v_mov_b32_e32 v1, 29
	v_cmp_eq_u16_sdwa s[46:47], v7, v1 src0_sel:BYTE_0 src1_sel:DWORD
	s_and_b64 vcc, exec, s[46:47]
	s_cbranch_vccz .LBB48_564
; %bb.563:
	global_load_dwordx2 v[4:5], v[2:3], off
	s_movk_i32 s46, 0x7fff
	s_mov_b64 s[0:1], -1
	s_mov_b64 s[48:49], 0
	s_waitcnt vmcnt(0)
	v_ffbh_u32_e32 v1, v5
	v_min_u32_e32 v1, 32, v1
	v_lshlrev_b64 v[4:5], v1, v[4:5]
	v_min_u32_e32 v4, 1, v4
	v_or_b32_e32 v4, v5, v4
	v_cvt_f32_u32_e32 v4, v4
	v_sub_u32_e32 v1, 32, v1
	v_ldexp_f32 v1, v4, v1
	v_bfe_u32 v4, v1, 16, 1
	v_add3_u32 v1, v1, v4, s46
	v_lshrrev_b32_e32 v1, 16, v1
	s_mov_b64 s[46:47], 0
	s_branch .LBB48_566
.LBB48_564:
	s_mov_b64 s[46:47], -1
                                        ; implicit-def: $vgpr1
.LBB48_565:
	s_mov_b64 s[48:49], 0
.LBB48_566:
	s_and_b64 vcc, exec, s[48:49]
	s_cbranch_vccz .LBB48_584
; %bb.567:
	s_waitcnt vmcnt(0)
	v_mov_b32_e32 v1, 27
	v_cmp_lt_i16_sdwa s[0:1], v7, v1 src0_sel:BYTE_0 src1_sel:DWORD
	s_and_b64 vcc, exec, s[0:1]
	s_cbranch_vccnz .LBB48_570
; %bb.568:
	v_cmp_gt_i16_sdwa s[0:1], v7, v1 src0_sel:BYTE_0 src1_sel:DWORD
	s_and_b64 vcc, exec, s[0:1]
	s_cbranch_vccz .LBB48_571
; %bb.569:
	global_load_dword v1, v[2:3], off
	s_movk_i32 s0, 0x7fff
	s_waitcnt vmcnt(0)
	v_cvt_f32_u32_e32 v1, v1
	v_bfe_u32 v4, v1, 16, 1
	v_add3_u32 v1, v1, v4, s0
	v_lshrrev_b32_e32 v1, 16, v1
	s_mov_b64 s[0:1], 0
	s_branch .LBB48_572
.LBB48_570:
	s_mov_b64 s[0:1], -1
                                        ; implicit-def: $vgpr1
	s_branch .LBB48_575
.LBB48_571:
	s_mov_b64 s[0:1], -1
                                        ; implicit-def: $vgpr1
.LBB48_572:
	s_andn2_b64 vcc, exec, s[0:1]
	s_cbranch_vccnz .LBB48_574
; %bb.573:
	global_load_ushort v1, v[2:3], off
	s_movk_i32 s0, 0x7fff
	s_waitcnt vmcnt(0)
	v_cvt_f32_u32_e32 v1, v1
	v_bfe_u32 v4, v1, 16, 1
	v_add3_u32 v1, v1, v4, s0
	v_lshrrev_b32_e32 v1, 16, v1
.LBB48_574:
	s_mov_b64 s[0:1], 0
.LBB48_575:
	s_andn2_b64 vcc, exec, s[0:1]
	s_cbranch_vccnz .LBB48_583
; %bb.576:
	global_load_ubyte v1, v[2:3], off
	s_movk_i32 s0, 0x7f
                                        ; implicit-def: $sgpr54
	s_waitcnt vmcnt(0)
	v_cmp_lt_i16_e32 vcc, s0, v1
	s_mov_b64 s[0:1], 0
	s_and_saveexec_b64 s[48:49], vcc
	s_xor_b64 s[48:49], exec, s[48:49]
	s_cbranch_execz .LBB48_597
; %bb.577:
	s_movk_i32 s0, 0x80
	v_cmp_eq_u16_e32 vcc, s0, v1
	s_mov_b64 s[0:1], -1
                                        ; implicit-def: $sgpr54
	s_and_saveexec_b64 s[52:53], vcc
; %bb.578:
	s_mov_b32 s54, 0x7f800001
	s_xor_b64 s[0:1], exec, -1
; %bb.579:
	s_or_b64 exec, exec, s[52:53]
	s_and_b64 s[0:1], s[0:1], exec
	s_or_saveexec_b64 s[48:49], s[48:49]
	v_mov_b32_e32 v4, s54
	s_xor_b64 exec, exec, s[48:49]
	s_cbranch_execnz .LBB48_598
.LBB48_580:
	s_or_b64 exec, exec, s[48:49]
	s_and_saveexec_b64 s[48:49], s[0:1]
	s_cbranch_execz .LBB48_582
.LBB48_581:
	v_lshlrev_b32_e32 v4, 24, v1
	v_and_b32_e32 v1, 0xffff, v1
	v_and_b32_e32 v5, 7, v1
	v_ffbh_u32_e32 v12, v5
	v_min_u32_e32 v12, 32, v12
	v_subrev_u32_e32 v13, 28, v12
	v_bfe_u32 v11, v1, 3, 4
	v_lshlrev_b32_e32 v1, v13, v1
	v_sub_u32_e32 v12, 29, v12
	v_and_b32_e32 v1, 7, v1
	v_cmp_eq_u32_e32 vcc, 0, v11
	v_cndmask_b32_e32 v11, v11, v12, vcc
	v_cndmask_b32_e32 v1, v5, v1, vcc
	v_mov_b32_e32 v5, 0x3b800000
	v_lshlrev_b32_e32 v1, 20, v1
	v_and_b32_e32 v4, 0x80000000, v4
	v_lshl_add_u32 v5, v11, 23, v5
	v_or3_b32 v4, v4, v5, v1
.LBB48_582:
	s_or_b64 exec, exec, s[48:49]
	v_bfe_u32 v1, v4, 16, 1
	s_movk_i32 s0, 0x7fff
	v_add3_u32 v1, v4, v1, s0
	v_lshrrev_b32_e32 v1, 16, v1
	v_mov_b32_e32 v5, 0x7fc0
	v_cmp_o_f32_e32 vcc, v4, v4
	v_cndmask_b32_e32 v1, v5, v1, vcc
.LBB48_583:
	s_mov_b64 s[0:1], -1
.LBB48_584:
	s_mov_b64 s[48:49], 0
.LBB48_585:
	s_and_b64 vcc, exec, s[48:49]
	s_cbranch_vccz .LBB48_620
; %bb.586:
	s_waitcnt vmcnt(0)
	v_mov_b32_e32 v1, 22
	v_cmp_gt_i16_sdwa s[48:49], v7, v1 src0_sel:BYTE_0 src1_sel:DWORD
	s_and_b64 vcc, exec, s[48:49]
	s_cbranch_vccz .LBB48_596
; %bb.587:
	v_mov_b32_e32 v1, 24
	v_cmp_lt_i16_sdwa s[0:1], v7, v1 src0_sel:BYTE_0 src1_sel:DWORD
	s_and_b64 vcc, exec, s[0:1]
	s_cbranch_vccnz .LBB48_599
; %bb.588:
	v_cmp_gt_i16_sdwa s[0:1], v7, v1 src0_sel:BYTE_0 src1_sel:DWORD
	s_and_b64 vcc, exec, s[0:1]
	s_cbranch_vccz .LBB48_600
; %bb.589:
	global_load_ubyte v1, v[2:3], off
	s_movk_i32 s0, 0x7f
                                        ; implicit-def: $sgpr54
	s_waitcnt vmcnt(0)
	v_cmp_lt_i16_e32 vcc, s0, v1
	s_mov_b64 s[0:1], 0
	s_and_saveexec_b64 s[48:49], vcc
	s_xor_b64 s[48:49], exec, s[48:49]
	s_cbranch_execz .LBB48_612
; %bb.590:
	s_movk_i32 s0, 0x80
	v_cmp_eq_u16_e32 vcc, s0, v1
	s_mov_b64 s[0:1], -1
                                        ; implicit-def: $sgpr54
	s_and_saveexec_b64 s[52:53], vcc
; %bb.591:
	s_mov_b32 s54, 0x7f800001
	s_xor_b64 s[0:1], exec, -1
; %bb.592:
	s_or_b64 exec, exec, s[52:53]
	s_and_b64 s[0:1], s[0:1], exec
	s_or_saveexec_b64 s[48:49], s[48:49]
	v_mov_b32_e32 v4, s54
	s_xor_b64 exec, exec, s[48:49]
	s_cbranch_execnz .LBB48_613
.LBB48_593:
	s_or_b64 exec, exec, s[48:49]
	s_and_saveexec_b64 s[48:49], s[0:1]
	s_cbranch_execz .LBB48_595
.LBB48_594:
	v_lshlrev_b32_e32 v4, 24, v1
	v_and_b32_e32 v1, 0xffff, v1
	v_and_b32_e32 v5, 3, v1
	v_ffbh_u32_e32 v12, v5
	v_min_u32_e32 v12, 32, v12
	v_subrev_u32_e32 v13, 29, v12
	v_bfe_u32 v11, v1, 2, 5
	v_lshlrev_b32_e32 v1, v13, v1
	v_sub_u32_e32 v12, 30, v12
	v_and_b32_e32 v1, 3, v1
	v_cmp_eq_u32_e32 vcc, 0, v11
	v_cndmask_b32_e32 v11, v11, v12, vcc
	v_cndmask_b32_e32 v1, v5, v1, vcc
	v_mov_b32_e32 v5, 0x37800000
	v_lshlrev_b32_e32 v1, 21, v1
	v_and_b32_e32 v4, 0x80000000, v4
	v_lshl_add_u32 v5, v11, 23, v5
	v_or3_b32 v4, v4, v5, v1
.LBB48_595:
	s_or_b64 exec, exec, s[48:49]
	v_bfe_u32 v1, v4, 16, 1
	s_movk_i32 s0, 0x7fff
	v_add3_u32 v1, v4, v1, s0
	v_lshrrev_b32_e32 v1, 16, v1
	v_mov_b32_e32 v5, 0x7fc0
	v_cmp_o_f32_e32 vcc, v4, v4
	v_cndmask_b32_e32 v1, v5, v1, vcc
	s_mov_b64 s[0:1], 0
	s_branch .LBB48_601
.LBB48_596:
	s_mov_b64 s[48:49], -1
                                        ; implicit-def: $vgpr1
	s_branch .LBB48_607
.LBB48_597:
	s_or_saveexec_b64 s[48:49], s[48:49]
	v_mov_b32_e32 v4, s54
	s_xor_b64 exec, exec, s[48:49]
	s_cbranch_execz .LBB48_580
.LBB48_598:
	v_cmp_ne_u16_e32 vcc, 0, v1
	s_andn2_b64 s[0:1], s[0:1], exec
	s_and_b64 s[52:53], vcc, exec
	v_mov_b32_e32 v4, 0
	s_or_b64 s[0:1], s[0:1], s[52:53]
	s_or_b64 exec, exec, s[48:49]
	s_and_saveexec_b64 s[48:49], s[0:1]
	s_cbranch_execnz .LBB48_581
	s_branch .LBB48_582
.LBB48_599:
	s_mov_b64 s[0:1], -1
                                        ; implicit-def: $vgpr1
	s_branch .LBB48_604
.LBB48_600:
	s_mov_b64 s[0:1], -1
                                        ; implicit-def: $vgpr1
.LBB48_601:
	s_and_b64 vcc, exec, s[0:1]
	s_cbranch_vccz .LBB48_603
; %bb.602:
	global_load_ubyte v1, v[2:3], off
	s_mov_b32 s0, 0x7f800000
	s_brev_b32 s1, 1
	s_movk_i32 s48, 0x7fff
	v_mov_b32_e32 v4, 0x7fc0
	s_waitcnt vmcnt(0)
	v_lshlrev_b32_e32 v1, 24, v1
	v_and_b32_e32 v5, 0x7f000000, v1
	v_ffbh_u32_e32 v11, v5
	v_min_u32_e32 v11, 32, v11
	v_sub_u32_e64 v11, v11, 4 clamp
	v_lshlrev_b32_e32 v13, v11, v5
	v_lshlrev_b32_e32 v11, 23, v11
	v_lshrrev_b32_e32 v13, 4, v13
	v_add_u32_e32 v12, 0x1000000, v5
	v_sub_u32_e32 v11, v13, v11
	v_ashrrev_i32_e32 v12, 8, v12
	v_add_u32_e32 v11, 0x3c000000, v11
	v_and_or_b32 v11, v12, s0, v11
	v_cmp_ne_u32_e32 vcc, 0, v5
	v_cndmask_b32_e32 v5, 0, v11, vcc
	v_and_or_b32 v1, v1, s1, v5
	v_bfe_u32 v5, v5, 16, 1
	v_add3_u32 v5, v1, v5, s48
	v_lshrrev_b32_e32 v5, 16, v5
	v_cmp_o_f32_e32 vcc, v1, v1
	v_cndmask_b32_e32 v1, v4, v5, vcc
.LBB48_603:
	s_mov_b64 s[0:1], 0
.LBB48_604:
	s_andn2_b64 vcc, exec, s[0:1]
	s_cbranch_vccnz .LBB48_606
; %bb.605:
	global_load_ubyte v1, v[2:3], off
	s_movk_i32 s0, 0x7f00
	s_brev_b32 s1, 16
	s_brev_b32 s48, 1
	s_movk_i32 s49, 0x7fff
	v_mov_b32_e32 v4, 0x7fc0
	s_waitcnt vmcnt(0)
	v_lshlrev_b16_e32 v5, 8, v1
	v_lshlrev_b32_e32 v1, 25, v1
	v_lshrrev_b32_e32 v11, 4, v1
	v_and_or_b32 v12, v5, s0, 0.5
	v_or_b32_e32 v11, 0x70000000, v11
	v_add_f32_e32 v12, -0.5, v12
	v_mul_f32_e32 v11, 0x7800000, v11
	v_cmp_gt_u32_e32 vcc, s1, v1
	v_bfe_i32 v5, v5, 0, 16
	v_cndmask_b32_e32 v1, v11, v12, vcc
	v_and_or_b32 v5, v5, s48, v1
	v_bfe_u32 v1, v1, 16, 1
	v_add3_u32 v1, v5, v1, s49
	v_lshrrev_b32_e32 v1, 16, v1
	v_cmp_o_f32_e32 vcc, v5, v5
	v_cndmask_b32_e32 v1, v4, v1, vcc
.LBB48_606:
	s_mov_b64 s[48:49], 0
	s_mov_b64 s[0:1], -1
.LBB48_607:
	s_andn2_b64 vcc, exec, s[48:49]
	s_cbranch_vccnz .LBB48_620
; %bb.608:
	v_mov_b32_e32 v1, 14
	v_cmp_gt_i16_sdwa s[48:49], v7, v1 src0_sel:BYTE_0 src1_sel:DWORD
	s_and_b64 vcc, exec, s[48:49]
	s_cbranch_vccz .LBB48_611
; %bb.609:
	v_mov_b32_e32 v1, 15
	v_cmp_eq_u16_sdwa s[46:47], v7, v1 src0_sel:BYTE_0 src1_sel:DWORD
	s_and_b64 vcc, exec, s[46:47]
	s_cbranch_vccz .LBB48_614
; %bb.610:
	global_load_ushort v1, v[2:3], off
	s_mov_b64 s[0:1], -1
	s_mov_b64 s[46:47], 0
	s_branch .LBB48_615
.LBB48_611:
	s_mov_b64 s[48:49], -1
                                        ; implicit-def: $vgpr1
	s_branch .LBB48_616
.LBB48_612:
	s_or_saveexec_b64 s[48:49], s[48:49]
	v_mov_b32_e32 v4, s54
	s_xor_b64 exec, exec, s[48:49]
	s_cbranch_execz .LBB48_593
.LBB48_613:
	v_cmp_ne_u16_e32 vcc, 0, v1
	s_andn2_b64 s[0:1], s[0:1], exec
	s_and_b64 s[52:53], vcc, exec
	v_mov_b32_e32 v4, 0
	s_or_b64 s[0:1], s[0:1], s[52:53]
	s_or_b64 exec, exec, s[48:49]
	s_and_saveexec_b64 s[48:49], s[0:1]
	s_cbranch_execnz .LBB48_594
	s_branch .LBB48_595
.LBB48_614:
	s_mov_b64 s[46:47], -1
                                        ; implicit-def: $vgpr1
.LBB48_615:
	s_mov_b64 s[48:49], 0
.LBB48_616:
	s_and_b64 vcc, exec, s[48:49]
	s_cbranch_vccz .LBB48_620
; %bb.617:
	s_waitcnt vmcnt(0)
	v_mov_b32_e32 v1, 11
	v_cmp_eq_u16_sdwa s[46:47], v7, v1 src0_sel:BYTE_0 src1_sel:DWORD
	s_and_b64 vcc, exec, s[46:47]
	s_cbranch_vccz .LBB48_619
; %bb.618:
	global_load_ubyte v1, v[2:3], off
	s_mov_b64 s[0:1], -1
	s_mov_b64 s[46:47], 0
	s_waitcnt vmcnt(0)
	v_cmp_ne_u16_e32 vcc, 0, v1
	v_cndmask_b32_e64 v1, 0, 1.0, vcc
	v_lshrrev_b32_e32 v1, 16, v1
	s_branch .LBB48_620
.LBB48_619:
	s_mov_b64 s[46:47], -1
                                        ; implicit-def: $vgpr1
.LBB48_620:
	s_mov_b64 s[48:49], 0
.LBB48_621:
	s_and_b64 vcc, exec, s[48:49]
	s_cbranch_vccz .LBB48_670
; %bb.622:
	s_waitcnt vmcnt(0)
	v_mov_b32_e32 v1, 5
	v_cmp_lt_i16_sdwa s[0:1], v7, v1 src0_sel:BYTE_0 src1_sel:DWORD
	s_and_b64 vcc, exec, s[0:1]
	s_cbranch_vccnz .LBB48_627
; %bb.623:
	v_mov_b32_e32 v1, 8
	v_cmp_lt_i16_sdwa s[0:1], v7, v1 src0_sel:BYTE_0 src1_sel:DWORD
	s_and_b64 vcc, exec, s[0:1]
	s_cbranch_vccnz .LBB48_628
; %bb.624:
	;; [unrolled: 5-line block ×3, first 2 shown]
	v_cmp_gt_i16_sdwa s[0:1], v7, v1 src0_sel:BYTE_0 src1_sel:DWORD
	s_and_b64 vcc, exec, s[0:1]
	s_cbranch_vccz .LBB48_630
; %bb.626:
	global_load_dwordx2 v[4:5], v[2:3], off
	s_movk_i32 s0, 0x7fff
	v_mov_b32_e32 v1, 0x7fc0
	s_waitcnt vmcnt(0)
	v_cvt_f32_f64_e32 v4, v[4:5]
	v_bfe_u32 v5, v4, 16, 1
	v_add3_u32 v5, v4, v5, s0
	v_lshrrev_b32_e32 v5, 16, v5
	v_cmp_o_f32_e32 vcc, v4, v4
	v_cndmask_b32_e32 v1, v1, v5, vcc
	s_mov_b64 s[0:1], 0
	s_branch .LBB48_631
.LBB48_627:
	s_mov_b64 s[0:1], -1
                                        ; implicit-def: $vgpr1
	s_branch .LBB48_649
.LBB48_628:
	s_mov_b64 s[0:1], -1
                                        ; implicit-def: $vgpr1
	s_branch .LBB48_637
.LBB48_629:
	s_mov_b64 s[0:1], -1
                                        ; implicit-def: $vgpr1
	s_branch .LBB48_634
.LBB48_630:
	s_mov_b64 s[0:1], -1
                                        ; implicit-def: $vgpr1
.LBB48_631:
	s_andn2_b64 vcc, exec, s[0:1]
	s_cbranch_vccnz .LBB48_633
; %bb.632:
	global_load_dword v1, v[2:3], off
	s_movk_i32 s0, 0x7fff
	v_mov_b32_e32 v4, 0x7fc0
	s_waitcnt vmcnt(0)
	v_bfe_u32 v5, v1, 16, 1
	v_add3_u32 v5, v1, v5, s0
	v_lshrrev_b32_e32 v5, 16, v5
	v_cmp_o_f32_e32 vcc, v1, v1
	v_cndmask_b32_e32 v1, v4, v5, vcc
.LBB48_633:
	s_mov_b64 s[0:1], 0
.LBB48_634:
	s_andn2_b64 vcc, exec, s[0:1]
	s_cbranch_vccnz .LBB48_636
; %bb.635:
	global_load_dword v1, v[2:3], off
	s_movk_i32 s0, 0x7fff
	v_mov_b32_e32 v5, 0x7fc0
	s_waitcnt vmcnt(0)
	v_cvt_f32_f16_e32 v4, v1
	v_cmp_o_f16_e32 vcc, v1, v1
	v_bfe_u32 v11, v4, 16, 1
	v_add3_u32 v4, v4, v11, s0
	v_lshrrev_b32_e32 v4, 16, v4
	v_cndmask_b32_e32 v1, v5, v4, vcc
.LBB48_636:
	s_mov_b64 s[0:1], 0
.LBB48_637:
	s_andn2_b64 vcc, exec, s[0:1]
	s_cbranch_vccnz .LBB48_648
; %bb.638:
	v_mov_b32_e32 v1, 6
	v_cmp_lt_i16_sdwa s[0:1], v7, v1 src0_sel:BYTE_0 src1_sel:DWORD
	s_and_b64 vcc, exec, s[0:1]
	s_cbranch_vccnz .LBB48_641
; %bb.639:
	v_cmp_gt_i16_sdwa s[0:1], v7, v1 src0_sel:BYTE_0 src1_sel:DWORD
	s_and_b64 vcc, exec, s[0:1]
	s_cbranch_vccz .LBB48_642
; %bb.640:
	global_load_dwordx2 v[4:5], v[2:3], off
	s_movk_i32 s0, 0x7fff
	v_mov_b32_e32 v1, 0x7fc0
	s_waitcnt vmcnt(0)
	v_cvt_f32_f64_e32 v4, v[4:5]
	v_bfe_u32 v5, v4, 16, 1
	v_add3_u32 v5, v4, v5, s0
	v_lshrrev_b32_e32 v5, 16, v5
	v_cmp_o_f32_e32 vcc, v4, v4
	v_cndmask_b32_e32 v1, v1, v5, vcc
	s_mov_b64 s[0:1], 0
	s_branch .LBB48_643
.LBB48_641:
	s_mov_b64 s[0:1], -1
                                        ; implicit-def: $vgpr1
	s_branch .LBB48_646
.LBB48_642:
	s_mov_b64 s[0:1], -1
                                        ; implicit-def: $vgpr1
.LBB48_643:
	s_andn2_b64 vcc, exec, s[0:1]
	s_cbranch_vccnz .LBB48_645
; %bb.644:
	global_load_dword v1, v[2:3], off
	s_movk_i32 s0, 0x7fff
	v_mov_b32_e32 v4, 0x7fc0
	s_waitcnt vmcnt(0)
	v_bfe_u32 v5, v1, 16, 1
	v_add3_u32 v5, v1, v5, s0
	v_lshrrev_b32_e32 v5, 16, v5
	v_cmp_o_f32_e32 vcc, v1, v1
	v_cndmask_b32_e32 v1, v4, v5, vcc
.LBB48_645:
	s_mov_b64 s[0:1], 0
.LBB48_646:
	s_andn2_b64 vcc, exec, s[0:1]
	s_cbranch_vccnz .LBB48_648
; %bb.647:
	global_load_ushort v1, v[2:3], off
	s_movk_i32 s0, 0x7fff
	v_mov_b32_e32 v5, 0x7fc0
	s_waitcnt vmcnt(0)
	v_cvt_f32_f16_e32 v4, v1
	v_cmp_o_f16_e32 vcc, v1, v1
	v_bfe_u32 v11, v4, 16, 1
	v_add3_u32 v4, v4, v11, s0
	v_lshrrev_b32_e32 v4, 16, v4
	v_cndmask_b32_e32 v1, v5, v4, vcc
.LBB48_648:
	s_mov_b64 s[0:1], 0
.LBB48_649:
	s_andn2_b64 vcc, exec, s[0:1]
	s_cbranch_vccnz .LBB48_669
; %bb.650:
	v_mov_b32_e32 v1, 2
	v_cmp_lt_i16_sdwa s[0:1], v7, v1 src0_sel:BYTE_0 src1_sel:DWORD
	s_and_b64 vcc, exec, s[0:1]
	s_cbranch_vccnz .LBB48_654
; %bb.651:
	v_mov_b32_e32 v1, 3
	v_cmp_lt_i16_sdwa s[0:1], v7, v1 src0_sel:BYTE_0 src1_sel:DWORD
	s_and_b64 vcc, exec, s[0:1]
	s_cbranch_vccnz .LBB48_655
; %bb.652:
	v_cmp_gt_i16_sdwa s[0:1], v7, v1 src0_sel:BYTE_0 src1_sel:DWORD
	s_and_b64 vcc, exec, s[0:1]
	s_cbranch_vccz .LBB48_656
; %bb.653:
	global_load_dwordx2 v[4:5], v[2:3], off
	s_movk_i32 s0, 0x7fff
	s_waitcnt vmcnt(0)
	v_xor_b32_e32 v11, v4, v5
	v_ffbh_i32_e32 v1, v5
	v_ashrrev_i32_e32 v11, 31, v11
	v_add_u32_e32 v1, -1, v1
	v_add_u32_e32 v11, 32, v11
	v_min_u32_e32 v1, v1, v11
	v_lshlrev_b64 v[4:5], v1, v[4:5]
	v_min_u32_e32 v4, 1, v4
	v_or_b32_e32 v4, v5, v4
	v_cvt_f32_i32_e32 v4, v4
	v_sub_u32_e32 v1, 32, v1
	v_ldexp_f32 v1, v4, v1
	v_bfe_u32 v4, v1, 16, 1
	v_add3_u32 v1, v1, v4, s0
	v_lshrrev_b32_e32 v1, 16, v1
	s_mov_b64 s[0:1], 0
	s_branch .LBB48_657
.LBB48_654:
	s_mov_b64 s[0:1], -1
                                        ; implicit-def: $vgpr1
	s_branch .LBB48_663
.LBB48_655:
	s_mov_b64 s[0:1], -1
                                        ; implicit-def: $vgpr1
	s_branch .LBB48_660
.LBB48_656:
	s_mov_b64 s[0:1], -1
                                        ; implicit-def: $vgpr1
.LBB48_657:
	s_andn2_b64 vcc, exec, s[0:1]
	s_cbranch_vccnz .LBB48_659
; %bb.658:
	global_load_dword v1, v[2:3], off
	s_movk_i32 s0, 0x7fff
	s_waitcnt vmcnt(0)
	v_cvt_f32_i32_e32 v1, v1
	v_bfe_u32 v4, v1, 16, 1
	v_add3_u32 v1, v1, v4, s0
	v_lshrrev_b32_e32 v1, 16, v1
.LBB48_659:
	s_mov_b64 s[0:1], 0
.LBB48_660:
	s_andn2_b64 vcc, exec, s[0:1]
	s_cbranch_vccnz .LBB48_662
; %bb.661:
	global_load_sshort v1, v[2:3], off
	s_movk_i32 s0, 0x7fff
	s_waitcnt vmcnt(0)
	v_cvt_f32_i32_e32 v1, v1
	v_bfe_u32 v4, v1, 16, 1
	v_add3_u32 v1, v1, v4, s0
	v_lshrrev_b32_e32 v1, 16, v1
.LBB48_662:
	s_mov_b64 s[0:1], 0
.LBB48_663:
	s_andn2_b64 vcc, exec, s[0:1]
	s_cbranch_vccnz .LBB48_669
; %bb.664:
	v_mov_b32_e32 v1, 0
	v_cmp_gt_i16_sdwa s[0:1], v7, v1 src0_sel:BYTE_0 src1_sel:DWORD
	s_and_b64 vcc, exec, s[0:1]
	s_cbranch_vccz .LBB48_666
; %bb.665:
	global_load_sbyte v1, v[2:3], off
	s_movk_i32 s0, 0x7fff
	s_waitcnt vmcnt(0)
	v_cvt_f32_i32_e32 v1, v1
	v_bfe_u32 v4, v1, 16, 1
	v_add3_u32 v1, v1, v4, s0
	v_lshrrev_b32_e32 v1, 16, v1
	s_mov_b64 s[0:1], 0
	s_branch .LBB48_667
.LBB48_666:
	s_mov_b64 s[0:1], -1
                                        ; implicit-def: $vgpr1
.LBB48_667:
	s_andn2_b64 vcc, exec, s[0:1]
	s_cbranch_vccnz .LBB48_669
; %bb.668:
	global_load_ubyte v1, v[2:3], off
	s_movk_i32 s0, 0x7fff
	s_waitcnt vmcnt(0)
	v_cvt_f32_ubyte0_e32 v1, v1
	v_bfe_u32 v2, v1, 16, 1
	v_add3_u32 v1, v1, v2, s0
	v_lshrrev_b32_e32 v1, 16, v1
.LBB48_669:
	s_mov_b64 s[0:1], -1
.LBB48_670:
	s_andn2_b64 vcc, exec, s[0:1]
	s_cbranch_vccnz .LBB48_680
; %bb.671:
	s_waitcnt vmcnt(0)
	v_lshlrev_b32_e32 v2, 16, v10
	v_cmp_nlt_f32_e32 vcc, 0, v2
	s_and_saveexec_b64 s[0:1], vcc
; %bb.672:
	v_lshlrev_b32_e32 v1, 16, v1
	v_mul_f32_e32 v1, v2, v1
	v_bfe_u32 v2, v1, 16, 1
	s_movk_i32 s48, 0x7fff
	v_add3_u32 v2, v1, v2, s48
	v_lshrrev_b32_e32 v2, 16, v2
	v_mov_b32_e32 v3, 0x7fc0
	v_cmp_o_f32_e32 vcc, v1, v1
	v_cndmask_b32_e32 v10, v3, v2, vcc
; %bb.673:
	s_or_b64 exec, exec, s[0:1]
	v_mov_b32_e32 v1, s9
	v_add_co_u32_e32 v0, vcc, s8, v0
	v_mov_b32_e32 v2, 11
	v_addc_co_u32_e32 v1, vcc, 0, v1, vcc
	v_cmp_lt_i16_sdwa s[0:1], v6, v2 src0_sel:BYTE_0 src1_sel:DWORD
	s_and_b64 vcc, exec, s[0:1]
	s_cbranch_vccnz .LBB48_681
; %bb.674:
	v_mov_b32_e32 v2, 25
	v_cmp_gt_i16_sdwa s[0:1], v6, v2 src0_sel:BYTE_0 src1_sel:DWORD
	s_and_b64 vcc, exec, s[0:1]
	s_cbranch_vccz .LBB48_682
; %bb.675:
	v_mov_b32_e32 v2, 28
	v_cmp_gt_i16_sdwa s[0:1], v6, v2 src0_sel:BYTE_0 src1_sel:DWORD
	s_and_b64 vcc, exec, s[0:1]
	s_cbranch_vccz .LBB48_683
	;; [unrolled: 5-line block ×4, first 2 shown]
; %bb.678:
	v_mov_b32_e32 v2, 46
	v_cmp_eq_u16_sdwa s[48:49], v6, v2 src0_sel:BYTE_0 src1_sel:DWORD
	s_mov_b64 s[52:53], 0
	s_mov_b64 s[0:1], -1
	s_and_b64 vcc, exec, s[48:49]
	s_mov_b64 s[48:49], 0
	s_cbranch_vccz .LBB48_686
; %bb.679:
	v_and_b32_e32 v2, 0xffff, v10
	global_store_dword v[0:1], v2, off
	s_mov_b64 s[48:49], -1
	s_mov_b64 s[0:1], 0
	s_branch .LBB48_686
.LBB48_680:
	s_mov_b64 s[52:53], 0
                                        ; implicit-def: $vgpr8
	s_mov_b64 s[0:1], s[36:37]
	s_branch .LBB48_796
.LBB48_681:
	s_mov_b64 s[52:53], -1
	s_mov_b64 s[48:49], 0
	s_mov_b64 s[0:1], s[36:37]
	s_branch .LBB48_755
.LBB48_682:
	s_mov_b64 s[52:53], -1
	s_mov_b64 s[48:49], 0
	s_mov_b64 s[0:1], s[36:37]
	s_branch .LBB48_713
.LBB48_683:
	s_mov_b64 s[52:53], -1
	s_mov_b64 s[48:49], 0
	s_mov_b64 s[0:1], s[36:37]
	s_branch .LBB48_696
.LBB48_684:
	s_mov_b64 s[52:53], -1
	s_mov_b64 s[48:49], 0
	s_mov_b64 s[0:1], s[36:37]
	s_branch .LBB48_692
.LBB48_685:
	s_mov_b64 s[52:53], -1
	s_mov_b64 s[48:49], 0
	s_mov_b64 s[0:1], s[36:37]
.LBB48_686:
	s_and_b64 vcc, exec, s[52:53]
	s_cbranch_vccz .LBB48_691
; %bb.687:
	v_mov_b32_e32 v2, 44
	v_cmp_eq_u16_sdwa s[52:53], v6, v2 src0_sel:BYTE_0 src1_sel:DWORD
	s_mov_b64 s[0:1], -1
	s_and_b64 vcc, exec, s[52:53]
	s_cbranch_vccz .LBB48_691
; %bb.688:
	v_and_b32_e32 v3, 0xffff, v10
	v_bfe_u32 v2, v3, 7, 8
	s_movk_i32 s0, 0xff
	v_cmp_ne_u32_e32 vcc, s0, v2
	v_mov_b32_e32 v4, 0xff
	s_and_saveexec_b64 s[48:49], vcc
; %bb.689:
	v_lshlrev_b32_e32 v5, 16, v3
	s_mov_b32 s0, 0x3f0000
	v_lshrrev_b32_e32 v4, 7, v3
	v_and_b32_e32 v3, 64, v3
	v_and_or_b32 v2, v5, s0, v2
	v_cmp_ne_u32_e32 vcc, 0, v3
	v_cmp_ne_u32_e64 s[0:1], 0, v2
	s_and_b64 s[0:1], vcc, s[0:1]
	v_cndmask_b32_e64 v2, 0, 1, s[0:1]
	v_add_u32_e32 v4, v4, v2
; %bb.690:
	s_or_b64 exec, exec, s[48:49]
	s_mov_b64 s[48:49], -1
	s_mov_b64 s[0:1], 0
	global_store_byte v[0:1], v4, off
.LBB48_691:
	s_mov_b64 s[52:53], 0
.LBB48_692:
	s_and_b64 vcc, exec, s[52:53]
	s_cbranch_vccz .LBB48_695
; %bb.693:
	v_mov_b32_e32 v2, 29
	v_cmp_eq_u16_sdwa s[52:53], v6, v2 src0_sel:BYTE_0 src1_sel:DWORD
	s_mov_b64 s[0:1], -1
	s_and_b64 vcc, exec, s[52:53]
	s_cbranch_vccz .LBB48_695
; %bb.694:
	v_lshlrev_b32_e32 v2, 16, v10
	v_trunc_f32_e32 v2, v2
	v_mul_f32_e32 v3, 0x2f800000, v2
	v_floor_f32_e32 v4, v3
	v_fmac_f32_e32 v2, 0xcf800000, v4
	v_cvt_u32_f32_e32 v3, v4
	v_cvt_u32_f32_e32 v2, v2
	s_mov_b64 s[48:49], -1
	s_mov_b64 s[0:1], 0
	s_mov_b64 s[52:53], 0
	global_store_dwordx2 v[0:1], v[2:3], off
	s_branch .LBB48_696
.LBB48_695:
	s_mov_b64 s[52:53], 0
.LBB48_696:
	s_and_b64 vcc, exec, s[52:53]
	s_cbranch_vccz .LBB48_712
; %bb.697:
	v_mov_b32_e32 v2, 27
	v_cmp_lt_i16_sdwa s[52:53], v6, v2 src0_sel:BYTE_0 src1_sel:DWORD
	s_mov_b64 s[48:49], -1
	s_and_b64 vcc, exec, s[52:53]
	s_cbranch_vccnz .LBB48_703
; %bb.698:
	v_cmp_gt_i16_sdwa s[52:53], v6, v2 src0_sel:BYTE_0 src1_sel:DWORD
	s_and_b64 vcc, exec, s[52:53]
	s_cbranch_vccz .LBB48_700
; %bb.699:
	v_lshlrev_b32_e32 v2, 16, v10
	v_cvt_u32_f32_e32 v2, v2
	s_mov_b64 s[48:49], 0
	global_store_dword v[0:1], v2, off
.LBB48_700:
	s_andn2_b64 vcc, exec, s[48:49]
	s_cbranch_vccnz .LBB48_702
; %bb.701:
	v_lshlrev_b32_e32 v2, 16, v10
	v_cvt_u32_f32_e32 v2, v2
	global_store_short v[0:1], v2, off
.LBB48_702:
	s_mov_b64 s[48:49], 0
.LBB48_703:
	s_andn2_b64 vcc, exec, s[48:49]
	s_cbranch_vccnz .LBB48_711
; %bb.704:
	v_lshlrev_b32_e32 v4, 16, v10
	v_and_b32_e32 v3, 0x7fffffff, v4
	s_mov_b32 s48, 0x43800000
	v_cmp_gt_u32_e32 vcc, s48, v3
	v_mov_b32_e32 v5, 0x80
	s_and_saveexec_b64 s[48:49], vcc
	s_cbranch_execz .LBB48_710
; %bb.705:
	s_mov_b32 s52, 0x3bffffff
	v_and_b32_e32 v2, 0xffff, v10
	v_cmp_lt_u32_e32 vcc, s52, v3
	s_mov_b64 s[52:53], 0
                                        ; implicit-def: $vgpr3
	s_and_saveexec_b64 s[54:55], vcc
	s_xor_b64 s[54:55], exec, s[54:55]
	s_cbranch_execz .LBB48_823
; %bb.706:
	v_bfe_u32 v3, v2, 4, 1
	s_mov_b32 s56, 0x487ffff
	v_add3_u32 v3, v4, v3, s56
	s_mov_b64 s[52:53], exec
	v_lshrrev_b32_e32 v3, 20, v3
                                        ; implicit-def: $vgpr4
	s_or_saveexec_b64 s[54:55], s[54:55]
                                        ; implicit-def: $sgpr56
	s_xor_b64 exec, exec, s[54:55]
	s_cbranch_execnz .LBB48_824
.LBB48_707:
	s_or_b64 exec, exec, s[54:55]
	v_mov_b32_e32 v5, s56
	s_and_saveexec_b64 s[54:55], s[52:53]
.LBB48_708:
	v_lshrrev_b32_e32 v2, 8, v2
	s_movk_i32 s52, 0x80
	v_and_or_b32 v5, v2, s52, v3
.LBB48_709:
	s_or_b64 exec, exec, s[54:55]
.LBB48_710:
	s_or_b64 exec, exec, s[48:49]
	global_store_byte v[0:1], v5, off
.LBB48_711:
	s_mov_b64 s[48:49], -1
.LBB48_712:
	s_mov_b64 s[52:53], 0
.LBB48_713:
	s_and_b64 vcc, exec, s[52:53]
	s_cbranch_vccz .LBB48_754
; %bb.714:
	v_mov_b32_e32 v2, 22
	v_cmp_gt_i16_sdwa s[54:55], v6, v2 src0_sel:BYTE_0 src1_sel:DWORD
	s_mov_b64 s[52:53], -1
	s_and_b64 vcc, exec, s[54:55]
	s_cbranch_vccz .LBB48_746
; %bb.715:
	v_mov_b32_e32 v2, 24
	v_cmp_lt_i16_sdwa s[52:53], v6, v2 src0_sel:BYTE_0 src1_sel:DWORD
	s_mov_b64 s[48:49], -1
	s_and_b64 vcc, exec, s[52:53]
	s_cbranch_vccnz .LBB48_735
; %bb.716:
	v_cmp_gt_i16_sdwa s[52:53], v6, v2 src0_sel:BYTE_0 src1_sel:DWORD
	s_and_b64 vcc, exec, s[52:53]
	s_cbranch_vccz .LBB48_724
; %bb.717:
	v_lshlrev_b32_e32 v4, 16, v10
	v_and_b32_e32 v3, 0x7fffffff, v4
	s_mov_b32 s48, 0x47800000
	v_cmp_gt_u32_e32 vcc, s48, v3
	v_mov_b32_e32 v5, 0x80
	s_and_saveexec_b64 s[48:49], vcc
	s_cbranch_execz .LBB48_723
; %bb.718:
	s_mov_b32 s52, 0x37ffffff
	v_and_b32_e32 v2, 0xffff, v10
	v_cmp_lt_u32_e32 vcc, s52, v3
	s_mov_b64 s[52:53], 0
                                        ; implicit-def: $vgpr3
	s_and_saveexec_b64 s[54:55], vcc
	s_xor_b64 s[54:55], exec, s[54:55]
	s_cbranch_execz .LBB48_955
; %bb.719:
	v_bfe_u32 v3, v2, 5, 1
	s_mov_b32 s56, 0x88fffff
	v_add3_u32 v3, v4, v3, s56
	s_mov_b64 s[52:53], exec
	v_lshrrev_b32_e32 v3, 21, v3
                                        ; implicit-def: $vgpr4
	s_or_saveexec_b64 s[54:55], s[54:55]
                                        ; implicit-def: $sgpr56
	s_xor_b64 exec, exec, s[54:55]
	s_cbranch_execnz .LBB48_956
.LBB48_720:
	s_or_b64 exec, exec, s[54:55]
	v_mov_b32_e32 v5, s56
	s_and_saveexec_b64 s[54:55], s[52:53]
.LBB48_721:
	v_lshrrev_b32_e32 v2, 8, v2
	s_movk_i32 s52, 0x80
	v_and_or_b32 v5, v2, s52, v3
.LBB48_722:
	s_or_b64 exec, exec, s[54:55]
.LBB48_723:
	s_or_b64 exec, exec, s[48:49]
	s_mov_b64 s[48:49], 0
	global_store_byte v[0:1], v5, off
.LBB48_724:
	s_and_b64 vcc, exec, s[48:49]
	s_cbranch_vccz .LBB48_734
; %bb.725:
	v_lshlrev_b32_e32 v4, 16, v10
	v_and_b32_e32 v5, 0x7fffffff, v4
	s_mov_b32 s48, 0x43f00000
	v_and_b32_e32 v2, 0xffff, v10
	v_cmp_gt_u32_e32 vcc, s48, v5
                                        ; implicit-def: $vgpr3
	s_and_saveexec_b64 s[48:49], vcc
	s_xor_b64 s[48:49], exec, s[48:49]
	s_cbranch_execz .LBB48_731
; %bb.726:
	s_mov_b32 s52, 0x3c7fffff
	v_cmp_lt_u32_e32 vcc, s52, v5
                                        ; implicit-def: $vgpr3
	s_and_saveexec_b64 s[52:53], vcc
	s_xor_b64 s[52:53], exec, s[52:53]
; %bb.727:
	v_bfe_u32 v3, v2, 4, 1
	s_mov_b32 s54, 0x407ffff
	v_add3_u32 v3, v4, v3, s54
	v_lshrrev_b32_e32 v4, 20, v3
	v_and_b32_e32 v3, 0xff00000, v3
	s_mov_b32 s54, 0x7f00000
	v_mov_b32_e32 v5, 0x7e
	v_cmp_ne_u32_e32 vcc, s54, v3
	v_cndmask_b32_e32 v3, v5, v4, vcc
                                        ; implicit-def: $vgpr4
; %bb.728:
	s_andn2_saveexec_b64 s[52:53], s[52:53]
; %bb.729:
	s_mov_b32 s54, 0x46800000
	v_add_f32_e64 v3, |v4|, s54
; %bb.730:
	s_or_b64 exec, exec, s[52:53]
                                        ; implicit-def: $vgpr5
.LBB48_731:
	s_andn2_saveexec_b64 s[48:49], s[48:49]
; %bb.732:
	s_mov_b32 s52, 0x7f800000
	v_mov_b32_e32 v3, 0x7e
	v_mov_b32_e32 v4, 0x7f
	v_cmp_lt_u32_e32 vcc, s52, v5
	v_cndmask_b32_e32 v3, v3, v4, vcc
; %bb.733:
	s_or_b64 exec, exec, s[48:49]
	v_lshrrev_b32_e32 v2, 8, v2
	s_movk_i32 s48, 0x80
	v_and_or_b32 v2, v2, s48, v3
	global_store_byte v[0:1], v2, off
.LBB48_734:
	s_mov_b64 s[48:49], 0
.LBB48_735:
	s_andn2_b64 vcc, exec, s[48:49]
	s_cbranch_vccnz .LBB48_745
; %bb.736:
	v_lshlrev_b32_e32 v4, 16, v10
	v_and_b32_e32 v5, 0x7fffffff, v4
	s_mov_b32 s48, 0x47800000
	v_and_b32_e32 v2, 0xffff, v10
	v_cmp_gt_u32_e32 vcc, s48, v5
                                        ; implicit-def: $vgpr3
	s_and_saveexec_b64 s[48:49], vcc
	s_xor_b64 s[48:49], exec, s[48:49]
	s_cbranch_execz .LBB48_742
; %bb.737:
	s_mov_b32 s52, 0x387fffff
	v_cmp_lt_u32_e32 vcc, s52, v5
                                        ; implicit-def: $vgpr3
	s_and_saveexec_b64 s[52:53], vcc
	s_xor_b64 s[52:53], exec, s[52:53]
; %bb.738:
	v_bfe_u32 v3, v2, 5, 1
	s_mov_b32 s54, 0x80fffff
	v_add3_u32 v3, v4, v3, s54
	v_lshrrev_b32_e32 v3, 21, v3
                                        ; implicit-def: $vgpr4
; %bb.739:
	s_andn2_saveexec_b64 s[52:53], s[52:53]
; %bb.740:
	s_mov_b32 s54, 0x43000000
	v_add_f32_e64 v3, |v4|, s54
; %bb.741:
	s_or_b64 exec, exec, s[52:53]
                                        ; implicit-def: $vgpr5
.LBB48_742:
	s_andn2_saveexec_b64 s[48:49], s[48:49]
; %bb.743:
	s_mov_b32 s52, 0x7f800000
	v_mov_b32_e32 v3, 0x7c
	v_mov_b32_e32 v4, 0x7f
	v_cmp_lt_u32_e32 vcc, s52, v5
	v_cndmask_b32_e32 v3, v3, v4, vcc
; %bb.744:
	s_or_b64 exec, exec, s[48:49]
	v_lshrrev_b32_e32 v2, 8, v2
	s_movk_i32 s48, 0x80
	v_and_or_b32 v2, v2, s48, v3
	global_store_byte v[0:1], v2, off
.LBB48_745:
	s_mov_b64 s[52:53], 0
	s_mov_b64 s[48:49], -1
.LBB48_746:
	s_andn2_b64 vcc, exec, s[52:53]
	s_cbranch_vccnz .LBB48_754
; %bb.747:
	v_mov_b32_e32 v2, 14
	v_cmp_gt_i16_sdwa s[54:55], v6, v2 src0_sel:BYTE_0 src1_sel:DWORD
	s_mov_b64 s[52:53], -1
	s_and_b64 vcc, exec, s[54:55]
	s_cbranch_vccz .LBB48_751
; %bb.748:
	v_mov_b32_e32 v2, 15
	v_cmp_eq_u16_sdwa s[52:53], v6, v2 src0_sel:BYTE_0 src1_sel:DWORD
	s_mov_b64 s[0:1], -1
	s_and_b64 vcc, exec, s[52:53]
	s_cbranch_vccz .LBB48_750
; %bb.749:
	global_store_short v[0:1], v10, off
	s_mov_b64 s[48:49], -1
	s_mov_b64 s[0:1], 0
.LBB48_750:
	s_mov_b64 s[52:53], 0
.LBB48_751:
	s_and_b64 vcc, exec, s[52:53]
	s_cbranch_vccz .LBB48_754
; %bb.752:
	v_mov_b32_e32 v2, 11
	v_cmp_eq_u16_sdwa s[52:53], v6, v2 src0_sel:BYTE_0 src1_sel:DWORD
	s_mov_b64 s[0:1], -1
	s_and_b64 vcc, exec, s[52:53]
	s_cbranch_vccz .LBB48_754
; %bb.753:
	v_and_b32_e32 v2, 0x7fff, v10
	v_cmp_ne_u16_e32 vcc, 0, v2
	v_cndmask_b32_e64 v2, 0, 1, vcc
	s_mov_b64 s[48:49], -1
	s_mov_b64 s[0:1], 0
	global_store_byte v[0:1], v2, off
.LBB48_754:
	s_mov_b64 s[52:53], 0
.LBB48_755:
	s_and_b64 vcc, exec, s[52:53]
	s_cbranch_vccz .LBB48_794
; %bb.756:
	v_mov_b32_e32 v2, 5
	v_cmp_lt_i16_sdwa s[52:53], v6, v2 src0_sel:BYTE_0 src1_sel:DWORD
	s_mov_b64 s[48:49], -1
	s_and_b64 vcc, exec, s[52:53]
	s_cbranch_vccnz .LBB48_777
; %bb.757:
	v_mov_b32_e32 v2, 8
	v_cmp_lt_i16_sdwa s[52:53], v6, v2 src0_sel:BYTE_0 src1_sel:DWORD
	s_and_b64 vcc, exec, s[52:53]
	s_cbranch_vccnz .LBB48_767
; %bb.758:
	v_mov_b32_e32 v2, 9
	v_cmp_lt_i16_sdwa s[52:53], v6, v2 src0_sel:BYTE_0 src1_sel:DWORD
	s_and_b64 vcc, exec, s[52:53]
	s_cbranch_vccnz .LBB48_764
; %bb.759:
	v_cmp_gt_i16_sdwa s[52:53], v6, v2 src0_sel:BYTE_0 src1_sel:DWORD
	s_and_b64 vcc, exec, s[52:53]
	s_cbranch_vccz .LBB48_761
; %bb.760:
	v_lshlrev_b32_e32 v2, 16, v10
	v_mov_b32_e32 v4, 0
	v_cvt_f64_f32_e32 v[2:3], v2
	v_mov_b32_e32 v5, v4
	s_mov_b64 s[48:49], 0
	global_store_dwordx4 v[0:1], v[2:5], off
.LBB48_761:
	s_andn2_b64 vcc, exec, s[48:49]
	s_cbranch_vccnz .LBB48_763
; %bb.762:
	v_lshlrev_b32_e32 v2, 16, v10
	v_mov_b32_e32 v3, 0
	global_store_dwordx2 v[0:1], v[2:3], off
.LBB48_763:
	s_mov_b64 s[48:49], 0
.LBB48_764:
	s_andn2_b64 vcc, exec, s[48:49]
	s_cbranch_vccnz .LBB48_766
; %bb.765:
	v_lshlrev_b32_e32 v2, 16, v10
	v_cvt_f16_f32_e32 v2, v2
	global_store_dword v[0:1], v2, off
.LBB48_766:
	s_mov_b64 s[48:49], 0
.LBB48_767:
	s_andn2_b64 vcc, exec, s[48:49]
	s_cbranch_vccnz .LBB48_776
; %bb.768:
	v_mov_b32_e32 v2, 6
	v_cmp_lt_i16_sdwa s[52:53], v6, v2 src0_sel:BYTE_0 src1_sel:DWORD
	s_mov_b64 s[48:49], -1
	s_and_b64 vcc, exec, s[52:53]
	s_cbranch_vccnz .LBB48_774
; %bb.769:
	v_cmp_gt_i16_sdwa s[52:53], v6, v2 src0_sel:BYTE_0 src1_sel:DWORD
	s_and_b64 vcc, exec, s[52:53]
	s_cbranch_vccz .LBB48_771
; %bb.770:
	v_lshlrev_b32_e32 v2, 16, v10
	v_cvt_f64_f32_e32 v[2:3], v2
	s_mov_b64 s[48:49], 0
	global_store_dwordx2 v[0:1], v[2:3], off
.LBB48_771:
	s_andn2_b64 vcc, exec, s[48:49]
	s_cbranch_vccnz .LBB48_773
; %bb.772:
	v_lshlrev_b32_e32 v2, 16, v10
	global_store_dword v[0:1], v2, off
.LBB48_773:
	s_mov_b64 s[48:49], 0
.LBB48_774:
	s_andn2_b64 vcc, exec, s[48:49]
	s_cbranch_vccnz .LBB48_776
; %bb.775:
	v_lshlrev_b32_e32 v2, 16, v10
	v_cvt_f16_f32_e32 v2, v2
	global_store_short v[0:1], v2, off
.LBB48_776:
	s_mov_b64 s[48:49], 0
.LBB48_777:
	s_andn2_b64 vcc, exec, s[48:49]
	s_cbranch_vccnz .LBB48_793
; %bb.778:
	v_mov_b32_e32 v2, 2
	v_cmp_lt_i16_sdwa s[52:53], v6, v2 src0_sel:BYTE_0 src1_sel:DWORD
	s_mov_b64 s[48:49], -1
	s_and_b64 vcc, exec, s[52:53]
	s_cbranch_vccnz .LBB48_788
; %bb.779:
	v_mov_b32_e32 v2, 3
	v_cmp_lt_i16_sdwa s[52:53], v6, v2 src0_sel:BYTE_0 src1_sel:DWORD
	s_and_b64 vcc, exec, s[52:53]
	s_cbranch_vccnz .LBB48_785
; %bb.780:
	v_cmp_gt_i16_sdwa s[52:53], v6, v2 src0_sel:BYTE_0 src1_sel:DWORD
	s_and_b64 vcc, exec, s[52:53]
	s_cbranch_vccz .LBB48_782
; %bb.781:
	v_lshlrev_b32_e32 v2, 16, v10
	v_trunc_f32_e32 v2, v2
	s_mov_b32 s48, 0x2f800000
	v_mul_f32_e64 v3, |v2|, s48
	v_floor_f32_e32 v3, v3
	s_mov_b32 s48, 0xcf800000
	v_cvt_u32_f32_e32 v4, v3
	v_fma_f32 v3, v3, s48, |v2|
	v_cvt_u32_f32_e32 v3, v3
	v_ashrrev_i32_e32 v5, 31, v2
	v_xor_b32_e32 v4, v4, v5
	s_mov_b64 s[48:49], 0
	v_xor_b32_e32 v2, v3, v5
	v_sub_co_u32_e32 v2, vcc, v2, v5
	v_subb_co_u32_e32 v3, vcc, v4, v5, vcc
	global_store_dwordx2 v[0:1], v[2:3], off
.LBB48_782:
	s_andn2_b64 vcc, exec, s[48:49]
	s_cbranch_vccnz .LBB48_784
; %bb.783:
	v_lshlrev_b32_e32 v2, 16, v10
	v_cvt_i32_f32_e32 v2, v2
	global_store_dword v[0:1], v2, off
.LBB48_784:
	s_mov_b64 s[48:49], 0
.LBB48_785:
	s_andn2_b64 vcc, exec, s[48:49]
	s_cbranch_vccnz .LBB48_787
; %bb.786:
	v_lshlrev_b32_e32 v2, 16, v10
	v_cvt_i32_f32_e32 v2, v2
	global_store_short v[0:1], v2, off
.LBB48_787:
	s_mov_b64 s[48:49], 0
.LBB48_788:
	s_andn2_b64 vcc, exec, s[48:49]
	s_cbranch_vccnz .LBB48_793
; %bb.789:
	v_mov_b32_e32 v2, 0
	v_cmp_gt_i16_sdwa s[52:53], v6, v2 src0_sel:BYTE_0 src1_sel:DWORD
	s_mov_b64 s[48:49], -1
	s_and_b64 vcc, exec, s[52:53]
	v_lshlrev_b32_e32 v2, 16, v10
	s_cbranch_vccz .LBB48_791
; %bb.790:
	v_cvt_i32_f32_e32 v3, v2
	s_mov_b64 s[48:49], 0
	global_store_byte v[0:1], v3, off
.LBB48_791:
	s_andn2_b64 vcc, exec, s[48:49]
	s_cbranch_vccnz .LBB48_793
; %bb.792:
	v_trunc_f32_e32 v2, v2
	s_mov_b32 s48, 0x2f800000
	v_mul_f32_e64 v3, |v2|, s48
	v_floor_f32_e32 v3, v3
	s_mov_b32 s48, 0xcf800000
	v_fma_f32 v3, v3, s48, |v2|
	v_cvt_u32_f32_e32 v3, v3
	v_ashrrev_i32_e32 v2, 31, v2
	v_xor_b32_e32 v3, v3, v2
	v_sub_u32_e32 v2, v3, v2
	global_store_byte v[0:1], v2, off
.LBB48_793:
	s_mov_b64 s[48:49], -1
.LBB48_794:
	s_andn2_b64 vcc, exec, s[48:49]
	s_cbranch_vccnz .LBB48_818
; %bb.795:
	v_add_u32_e32 v8, 0x80, v8
	s_mov_b64 s[52:53], -1
.LBB48_796:
	s_andn2_b64 s[48:49], s[36:37], exec
	s_and_b64 s[0:1], s[0:1], exec
	s_or_b64 s[48:49], s[48:49], s[0:1]
	s_andn2_b64 s[0:1], s[38:39], exec
	s_and_b64 s[46:47], s[46:47], exec
	s_or_b64 s[46:47], s[0:1], s[46:47]
	;; [unrolled: 3-line block ×3, first 2 shown]
	s_orn2_b64 s[0:1], s[52:53], exec
.LBB48_797:
	s_or_b64 exec, exec, s[50:51]
	s_mov_b64 s[52:53], 0
	s_mov_b64 s[54:55], 0
	;; [unrolled: 1-line block ×3, first 2 shown]
                                        ; implicit-def: $vgpr3
                                        ; implicit-def: $vgpr4_vgpr5
                                        ; implicit-def: $vgpr2
                                        ; implicit-def: $vgpr0
                                        ; implicit-def: $vgpr1
	s_and_saveexec_b64 s[50:51], s[0:1]
	s_cbranch_execz .LBB48_1294
; %bb.798:
	v_cmp_gt_i32_e32 vcc, s66, v8
	s_mov_b64 s[64:65], -1
	s_mov_b64 s[0:1], s[44:45]
	s_mov_b64 s[56:57], s[46:47]
	;; [unrolled: 1-line block ×3, first 2 shown]
	s_and_saveexec_b64 s[52:53], vcc
	s_cbranch_execz .LBB48_1199
; %bb.799:
	s_andn2_b64 vcc, exec, s[20:21]
	s_cbranch_vccnz .LBB48_806
; %bb.800:
	s_andn2_b64 vcc, exec, s[34:35]
	v_mov_b32_e32 v2, 0
	v_mov_b32_e32 v4, 0
	;; [unrolled: 1-line block ×3, first 2 shown]
	s_cbranch_vccnz .LBB48_805
; %bb.801:
	s_add_i32 s0, s69, 1
	s_and_b32 s54, s0, 30
	s_add_u32 s0, s2, 0xffffffec
	s_addc_u32 s1, s3, -1
	v_mov_b32_e32 v0, 0
	s_waitcnt vmcnt(0)
	v_mov_b32_e32 v1, v8
	v_mov_b32_e32 v4, 0
	;; [unrolled: 1-line block ×3, first 2 shown]
.LBB48_802:                             ; =>This Inner Loop Header: Depth=1
	s_mov_b64 s[64:65], s[0:1]
	s_load_dwordx4 s[56:59], s[64:65], 0x18
	s_load_dwordx2 s[70:71], s[64:65], 0x28
	s_load_dwordx2 s[72:73], s[64:65], 0xe8
	s_load_dwordx4 s[60:63], s[64:65], 0xd8
	s_add_u32 s0, s64, 24
	s_waitcnt lgkmcnt(0)
	v_mul_hi_u32 v3, s57, v1
	v_add_u32_e32 v3, v1, v3
	v_lshrrev_b32_e32 v3, s58, v3
	v_mul_lo_u32 v5, v3, s56
	v_mul_hi_u32 v10, s70, v3
	v_sub_u32_e32 v1, v1, v5
	v_add_u32_e32 v5, v3, v10
	v_mul_lo_u32 v10, v1, s60
	v_mul_lo_u32 v11, v1, s61
	;; [unrolled: 1-line block ×3, first 2 shown]
	v_lshrrev_b32_e32 v1, s71, v5
	v_mul_lo_u32 v5, v1, s59
	v_sub_u32_e32 v3, v3, v5
	s_addc_u32 s1, s65, 0
	s_add_i32 s54, s54, -2
	v_mul_lo_u32 v5, v3, s63
	v_mul_lo_u32 v13, v3, s72
	;; [unrolled: 1-line block ×3, first 2 shown]
	s_cmp_eq_u32 s54, 0
	v_add3_u32 v0, v10, v0, v5
	v_add3_u32 v2, v12, v2, v3
	;; [unrolled: 1-line block ×3, first 2 shown]
	s_cbranch_scc0 .LBB48_802
; %bb.803:
	s_bitcmp1_b32 s69, 0
	s_cselect_b64 s[54:55], -1, 0
	s_and_b64 vcc, exec, s[54:55]
	s_cbranch_vccnz .LBB48_805
; %bb.804:
	s_load_dwordx2 s[54:55], s[0:1], 0x18
	s_load_dword s56, s[0:1], 0x20
	s_load_dword s57, s[0:1], 0xe0
	s_nop 0
	s_load_dwordx2 s[0:1], s[0:1], 0xd8
	s_waitcnt lgkmcnt(0)
	v_mul_hi_u32 v3, s55, v1
	v_add_u32_e32 v3, v1, v3
	v_lshrrev_b32_e32 v3, s56, v3
	v_mul_lo_u32 v3, v3, s54
	v_sub_u32_e32 v3, v1, v3
	v_mad_u64_u32 v[0:1], s[54:55], v3, s0, v[0:1]
	v_mad_u64_u32 v[4:5], s[0:1], v3, s1, v[4:5]
	;; [unrolled: 1-line block ×3, first 2 shown]
.LBB48_805:
	s_mov_b64 s[0:1], 0
	s_branch .LBB48_807
.LBB48_806:
	s_mov_b64 s[0:1], -1
                                        ; implicit-def: $vgpr2
                                        ; implicit-def: $vgpr4
                                        ; implicit-def: $vgpr0
.LBB48_807:
	s_andn2_b64 vcc, exec, s[0:1]
	s_cbranch_vccnz .LBB48_810
; %bb.808:
	s_waitcnt lgkmcnt(0)
	v_mul_hi_u32 v0, s17, v8
	v_add_u32_e32 v0, v8, v0
	s_waitcnt vmcnt(0)
	v_lshrrev_b32_e32 v1, s18, v0
	v_mul_lo_u32 v0, v1, s16
	v_sub_u32_e32 v3, v8, v0
	v_mul_lo_u32 v0, v3, s12
	v_mul_lo_u32 v2, v3, s14
	s_andn2_b64 vcc, exec, s[30:31]
	v_mul_lo_u32 v4, v3, s13
	s_cbranch_vccnz .LBB48_810
; %bb.809:
	v_mul_hi_u32 v3, s28, v1
	v_add_u32_e32 v3, v1, v3
	v_lshrrev_b32_e32 v3, s29, v3
	v_mul_lo_u32 v3, v3, s19
	v_sub_u32_e32 v3, v1, v3
	v_mad_u64_u32 v[0:1], s[0:1], v3, s15, v[0:1]
	v_mad_u64_u32 v[4:5], s[0:1], v3, s26, v[4:5]
	;; [unrolled: 1-line block ×3, first 2 shown]
.LBB48_810:
	s_waitcnt vmcnt(0) lgkmcnt(0)
	v_mov_b32_e32 v1, s11
	v_add_co_u32_e32 v4, vcc, s10, v4
	v_addc_co_u32_e32 v5, vcc, 0, v1, vcc
	v_mov_b32_e32 v1, 11
	v_cmp_lt_i16_sdwa s[0:1], v9, v1 src0_sel:BYTE_0 src1_sel:DWORD
	s_and_b64 vcc, exec, s[0:1]
	s_cbranch_vccnz .LBB48_817
; %bb.811:
	v_mov_b32_e32 v1, 25
	v_cmp_gt_i16_sdwa s[0:1], v9, v1 src0_sel:BYTE_0 src1_sel:DWORD
	s_and_b64 vcc, exec, s[0:1]
	s_cbranch_vccz .LBB48_819
; %bb.812:
	v_mov_b32_e32 v1, 28
	v_cmp_gt_i16_sdwa s[0:1], v9, v1 src0_sel:BYTE_0 src1_sel:DWORD
	s_and_b64 vcc, exec, s[0:1]
	s_cbranch_vccz .LBB48_820
	;; [unrolled: 5-line block ×4, first 2 shown]
; %bb.815:
	v_mov_b32_e32 v1, 46
	v_cmp_eq_u16_sdwa s[0:1], v9, v1 src0_sel:BYTE_0 src1_sel:DWORD
	s_mov_b64 s[56:57], 0
	s_and_b64 vcc, exec, s[0:1]
	s_cbranch_vccz .LBB48_825
; %bb.816:
	global_load_dword v10, v[4:5], off
	s_mov_b64 s[0:1], -1
	s_mov_b64 s[54:55], 0
	s_branch .LBB48_826
.LBB48_817:
	s_mov_b64 s[56:57], -1
	s_mov_b64 s[0:1], 0
                                        ; implicit-def: $vgpr10
	s_mov_b64 s[54:55], s[44:45]
	s_branch .LBB48_891
.LBB48_818:
	s_mov_b64 s[52:53], 0
	s_branch .LBB48_552
.LBB48_819:
	s_mov_b64 s[56:57], -1
	s_mov_b64 s[0:1], 0
	s_mov_b64 s[54:55], s[44:45]
                                        ; implicit-def: $vgpr10
	s_branch .LBB48_855
.LBB48_820:
	s_mov_b64 s[56:57], -1
	s_mov_b64 s[0:1], 0
	s_mov_b64 s[54:55], s[44:45]
                                        ; implicit-def: $vgpr10
	s_branch .LBB48_836
.LBB48_821:
	s_mov_b64 s[56:57], -1
	s_mov_b64 s[0:1], 0
	s_mov_b64 s[54:55], s[44:45]
                                        ; implicit-def: $vgpr10
	s_branch .LBB48_831
.LBB48_822:
	s_mov_b64 s[56:57], -1
	s_mov_b64 s[0:1], 0
	s_mov_b64 s[54:55], s[44:45]
                                        ; implicit-def: $vgpr10
	s_branch .LBB48_826
.LBB48_823:
	s_or_saveexec_b64 s[54:55], s[54:55]
                                        ; implicit-def: $sgpr56
	s_xor_b64 exec, exec, s[54:55]
	s_cbranch_execz .LBB48_707
.LBB48_824:
	s_mov_b32 s56, 0x46000000
	v_add_f32_e64 v3, |v4|, s56
	v_and_b32_e32 v3, 0xff, v3
	v_cmp_ne_u32_e32 vcc, 0, v3
	s_andn2_b64 s[52:53], s[52:53], exec
	s_and_b64 s[58:59], vcc, exec
	s_mov_b32 s56, 0
	s_or_b64 s[52:53], s[52:53], s[58:59]
	s_or_b64 exec, exec, s[54:55]
	v_mov_b32_e32 v5, s56
	s_and_saveexec_b64 s[54:55], s[52:53]
	s_cbranch_execnz .LBB48_708
	s_branch .LBB48_709
.LBB48_825:
	s_mov_b64 s[54:55], -1
                                        ; implicit-def: $vgpr10
	s_mov_b64 s[0:1], 0
.LBB48_826:
	s_and_b64 vcc, exec, s[56:57]
	s_cbranch_vccz .LBB48_830
; %bb.827:
	v_mov_b32_e32 v1, 44
	v_cmp_eq_u16_sdwa s[54:55], v9, v1 src0_sel:BYTE_0 src1_sel:DWORD
	s_and_b64 vcc, exec, s[54:55]
	s_cbranch_vccz .LBB48_829
; %bb.828:
	global_load_ubyte v1, v[4:5], off
	s_movk_i32 s54, 0xff
	v_mov_b32_e32 v3, 0x7f800001
	s_waitcnt vmcnt(1)
	v_mov_b32_e32 v10, 0x400000
	v_mov_b32_e32 v11, 0x7fc0
	s_mov_b64 s[0:1], -1
	s_waitcnt vmcnt(0)
	v_lshlrev_b32_e32 v12, 23, v1
	v_cmp_ne_u32_e32 vcc, s54, v1
	v_cndmask_b32_e32 v3, v3, v12, vcc
	v_cmp_ne_u32_e32 vcc, 0, v1
	v_cndmask_b32_e32 v1, v10, v3, vcc
	v_add_u32_e32 v3, 0x7fff, v1
	v_lshrrev_b32_e32 v3, 16, v3
	v_cmp_o_f32_e32 vcc, v1, v1
	v_cndmask_b32_e32 v10, v11, v3, vcc
	s_mov_b64 s[54:55], 0
	s_branch .LBB48_830
.LBB48_829:
	s_mov_b64 s[54:55], -1
                                        ; implicit-def: $vgpr10
.LBB48_830:
	s_mov_b64 s[56:57], 0
.LBB48_831:
	s_and_b64 vcc, exec, s[56:57]
	s_cbranch_vccz .LBB48_835
; %bb.832:
	v_mov_b32_e32 v1, 29
	v_cmp_eq_u16_sdwa s[54:55], v9, v1 src0_sel:BYTE_0 src1_sel:DWORD
	s_and_b64 vcc, exec, s[54:55]
	s_cbranch_vccz .LBB48_834
; %bb.833:
	global_load_dwordx2 v[10:11], v[4:5], off
	s_movk_i32 s54, 0x7fff
	s_mov_b64 s[0:1], -1
	s_mov_b64 s[56:57], 0
	s_waitcnt vmcnt(0)
	v_ffbh_u32_e32 v1, v11
	v_min_u32_e32 v1, 32, v1
	v_lshlrev_b64 v[10:11], v1, v[10:11]
	v_min_u32_e32 v3, 1, v10
	v_or_b32_e32 v3, v11, v3
	v_cvt_f32_u32_e32 v3, v3
	v_sub_u32_e32 v1, 32, v1
	v_ldexp_f32 v1, v3, v1
	v_bfe_u32 v3, v1, 16, 1
	v_add3_u32 v1, v1, v3, s54
	v_lshrrev_b32_e32 v10, 16, v1
	s_mov_b64 s[54:55], 0
	s_branch .LBB48_836
.LBB48_834:
	s_mov_b64 s[54:55], -1
                                        ; implicit-def: $vgpr10
.LBB48_835:
	s_mov_b64 s[56:57], 0
.LBB48_836:
	s_and_b64 vcc, exec, s[56:57]
	s_cbranch_vccz .LBB48_854
; %bb.837:
	v_mov_b32_e32 v1, 27
	v_cmp_lt_i16_sdwa s[0:1], v9, v1 src0_sel:BYTE_0 src1_sel:DWORD
	s_and_b64 vcc, exec, s[0:1]
	s_cbranch_vccnz .LBB48_840
; %bb.838:
	v_cmp_gt_i16_sdwa s[0:1], v9, v1 src0_sel:BYTE_0 src1_sel:DWORD
	s_and_b64 vcc, exec, s[0:1]
	s_cbranch_vccz .LBB48_841
; %bb.839:
	global_load_dword v1, v[4:5], off
	s_movk_i32 s0, 0x7fff
	s_waitcnt vmcnt(0)
	v_cvt_f32_u32_e32 v1, v1
	v_bfe_u32 v3, v1, 16, 1
	v_add3_u32 v1, v1, v3, s0
	v_lshrrev_b32_e32 v10, 16, v1
	s_mov_b64 s[0:1], 0
	s_branch .LBB48_842
.LBB48_840:
	s_mov_b64 s[0:1], -1
                                        ; implicit-def: $vgpr10
	s_branch .LBB48_845
.LBB48_841:
	s_mov_b64 s[0:1], -1
                                        ; implicit-def: $vgpr10
.LBB48_842:
	s_andn2_b64 vcc, exec, s[0:1]
	s_cbranch_vccnz .LBB48_844
; %bb.843:
	global_load_ushort v1, v[4:5], off
	s_movk_i32 s0, 0x7fff
	s_waitcnt vmcnt(0)
	v_cvt_f32_u32_e32 v1, v1
	v_bfe_u32 v3, v1, 16, 1
	v_add3_u32 v1, v1, v3, s0
	v_lshrrev_b32_e32 v10, 16, v1
.LBB48_844:
	s_mov_b64 s[0:1], 0
.LBB48_845:
	s_andn2_b64 vcc, exec, s[0:1]
	s_cbranch_vccnz .LBB48_853
; %bb.846:
	global_load_ubyte v1, v[4:5], off
	s_movk_i32 s0, 0x7f
                                        ; implicit-def: $sgpr60
	s_waitcnt vmcnt(0)
	v_cmp_lt_i16_e32 vcc, s0, v1
	s_mov_b64 s[0:1], 0
	s_and_saveexec_b64 s[56:57], vcc
	s_xor_b64 s[56:57], exec, s[56:57]
	s_cbranch_execz .LBB48_867
; %bb.847:
	s_movk_i32 s0, 0x80
	v_cmp_eq_u16_e32 vcc, s0, v1
	s_mov_b64 s[0:1], -1
                                        ; implicit-def: $sgpr60
	s_and_saveexec_b64 s[58:59], vcc
; %bb.848:
	s_mov_b32 s60, 0x7f800001
	s_xor_b64 s[0:1], exec, -1
; %bb.849:
	s_or_b64 exec, exec, s[58:59]
	s_and_b64 s[0:1], s[0:1], exec
	s_or_saveexec_b64 s[56:57], s[56:57]
	v_mov_b32_e32 v3, s60
	s_xor_b64 exec, exec, s[56:57]
	s_cbranch_execnz .LBB48_868
.LBB48_850:
	s_or_b64 exec, exec, s[56:57]
	s_and_saveexec_b64 s[56:57], s[0:1]
	s_cbranch_execz .LBB48_852
.LBB48_851:
	v_lshlrev_b32_e32 v3, 24, v1
	v_and_b32_e32 v1, 0xffff, v1
	v_and_b32_e32 v10, 7, v1
	v_ffbh_u32_e32 v12, v10
	v_min_u32_e32 v12, 32, v12
	v_subrev_u32_e32 v13, 28, v12
	v_bfe_u32 v11, v1, 3, 4
	v_lshlrev_b32_e32 v1, v13, v1
	v_sub_u32_e32 v12, 29, v12
	v_and_b32_e32 v1, 7, v1
	v_cmp_eq_u32_e32 vcc, 0, v11
	v_cndmask_b32_e32 v11, v11, v12, vcc
	v_cndmask_b32_e32 v1, v10, v1, vcc
	v_mov_b32_e32 v10, 0x3b800000
	v_lshlrev_b32_e32 v1, 20, v1
	v_and_b32_e32 v3, 0x80000000, v3
	v_lshl_add_u32 v10, v11, 23, v10
	v_or3_b32 v3, v3, v10, v1
.LBB48_852:
	s_or_b64 exec, exec, s[56:57]
	v_bfe_u32 v1, v3, 16, 1
	s_movk_i32 s0, 0x7fff
	v_add3_u32 v1, v3, v1, s0
	v_lshrrev_b32_e32 v1, 16, v1
	v_mov_b32_e32 v10, 0x7fc0
	v_cmp_o_f32_e32 vcc, v3, v3
	v_cndmask_b32_e32 v10, v10, v1, vcc
.LBB48_853:
	s_mov_b64 s[0:1], -1
.LBB48_854:
	s_mov_b64 s[56:57], 0
.LBB48_855:
	s_and_b64 vcc, exec, s[56:57]
	s_cbranch_vccz .LBB48_890
; %bb.856:
	v_mov_b32_e32 v1, 22
	v_cmp_gt_i16_sdwa s[56:57], v9, v1 src0_sel:BYTE_0 src1_sel:DWORD
	s_and_b64 vcc, exec, s[56:57]
	s_cbranch_vccz .LBB48_866
; %bb.857:
	v_mov_b32_e32 v1, 24
	v_cmp_lt_i16_sdwa s[0:1], v9, v1 src0_sel:BYTE_0 src1_sel:DWORD
	s_and_b64 vcc, exec, s[0:1]
	s_cbranch_vccnz .LBB48_869
; %bb.858:
	v_cmp_gt_i16_sdwa s[0:1], v9, v1 src0_sel:BYTE_0 src1_sel:DWORD
	s_and_b64 vcc, exec, s[0:1]
	s_cbranch_vccz .LBB48_870
; %bb.859:
	global_load_ubyte v1, v[4:5], off
	s_movk_i32 s0, 0x7f
                                        ; implicit-def: $sgpr60
	s_waitcnt vmcnt(0)
	v_cmp_lt_i16_e32 vcc, s0, v1
	s_mov_b64 s[0:1], 0
	s_and_saveexec_b64 s[56:57], vcc
	s_xor_b64 s[56:57], exec, s[56:57]
	s_cbranch_execz .LBB48_882
; %bb.860:
	s_movk_i32 s0, 0x80
	v_cmp_eq_u16_e32 vcc, s0, v1
	s_mov_b64 s[0:1], -1
                                        ; implicit-def: $sgpr60
	s_and_saveexec_b64 s[58:59], vcc
; %bb.861:
	s_mov_b32 s60, 0x7f800001
	s_xor_b64 s[0:1], exec, -1
; %bb.862:
	s_or_b64 exec, exec, s[58:59]
	s_and_b64 s[0:1], s[0:1], exec
	s_or_saveexec_b64 s[56:57], s[56:57]
	v_mov_b32_e32 v3, s60
	s_xor_b64 exec, exec, s[56:57]
	s_cbranch_execnz .LBB48_883
.LBB48_863:
	s_or_b64 exec, exec, s[56:57]
	s_and_saveexec_b64 s[56:57], s[0:1]
	s_cbranch_execz .LBB48_865
.LBB48_864:
	v_lshlrev_b32_e32 v3, 24, v1
	v_and_b32_e32 v1, 0xffff, v1
	v_and_b32_e32 v10, 3, v1
	v_ffbh_u32_e32 v12, v10
	v_min_u32_e32 v12, 32, v12
	v_subrev_u32_e32 v13, 29, v12
	v_bfe_u32 v11, v1, 2, 5
	v_lshlrev_b32_e32 v1, v13, v1
	v_sub_u32_e32 v12, 30, v12
	v_and_b32_e32 v1, 3, v1
	v_cmp_eq_u32_e32 vcc, 0, v11
	v_cndmask_b32_e32 v11, v11, v12, vcc
	v_cndmask_b32_e32 v1, v10, v1, vcc
	v_mov_b32_e32 v10, 0x37800000
	v_lshlrev_b32_e32 v1, 21, v1
	v_and_b32_e32 v3, 0x80000000, v3
	v_lshl_add_u32 v10, v11, 23, v10
	v_or3_b32 v3, v3, v10, v1
.LBB48_865:
	s_or_b64 exec, exec, s[56:57]
	v_bfe_u32 v1, v3, 16, 1
	s_movk_i32 s0, 0x7fff
	v_add3_u32 v1, v3, v1, s0
	v_lshrrev_b32_e32 v1, 16, v1
	v_mov_b32_e32 v10, 0x7fc0
	v_cmp_o_f32_e32 vcc, v3, v3
	v_cndmask_b32_e32 v10, v10, v1, vcc
	s_mov_b64 s[0:1], 0
	s_branch .LBB48_871
.LBB48_866:
	s_mov_b64 s[56:57], -1
                                        ; implicit-def: $vgpr10
	s_branch .LBB48_877
.LBB48_867:
	s_or_saveexec_b64 s[56:57], s[56:57]
	v_mov_b32_e32 v3, s60
	s_xor_b64 exec, exec, s[56:57]
	s_cbranch_execz .LBB48_850
.LBB48_868:
	v_cmp_ne_u16_e32 vcc, 0, v1
	s_andn2_b64 s[0:1], s[0:1], exec
	s_and_b64 s[58:59], vcc, exec
	v_mov_b32_e32 v3, 0
	s_or_b64 s[0:1], s[0:1], s[58:59]
	s_or_b64 exec, exec, s[56:57]
	s_and_saveexec_b64 s[56:57], s[0:1]
	s_cbranch_execnz .LBB48_851
	s_branch .LBB48_852
.LBB48_869:
	s_mov_b64 s[0:1], -1
                                        ; implicit-def: $vgpr10
	s_branch .LBB48_874
.LBB48_870:
	s_mov_b64 s[0:1], -1
                                        ; implicit-def: $vgpr10
.LBB48_871:
	s_and_b64 vcc, exec, s[0:1]
	s_cbranch_vccz .LBB48_873
; %bb.872:
	global_load_ubyte v1, v[4:5], off
	s_mov_b32 s0, 0x7f800000
	s_brev_b32 s1, 1
	s_movk_i32 s56, 0x7fff
	v_mov_b32_e32 v3, 0x7fc0
	s_waitcnt vmcnt(0)
	v_lshlrev_b32_e32 v1, 24, v1
	v_and_b32_e32 v10, 0x7f000000, v1
	v_ffbh_u32_e32 v11, v10
	v_min_u32_e32 v11, 32, v11
	v_sub_u32_e64 v11, v11, 4 clamp
	v_lshlrev_b32_e32 v13, v11, v10
	v_lshlrev_b32_e32 v11, 23, v11
	v_lshrrev_b32_e32 v13, 4, v13
	v_add_u32_e32 v12, 0x1000000, v10
	v_sub_u32_e32 v11, v13, v11
	v_ashrrev_i32_e32 v12, 8, v12
	v_add_u32_e32 v11, 0x3c000000, v11
	v_and_or_b32 v11, v12, s0, v11
	v_cmp_ne_u32_e32 vcc, 0, v10
	v_cndmask_b32_e32 v10, 0, v11, vcc
	v_and_or_b32 v1, v1, s1, v10
	v_bfe_u32 v10, v10, 16, 1
	v_add3_u32 v10, v1, v10, s56
	v_lshrrev_b32_e32 v10, 16, v10
	v_cmp_o_f32_e32 vcc, v1, v1
	v_cndmask_b32_e32 v10, v3, v10, vcc
.LBB48_873:
	s_mov_b64 s[0:1], 0
.LBB48_874:
	s_andn2_b64 vcc, exec, s[0:1]
	s_cbranch_vccnz .LBB48_876
; %bb.875:
	global_load_ubyte v1, v[4:5], off
	s_movk_i32 s0, 0x7f00
	s_brev_b32 s1, 16
	s_brev_b32 s56, 1
	s_movk_i32 s57, 0x7fff
	v_mov_b32_e32 v3, 0x7fc0
	s_waitcnt vmcnt(0)
	v_lshlrev_b16_e32 v10, 8, v1
	v_lshlrev_b32_e32 v1, 25, v1
	v_lshrrev_b32_e32 v11, 4, v1
	v_and_or_b32 v12, v10, s0, 0.5
	v_or_b32_e32 v11, 0x70000000, v11
	v_add_f32_e32 v12, -0.5, v12
	v_mul_f32_e32 v11, 0x7800000, v11
	v_cmp_gt_u32_e32 vcc, s1, v1
	v_bfe_i32 v10, v10, 0, 16
	v_cndmask_b32_e32 v1, v11, v12, vcc
	v_and_or_b32 v10, v10, s56, v1
	v_bfe_u32 v1, v1, 16, 1
	v_add3_u32 v1, v10, v1, s57
	v_lshrrev_b32_e32 v1, 16, v1
	v_cmp_o_f32_e32 vcc, v10, v10
	v_cndmask_b32_e32 v10, v3, v1, vcc
.LBB48_876:
	s_mov_b64 s[56:57], 0
	s_mov_b64 s[0:1], -1
.LBB48_877:
	s_andn2_b64 vcc, exec, s[56:57]
	s_cbranch_vccnz .LBB48_890
; %bb.878:
	v_mov_b32_e32 v1, 14
	v_cmp_gt_i16_sdwa s[56:57], v9, v1 src0_sel:BYTE_0 src1_sel:DWORD
	s_and_b64 vcc, exec, s[56:57]
	s_cbranch_vccz .LBB48_881
; %bb.879:
	v_mov_b32_e32 v1, 15
	v_cmp_eq_u16_sdwa s[54:55], v9, v1 src0_sel:BYTE_0 src1_sel:DWORD
	s_and_b64 vcc, exec, s[54:55]
	s_cbranch_vccz .LBB48_884
; %bb.880:
	global_load_ushort v10, v[4:5], off
	s_mov_b64 s[0:1], -1
	s_mov_b64 s[54:55], 0
	s_branch .LBB48_885
.LBB48_881:
	s_mov_b64 s[56:57], -1
                                        ; implicit-def: $vgpr10
	s_branch .LBB48_886
.LBB48_882:
	s_or_saveexec_b64 s[56:57], s[56:57]
	v_mov_b32_e32 v3, s60
	s_xor_b64 exec, exec, s[56:57]
	s_cbranch_execz .LBB48_863
.LBB48_883:
	v_cmp_ne_u16_e32 vcc, 0, v1
	s_andn2_b64 s[0:1], s[0:1], exec
	s_and_b64 s[58:59], vcc, exec
	v_mov_b32_e32 v3, 0
	s_or_b64 s[0:1], s[0:1], s[58:59]
	s_or_b64 exec, exec, s[56:57]
	s_and_saveexec_b64 s[56:57], s[0:1]
	s_cbranch_execnz .LBB48_864
	s_branch .LBB48_865
.LBB48_884:
	s_mov_b64 s[54:55], -1
                                        ; implicit-def: $vgpr10
.LBB48_885:
	s_mov_b64 s[56:57], 0
.LBB48_886:
	s_and_b64 vcc, exec, s[56:57]
	s_cbranch_vccz .LBB48_890
; %bb.887:
	v_mov_b32_e32 v1, 11
	v_cmp_eq_u16_sdwa s[54:55], v9, v1 src0_sel:BYTE_0 src1_sel:DWORD
	s_and_b64 vcc, exec, s[54:55]
	s_cbranch_vccz .LBB48_889
; %bb.888:
	global_load_ubyte v1, v[4:5], off
	s_mov_b64 s[0:1], -1
	s_mov_b64 s[54:55], 0
	s_waitcnt vmcnt(0)
	v_cmp_ne_u16_e32 vcc, 0, v1
	v_cndmask_b32_e64 v1, 0, 1.0, vcc
	v_lshrrev_b32_e32 v10, 16, v1
	s_branch .LBB48_890
.LBB48_889:
	s_mov_b64 s[54:55], -1
                                        ; implicit-def: $vgpr10
.LBB48_890:
	s_mov_b64 s[56:57], 0
.LBB48_891:
	s_and_b64 vcc, exec, s[56:57]
	s_cbranch_vccz .LBB48_940
; %bb.892:
	v_mov_b32_e32 v1, 5
	v_cmp_lt_i16_sdwa s[0:1], v9, v1 src0_sel:BYTE_0 src1_sel:DWORD
	s_and_b64 vcc, exec, s[0:1]
	s_cbranch_vccnz .LBB48_897
; %bb.893:
	v_mov_b32_e32 v1, 8
	v_cmp_lt_i16_sdwa s[0:1], v9, v1 src0_sel:BYTE_0 src1_sel:DWORD
	s_and_b64 vcc, exec, s[0:1]
	s_cbranch_vccnz .LBB48_898
	;; [unrolled: 5-line block ×3, first 2 shown]
; %bb.895:
	v_cmp_gt_i16_sdwa s[0:1], v9, v1 src0_sel:BYTE_0 src1_sel:DWORD
	s_and_b64 vcc, exec, s[0:1]
	s_cbranch_vccz .LBB48_900
; %bb.896:
	global_load_dwordx2 v[10:11], v[4:5], off
	s_movk_i32 s0, 0x7fff
	v_mov_b32_e32 v1, 0x7fc0
	s_waitcnt vmcnt(0)
	v_cvt_f32_f64_e32 v3, v[10:11]
	v_bfe_u32 v10, v3, 16, 1
	v_add3_u32 v10, v3, v10, s0
	v_lshrrev_b32_e32 v10, 16, v10
	v_cmp_o_f32_e32 vcc, v3, v3
	v_cndmask_b32_e32 v10, v1, v10, vcc
	s_mov_b64 s[0:1], 0
	s_branch .LBB48_901
.LBB48_897:
	s_mov_b64 s[0:1], -1
                                        ; implicit-def: $vgpr10
	s_branch .LBB48_919
.LBB48_898:
	s_mov_b64 s[0:1], -1
                                        ; implicit-def: $vgpr10
	s_branch .LBB48_907
.LBB48_899:
	s_mov_b64 s[0:1], -1
                                        ; implicit-def: $vgpr10
	s_branch .LBB48_904
.LBB48_900:
	s_mov_b64 s[0:1], -1
                                        ; implicit-def: $vgpr10
.LBB48_901:
	s_andn2_b64 vcc, exec, s[0:1]
	s_cbranch_vccnz .LBB48_903
; %bb.902:
	global_load_dword v1, v[4:5], off
	s_movk_i32 s0, 0x7fff
	v_mov_b32_e32 v3, 0x7fc0
	s_waitcnt vmcnt(0)
	v_bfe_u32 v10, v1, 16, 1
	v_add3_u32 v10, v1, v10, s0
	v_lshrrev_b32_e32 v10, 16, v10
	v_cmp_o_f32_e32 vcc, v1, v1
	v_cndmask_b32_e32 v10, v3, v10, vcc
.LBB48_903:
	s_mov_b64 s[0:1], 0
.LBB48_904:
	s_andn2_b64 vcc, exec, s[0:1]
	s_cbranch_vccnz .LBB48_906
; %bb.905:
	global_load_dword v1, v[4:5], off
	s_movk_i32 s0, 0x7fff
	s_waitcnt vmcnt(1)
	v_mov_b32_e32 v10, 0x7fc0
	s_waitcnt vmcnt(0)
	v_cvt_f32_f16_e32 v3, v1
	v_cmp_o_f16_e32 vcc, v1, v1
	v_bfe_u32 v11, v3, 16, 1
	v_add3_u32 v3, v3, v11, s0
	v_lshrrev_b32_e32 v3, 16, v3
	v_cndmask_b32_e32 v10, v10, v3, vcc
.LBB48_906:
	s_mov_b64 s[0:1], 0
.LBB48_907:
	s_andn2_b64 vcc, exec, s[0:1]
	s_cbranch_vccnz .LBB48_918
; %bb.908:
	v_mov_b32_e32 v1, 6
	v_cmp_lt_i16_sdwa s[0:1], v9, v1 src0_sel:BYTE_0 src1_sel:DWORD
	s_and_b64 vcc, exec, s[0:1]
	s_cbranch_vccnz .LBB48_911
; %bb.909:
	v_cmp_gt_i16_sdwa s[0:1], v9, v1 src0_sel:BYTE_0 src1_sel:DWORD
	s_and_b64 vcc, exec, s[0:1]
	s_cbranch_vccz .LBB48_912
; %bb.910:
	global_load_dwordx2 v[10:11], v[4:5], off
	s_movk_i32 s0, 0x7fff
	v_mov_b32_e32 v1, 0x7fc0
	s_waitcnt vmcnt(0)
	v_cvt_f32_f64_e32 v3, v[10:11]
	v_bfe_u32 v10, v3, 16, 1
	v_add3_u32 v10, v3, v10, s0
	v_lshrrev_b32_e32 v10, 16, v10
	v_cmp_o_f32_e32 vcc, v3, v3
	v_cndmask_b32_e32 v10, v1, v10, vcc
	s_mov_b64 s[0:1], 0
	s_branch .LBB48_913
.LBB48_911:
	s_mov_b64 s[0:1], -1
                                        ; implicit-def: $vgpr10
	s_branch .LBB48_916
.LBB48_912:
	s_mov_b64 s[0:1], -1
                                        ; implicit-def: $vgpr10
.LBB48_913:
	s_andn2_b64 vcc, exec, s[0:1]
	s_cbranch_vccnz .LBB48_915
; %bb.914:
	global_load_dword v1, v[4:5], off
	s_movk_i32 s0, 0x7fff
	v_mov_b32_e32 v3, 0x7fc0
	s_waitcnt vmcnt(0)
	v_bfe_u32 v10, v1, 16, 1
	v_add3_u32 v10, v1, v10, s0
	v_lshrrev_b32_e32 v10, 16, v10
	v_cmp_o_f32_e32 vcc, v1, v1
	v_cndmask_b32_e32 v10, v3, v10, vcc
.LBB48_915:
	s_mov_b64 s[0:1], 0
.LBB48_916:
	s_andn2_b64 vcc, exec, s[0:1]
	s_cbranch_vccnz .LBB48_918
; %bb.917:
	global_load_ushort v1, v[4:5], off
	s_movk_i32 s0, 0x7fff
	s_waitcnt vmcnt(1)
	v_mov_b32_e32 v10, 0x7fc0
	s_waitcnt vmcnt(0)
	v_cvt_f32_f16_e32 v3, v1
	v_cmp_o_f16_e32 vcc, v1, v1
	v_bfe_u32 v11, v3, 16, 1
	v_add3_u32 v3, v3, v11, s0
	v_lshrrev_b32_e32 v3, 16, v3
	v_cndmask_b32_e32 v10, v10, v3, vcc
.LBB48_918:
	s_mov_b64 s[0:1], 0
.LBB48_919:
	s_andn2_b64 vcc, exec, s[0:1]
	s_cbranch_vccnz .LBB48_939
; %bb.920:
	v_mov_b32_e32 v1, 2
	v_cmp_lt_i16_sdwa s[0:1], v9, v1 src0_sel:BYTE_0 src1_sel:DWORD
	s_and_b64 vcc, exec, s[0:1]
	s_cbranch_vccnz .LBB48_924
; %bb.921:
	v_mov_b32_e32 v1, 3
	v_cmp_lt_i16_sdwa s[0:1], v9, v1 src0_sel:BYTE_0 src1_sel:DWORD
	s_and_b64 vcc, exec, s[0:1]
	s_cbranch_vccnz .LBB48_925
; %bb.922:
	v_cmp_gt_i16_sdwa s[0:1], v9, v1 src0_sel:BYTE_0 src1_sel:DWORD
	s_and_b64 vcc, exec, s[0:1]
	s_cbranch_vccz .LBB48_926
; %bb.923:
	global_load_dwordx2 v[10:11], v[4:5], off
	s_movk_i32 s0, 0x7fff
	s_waitcnt vmcnt(0)
	v_xor_b32_e32 v3, v10, v11
	v_ffbh_i32_e32 v1, v11
	v_ashrrev_i32_e32 v3, 31, v3
	v_add_u32_e32 v1, -1, v1
	v_add_u32_e32 v3, 32, v3
	v_min_u32_e32 v1, v1, v3
	v_lshlrev_b64 v[10:11], v1, v[10:11]
	v_min_u32_e32 v3, 1, v10
	v_or_b32_e32 v3, v11, v3
	v_cvt_f32_i32_e32 v3, v3
	v_sub_u32_e32 v1, 32, v1
	v_ldexp_f32 v1, v3, v1
	v_bfe_u32 v3, v1, 16, 1
	v_add3_u32 v1, v1, v3, s0
	v_lshrrev_b32_e32 v10, 16, v1
	s_mov_b64 s[0:1], 0
	s_branch .LBB48_927
.LBB48_924:
	s_mov_b64 s[0:1], -1
                                        ; implicit-def: $vgpr10
	s_branch .LBB48_933
.LBB48_925:
	s_mov_b64 s[0:1], -1
                                        ; implicit-def: $vgpr10
	s_branch .LBB48_930
.LBB48_926:
	s_mov_b64 s[0:1], -1
                                        ; implicit-def: $vgpr10
.LBB48_927:
	s_andn2_b64 vcc, exec, s[0:1]
	s_cbranch_vccnz .LBB48_929
; %bb.928:
	global_load_dword v1, v[4:5], off
	s_movk_i32 s0, 0x7fff
	s_waitcnt vmcnt(0)
	v_cvt_f32_i32_e32 v1, v1
	v_bfe_u32 v3, v1, 16, 1
	v_add3_u32 v1, v1, v3, s0
	v_lshrrev_b32_e32 v10, 16, v1
.LBB48_929:
	s_mov_b64 s[0:1], 0
.LBB48_930:
	s_andn2_b64 vcc, exec, s[0:1]
	s_cbranch_vccnz .LBB48_932
; %bb.931:
	global_load_sshort v1, v[4:5], off
	s_movk_i32 s0, 0x7fff
	s_waitcnt vmcnt(0)
	v_cvt_f32_i32_e32 v1, v1
	v_bfe_u32 v3, v1, 16, 1
	v_add3_u32 v1, v1, v3, s0
	v_lshrrev_b32_e32 v10, 16, v1
.LBB48_932:
	s_mov_b64 s[0:1], 0
.LBB48_933:
	s_andn2_b64 vcc, exec, s[0:1]
	s_cbranch_vccnz .LBB48_939
; %bb.934:
	v_mov_b32_e32 v1, 0
	v_cmp_gt_i16_sdwa s[0:1], v9, v1 src0_sel:BYTE_0 src1_sel:DWORD
	s_and_b64 vcc, exec, s[0:1]
	s_cbranch_vccz .LBB48_936
; %bb.935:
	global_load_sbyte v1, v[4:5], off
	s_movk_i32 s0, 0x7fff
	s_waitcnt vmcnt(0)
	v_cvt_f32_i32_e32 v1, v1
	v_bfe_u32 v3, v1, 16, 1
	v_add3_u32 v1, v1, v3, s0
	v_lshrrev_b32_e32 v10, 16, v1
	s_mov_b64 s[0:1], 0
	s_branch .LBB48_937
.LBB48_936:
	s_mov_b64 s[0:1], -1
                                        ; implicit-def: $vgpr10
.LBB48_937:
	s_andn2_b64 vcc, exec, s[0:1]
	s_cbranch_vccnz .LBB48_939
; %bb.938:
	global_load_ubyte v1, v[4:5], off
	s_movk_i32 s0, 0x7fff
	s_waitcnt vmcnt(0)
	v_cvt_f32_ubyte0_e32 v1, v1
	v_bfe_u32 v3, v1, 16, 1
	v_add3_u32 v1, v1, v3, s0
	v_lshrrev_b32_e32 v10, 16, v1
.LBB48_939:
	s_mov_b64 s[0:1], -1
.LBB48_940:
	s_andn2_b64 vcc, exec, s[0:1]
	s_cbranch_vccnz .LBB48_948
; %bb.941:
	v_mov_b32_e32 v1, s25
	v_add_co_u32_e32 v2, vcc, s24, v2
	v_addc_co_u32_e32 v3, vcc, 0, v1, vcc
	v_mov_b32_e32 v1, 11
	v_cmp_lt_i16_sdwa s[0:1], v7, v1 src0_sel:BYTE_0 src1_sel:DWORD
	s_and_b64 vcc, exec, s[0:1]
	s_cbranch_vccnz .LBB48_950
; %bb.942:
	v_mov_b32_e32 v1, 25
	v_cmp_gt_i16_sdwa s[0:1], v7, v1 src0_sel:BYTE_0 src1_sel:DWORD
	s_and_b64 vcc, exec, s[0:1]
	s_cbranch_vccz .LBB48_951
; %bb.943:
	v_mov_b32_e32 v1, 28
	v_cmp_gt_i16_sdwa s[0:1], v7, v1 src0_sel:BYTE_0 src1_sel:DWORD
	s_and_b64 vcc, exec, s[0:1]
	s_cbranch_vccz .LBB48_952
	;; [unrolled: 5-line block ×4, first 2 shown]
; %bb.946:
	v_mov_b32_e32 v1, 46
	v_cmp_eq_u16_sdwa s[0:1], v7, v1 src0_sel:BYTE_0 src1_sel:DWORD
	s_mov_b64 s[58:59], 0
	s_and_b64 vcc, exec, s[0:1]
	s_cbranch_vccz .LBB48_957
; %bb.947:
	global_load_dword v1, v[2:3], off
	s_mov_b64 s[0:1], -1
	s_mov_b64 s[56:57], 0
	s_branch .LBB48_958
.LBB48_948:
	s_mov_b64 s[60:61], 0
	s_mov_b64 s[0:1], s[48:49]
	;; [unrolled: 1-line block ×3, first 2 shown]
.LBB48_949:
                                        ; implicit-def: $vgpr8
	s_branch .LBB48_1198
.LBB48_950:
	s_mov_b64 s[58:59], -1
	s_mov_b64 s[0:1], 0
                                        ; implicit-def: $vgpr1
	s_mov_b64 s[56:57], s[46:47]
	s_branch .LBB48_1023
.LBB48_951:
	s_mov_b64 s[58:59], -1
	s_mov_b64 s[0:1], 0
	s_mov_b64 s[56:57], s[46:47]
                                        ; implicit-def: $vgpr1
	s_branch .LBB48_987
.LBB48_952:
	s_mov_b64 s[58:59], -1
	s_mov_b64 s[0:1], 0
	s_mov_b64 s[56:57], s[46:47]
                                        ; implicit-def: $vgpr1
	s_branch .LBB48_968
.LBB48_953:
	s_mov_b64 s[58:59], -1
	s_mov_b64 s[0:1], 0
	s_mov_b64 s[56:57], s[46:47]
                                        ; implicit-def: $vgpr1
	s_branch .LBB48_963
.LBB48_954:
	s_mov_b64 s[58:59], -1
	s_mov_b64 s[0:1], 0
	s_mov_b64 s[56:57], s[46:47]
                                        ; implicit-def: $vgpr1
	s_branch .LBB48_958
.LBB48_955:
	s_or_saveexec_b64 s[54:55], s[54:55]
                                        ; implicit-def: $sgpr56
	s_xor_b64 exec, exec, s[54:55]
	s_cbranch_execz .LBB48_720
.LBB48_956:
	s_mov_b32 s56, 0x42800000
	v_add_f32_e64 v3, |v4|, s56
	v_and_b32_e32 v3, 0xff, v3
	v_cmp_ne_u32_e32 vcc, 0, v3
	s_andn2_b64 s[52:53], s[52:53], exec
	s_and_b64 s[58:59], vcc, exec
	s_mov_b32 s56, 0
	s_or_b64 s[52:53], s[52:53], s[58:59]
	s_or_b64 exec, exec, s[54:55]
	v_mov_b32_e32 v5, s56
	s_and_saveexec_b64 s[54:55], s[52:53]
	s_cbranch_execnz .LBB48_721
	s_branch .LBB48_722
.LBB48_957:
	s_mov_b64 s[56:57], -1
                                        ; implicit-def: $vgpr1
	s_mov_b64 s[0:1], 0
.LBB48_958:
	s_and_b64 vcc, exec, s[58:59]
	s_cbranch_vccz .LBB48_962
; %bb.959:
	s_waitcnt vmcnt(0)
	v_mov_b32_e32 v1, 44
	v_cmp_eq_u16_sdwa s[56:57], v7, v1 src0_sel:BYTE_0 src1_sel:DWORD
	s_and_b64 vcc, exec, s[56:57]
	s_cbranch_vccz .LBB48_961
; %bb.960:
	global_load_ubyte v1, v[2:3], off
	s_movk_i32 s56, 0xff
	v_mov_b32_e32 v4, 0x7f800001
	v_mov_b32_e32 v5, 0x400000
	;; [unrolled: 1-line block ×3, first 2 shown]
	s_mov_b64 s[0:1], -1
	s_waitcnt vmcnt(0)
	v_lshlrev_b32_e32 v12, 23, v1
	v_cmp_ne_u32_e32 vcc, s56, v1
	v_cndmask_b32_e32 v4, v4, v12, vcc
	v_cmp_ne_u32_e32 vcc, 0, v1
	v_cndmask_b32_e32 v1, v5, v4, vcc
	v_add_u32_e32 v4, 0x7fff, v1
	v_lshrrev_b32_e32 v4, 16, v4
	v_cmp_o_f32_e32 vcc, v1, v1
	v_cndmask_b32_e32 v1, v11, v4, vcc
	s_mov_b64 s[56:57], 0
	s_branch .LBB48_962
.LBB48_961:
	s_mov_b64 s[56:57], -1
                                        ; implicit-def: $vgpr1
.LBB48_962:
	s_mov_b64 s[58:59], 0
.LBB48_963:
	s_and_b64 vcc, exec, s[58:59]
	s_cbranch_vccz .LBB48_967
; %bb.964:
	s_waitcnt vmcnt(0)
	v_mov_b32_e32 v1, 29
	v_cmp_eq_u16_sdwa s[56:57], v7, v1 src0_sel:BYTE_0 src1_sel:DWORD
	s_and_b64 vcc, exec, s[56:57]
	s_cbranch_vccz .LBB48_966
; %bb.965:
	global_load_dwordx2 v[4:5], v[2:3], off
	s_movk_i32 s56, 0x7fff
	s_mov_b64 s[0:1], -1
	s_mov_b64 s[58:59], 0
	s_waitcnt vmcnt(0)
	v_ffbh_u32_e32 v1, v5
	v_min_u32_e32 v1, 32, v1
	v_lshlrev_b64 v[4:5], v1, v[4:5]
	v_min_u32_e32 v4, 1, v4
	v_or_b32_e32 v4, v5, v4
	v_cvt_f32_u32_e32 v4, v4
	v_sub_u32_e32 v1, 32, v1
	v_ldexp_f32 v1, v4, v1
	v_bfe_u32 v4, v1, 16, 1
	v_add3_u32 v1, v1, v4, s56
	v_lshrrev_b32_e32 v1, 16, v1
	s_mov_b64 s[56:57], 0
	s_branch .LBB48_968
.LBB48_966:
	s_mov_b64 s[56:57], -1
                                        ; implicit-def: $vgpr1
.LBB48_967:
	s_mov_b64 s[58:59], 0
.LBB48_968:
	s_and_b64 vcc, exec, s[58:59]
	s_cbranch_vccz .LBB48_986
; %bb.969:
	s_waitcnt vmcnt(0)
	v_mov_b32_e32 v1, 27
	v_cmp_lt_i16_sdwa s[0:1], v7, v1 src0_sel:BYTE_0 src1_sel:DWORD
	s_and_b64 vcc, exec, s[0:1]
	s_cbranch_vccnz .LBB48_972
; %bb.970:
	v_cmp_gt_i16_sdwa s[0:1], v7, v1 src0_sel:BYTE_0 src1_sel:DWORD
	s_and_b64 vcc, exec, s[0:1]
	s_cbranch_vccz .LBB48_973
; %bb.971:
	global_load_dword v1, v[2:3], off
	s_movk_i32 s0, 0x7fff
	s_waitcnt vmcnt(0)
	v_cvt_f32_u32_e32 v1, v1
	v_bfe_u32 v4, v1, 16, 1
	v_add3_u32 v1, v1, v4, s0
	v_lshrrev_b32_e32 v1, 16, v1
	s_mov_b64 s[0:1], 0
	s_branch .LBB48_974
.LBB48_972:
	s_mov_b64 s[0:1], -1
                                        ; implicit-def: $vgpr1
	s_branch .LBB48_977
.LBB48_973:
	s_mov_b64 s[0:1], -1
                                        ; implicit-def: $vgpr1
.LBB48_974:
	s_andn2_b64 vcc, exec, s[0:1]
	s_cbranch_vccnz .LBB48_976
; %bb.975:
	global_load_ushort v1, v[2:3], off
	s_movk_i32 s0, 0x7fff
	s_waitcnt vmcnt(0)
	v_cvt_f32_u32_e32 v1, v1
	v_bfe_u32 v4, v1, 16, 1
	v_add3_u32 v1, v1, v4, s0
	v_lshrrev_b32_e32 v1, 16, v1
.LBB48_976:
	s_mov_b64 s[0:1], 0
.LBB48_977:
	s_andn2_b64 vcc, exec, s[0:1]
	s_cbranch_vccnz .LBB48_985
; %bb.978:
	global_load_ubyte v1, v[2:3], off
	s_movk_i32 s0, 0x7f
                                        ; implicit-def: $sgpr62
	s_waitcnt vmcnt(0)
	v_cmp_lt_i16_e32 vcc, s0, v1
	s_mov_b64 s[0:1], 0
	s_and_saveexec_b64 s[58:59], vcc
	s_xor_b64 s[58:59], exec, s[58:59]
	s_cbranch_execz .LBB48_999
; %bb.979:
	s_movk_i32 s0, 0x80
	v_cmp_eq_u16_e32 vcc, s0, v1
	s_mov_b64 s[0:1], -1
                                        ; implicit-def: $sgpr62
	s_and_saveexec_b64 s[60:61], vcc
; %bb.980:
	s_mov_b32 s62, 0x7f800001
	s_xor_b64 s[0:1], exec, -1
; %bb.981:
	s_or_b64 exec, exec, s[60:61]
	s_and_b64 s[0:1], s[0:1], exec
	s_or_saveexec_b64 s[58:59], s[58:59]
	v_mov_b32_e32 v4, s62
	s_xor_b64 exec, exec, s[58:59]
	s_cbranch_execnz .LBB48_1000
.LBB48_982:
	s_or_b64 exec, exec, s[58:59]
	s_and_saveexec_b64 s[58:59], s[0:1]
	s_cbranch_execz .LBB48_984
.LBB48_983:
	v_lshlrev_b32_e32 v4, 24, v1
	v_and_b32_e32 v1, 0xffff, v1
	v_and_b32_e32 v5, 7, v1
	v_ffbh_u32_e32 v12, v5
	v_min_u32_e32 v12, 32, v12
	v_subrev_u32_e32 v13, 28, v12
	v_bfe_u32 v11, v1, 3, 4
	v_lshlrev_b32_e32 v1, v13, v1
	v_sub_u32_e32 v12, 29, v12
	v_and_b32_e32 v1, 7, v1
	v_cmp_eq_u32_e32 vcc, 0, v11
	v_cndmask_b32_e32 v11, v11, v12, vcc
	v_cndmask_b32_e32 v1, v5, v1, vcc
	v_mov_b32_e32 v5, 0x3b800000
	v_lshlrev_b32_e32 v1, 20, v1
	v_and_b32_e32 v4, 0x80000000, v4
	v_lshl_add_u32 v5, v11, 23, v5
	v_or3_b32 v4, v4, v5, v1
.LBB48_984:
	s_or_b64 exec, exec, s[58:59]
	v_bfe_u32 v1, v4, 16, 1
	s_movk_i32 s0, 0x7fff
	v_add3_u32 v1, v4, v1, s0
	v_lshrrev_b32_e32 v1, 16, v1
	v_mov_b32_e32 v5, 0x7fc0
	v_cmp_o_f32_e32 vcc, v4, v4
	v_cndmask_b32_e32 v1, v5, v1, vcc
.LBB48_985:
	s_mov_b64 s[0:1], -1
.LBB48_986:
	s_mov_b64 s[58:59], 0
.LBB48_987:
	s_and_b64 vcc, exec, s[58:59]
	s_cbranch_vccz .LBB48_1022
; %bb.988:
	s_waitcnt vmcnt(0)
	v_mov_b32_e32 v1, 22
	v_cmp_gt_i16_sdwa s[58:59], v7, v1 src0_sel:BYTE_0 src1_sel:DWORD
	s_and_b64 vcc, exec, s[58:59]
	s_cbranch_vccz .LBB48_998
; %bb.989:
	v_mov_b32_e32 v1, 24
	v_cmp_lt_i16_sdwa s[0:1], v7, v1 src0_sel:BYTE_0 src1_sel:DWORD
	s_and_b64 vcc, exec, s[0:1]
	s_cbranch_vccnz .LBB48_1001
; %bb.990:
	v_cmp_gt_i16_sdwa s[0:1], v7, v1 src0_sel:BYTE_0 src1_sel:DWORD
	s_and_b64 vcc, exec, s[0:1]
	s_cbranch_vccz .LBB48_1002
; %bb.991:
	global_load_ubyte v1, v[2:3], off
	s_movk_i32 s0, 0x7f
                                        ; implicit-def: $sgpr62
	s_waitcnt vmcnt(0)
	v_cmp_lt_i16_e32 vcc, s0, v1
	s_mov_b64 s[0:1], 0
	s_and_saveexec_b64 s[58:59], vcc
	s_xor_b64 s[58:59], exec, s[58:59]
	s_cbranch_execz .LBB48_1014
; %bb.992:
	s_movk_i32 s0, 0x80
	v_cmp_eq_u16_e32 vcc, s0, v1
	s_mov_b64 s[0:1], -1
                                        ; implicit-def: $sgpr62
	s_and_saveexec_b64 s[60:61], vcc
; %bb.993:
	s_mov_b32 s62, 0x7f800001
	s_xor_b64 s[0:1], exec, -1
; %bb.994:
	s_or_b64 exec, exec, s[60:61]
	s_and_b64 s[0:1], s[0:1], exec
	s_or_saveexec_b64 s[58:59], s[58:59]
	v_mov_b32_e32 v4, s62
	s_xor_b64 exec, exec, s[58:59]
	s_cbranch_execnz .LBB48_1015
.LBB48_995:
	s_or_b64 exec, exec, s[58:59]
	s_and_saveexec_b64 s[58:59], s[0:1]
	s_cbranch_execz .LBB48_997
.LBB48_996:
	v_lshlrev_b32_e32 v4, 24, v1
	v_and_b32_e32 v1, 0xffff, v1
	v_and_b32_e32 v5, 3, v1
	v_ffbh_u32_e32 v12, v5
	v_min_u32_e32 v12, 32, v12
	v_subrev_u32_e32 v13, 29, v12
	v_bfe_u32 v11, v1, 2, 5
	v_lshlrev_b32_e32 v1, v13, v1
	v_sub_u32_e32 v12, 30, v12
	v_and_b32_e32 v1, 3, v1
	v_cmp_eq_u32_e32 vcc, 0, v11
	v_cndmask_b32_e32 v11, v11, v12, vcc
	v_cndmask_b32_e32 v1, v5, v1, vcc
	v_mov_b32_e32 v5, 0x37800000
	v_lshlrev_b32_e32 v1, 21, v1
	v_and_b32_e32 v4, 0x80000000, v4
	v_lshl_add_u32 v5, v11, 23, v5
	v_or3_b32 v4, v4, v5, v1
.LBB48_997:
	s_or_b64 exec, exec, s[58:59]
	v_bfe_u32 v1, v4, 16, 1
	s_movk_i32 s0, 0x7fff
	v_add3_u32 v1, v4, v1, s0
	v_lshrrev_b32_e32 v1, 16, v1
	v_mov_b32_e32 v5, 0x7fc0
	v_cmp_o_f32_e32 vcc, v4, v4
	v_cndmask_b32_e32 v1, v5, v1, vcc
	s_mov_b64 s[0:1], 0
	s_branch .LBB48_1003
.LBB48_998:
	s_mov_b64 s[58:59], -1
                                        ; implicit-def: $vgpr1
	s_branch .LBB48_1009
.LBB48_999:
	s_or_saveexec_b64 s[58:59], s[58:59]
	v_mov_b32_e32 v4, s62
	s_xor_b64 exec, exec, s[58:59]
	s_cbranch_execz .LBB48_982
.LBB48_1000:
	v_cmp_ne_u16_e32 vcc, 0, v1
	s_andn2_b64 s[0:1], s[0:1], exec
	s_and_b64 s[60:61], vcc, exec
	v_mov_b32_e32 v4, 0
	s_or_b64 s[0:1], s[0:1], s[60:61]
	s_or_b64 exec, exec, s[58:59]
	s_and_saveexec_b64 s[58:59], s[0:1]
	s_cbranch_execnz .LBB48_983
	s_branch .LBB48_984
.LBB48_1001:
	s_mov_b64 s[0:1], -1
                                        ; implicit-def: $vgpr1
	s_branch .LBB48_1006
.LBB48_1002:
	s_mov_b64 s[0:1], -1
                                        ; implicit-def: $vgpr1
.LBB48_1003:
	s_and_b64 vcc, exec, s[0:1]
	s_cbranch_vccz .LBB48_1005
; %bb.1004:
	global_load_ubyte v1, v[2:3], off
	s_mov_b32 s0, 0x7f800000
	s_brev_b32 s1, 1
	s_movk_i32 s58, 0x7fff
	v_mov_b32_e32 v4, 0x7fc0
	s_waitcnt vmcnt(0)
	v_lshlrev_b32_e32 v1, 24, v1
	v_and_b32_e32 v5, 0x7f000000, v1
	v_ffbh_u32_e32 v11, v5
	v_min_u32_e32 v11, 32, v11
	v_sub_u32_e64 v11, v11, 4 clamp
	v_lshlrev_b32_e32 v13, v11, v5
	v_lshlrev_b32_e32 v11, 23, v11
	v_lshrrev_b32_e32 v13, 4, v13
	v_add_u32_e32 v12, 0x1000000, v5
	v_sub_u32_e32 v11, v13, v11
	v_ashrrev_i32_e32 v12, 8, v12
	v_add_u32_e32 v11, 0x3c000000, v11
	v_and_or_b32 v11, v12, s0, v11
	v_cmp_ne_u32_e32 vcc, 0, v5
	v_cndmask_b32_e32 v5, 0, v11, vcc
	v_and_or_b32 v1, v1, s1, v5
	v_bfe_u32 v5, v5, 16, 1
	v_add3_u32 v5, v1, v5, s58
	v_lshrrev_b32_e32 v5, 16, v5
	v_cmp_o_f32_e32 vcc, v1, v1
	v_cndmask_b32_e32 v1, v4, v5, vcc
.LBB48_1005:
	s_mov_b64 s[0:1], 0
.LBB48_1006:
	s_andn2_b64 vcc, exec, s[0:1]
	s_cbranch_vccnz .LBB48_1008
; %bb.1007:
	global_load_ubyte v1, v[2:3], off
	s_movk_i32 s0, 0x7f00
	s_brev_b32 s1, 16
	s_brev_b32 s58, 1
	s_movk_i32 s59, 0x7fff
	v_mov_b32_e32 v4, 0x7fc0
	s_waitcnt vmcnt(0)
	v_lshlrev_b16_e32 v5, 8, v1
	v_lshlrev_b32_e32 v1, 25, v1
	v_lshrrev_b32_e32 v11, 4, v1
	v_and_or_b32 v12, v5, s0, 0.5
	v_or_b32_e32 v11, 0x70000000, v11
	v_add_f32_e32 v12, -0.5, v12
	v_mul_f32_e32 v11, 0x7800000, v11
	v_cmp_gt_u32_e32 vcc, s1, v1
	v_bfe_i32 v5, v5, 0, 16
	v_cndmask_b32_e32 v1, v11, v12, vcc
	v_and_or_b32 v5, v5, s58, v1
	v_bfe_u32 v1, v1, 16, 1
	v_add3_u32 v1, v5, v1, s59
	v_lshrrev_b32_e32 v1, 16, v1
	v_cmp_o_f32_e32 vcc, v5, v5
	v_cndmask_b32_e32 v1, v4, v1, vcc
.LBB48_1008:
	s_mov_b64 s[58:59], 0
	s_mov_b64 s[0:1], -1
.LBB48_1009:
	s_andn2_b64 vcc, exec, s[58:59]
	s_cbranch_vccnz .LBB48_1022
; %bb.1010:
	v_mov_b32_e32 v1, 14
	v_cmp_gt_i16_sdwa s[58:59], v7, v1 src0_sel:BYTE_0 src1_sel:DWORD
	s_and_b64 vcc, exec, s[58:59]
	s_cbranch_vccz .LBB48_1013
; %bb.1011:
	v_mov_b32_e32 v1, 15
	v_cmp_eq_u16_sdwa s[56:57], v7, v1 src0_sel:BYTE_0 src1_sel:DWORD
	s_and_b64 vcc, exec, s[56:57]
	s_cbranch_vccz .LBB48_1016
; %bb.1012:
	global_load_ushort v1, v[2:3], off
	s_mov_b64 s[0:1], -1
	s_mov_b64 s[56:57], 0
	s_branch .LBB48_1017
.LBB48_1013:
	s_mov_b64 s[58:59], -1
                                        ; implicit-def: $vgpr1
	s_branch .LBB48_1018
.LBB48_1014:
	s_or_saveexec_b64 s[58:59], s[58:59]
	v_mov_b32_e32 v4, s62
	s_xor_b64 exec, exec, s[58:59]
	s_cbranch_execz .LBB48_995
.LBB48_1015:
	v_cmp_ne_u16_e32 vcc, 0, v1
	s_andn2_b64 s[0:1], s[0:1], exec
	s_and_b64 s[60:61], vcc, exec
	v_mov_b32_e32 v4, 0
	s_or_b64 s[0:1], s[0:1], s[60:61]
	s_or_b64 exec, exec, s[58:59]
	s_and_saveexec_b64 s[58:59], s[0:1]
	s_cbranch_execnz .LBB48_996
	s_branch .LBB48_997
.LBB48_1016:
	s_mov_b64 s[56:57], -1
                                        ; implicit-def: $vgpr1
.LBB48_1017:
	s_mov_b64 s[58:59], 0
.LBB48_1018:
	s_and_b64 vcc, exec, s[58:59]
	s_cbranch_vccz .LBB48_1022
; %bb.1019:
	s_waitcnt vmcnt(0)
	v_mov_b32_e32 v1, 11
	v_cmp_eq_u16_sdwa s[56:57], v7, v1 src0_sel:BYTE_0 src1_sel:DWORD
	s_and_b64 vcc, exec, s[56:57]
	s_cbranch_vccz .LBB48_1021
; %bb.1020:
	global_load_ubyte v1, v[2:3], off
	s_mov_b64 s[0:1], -1
	s_mov_b64 s[56:57], 0
	s_waitcnt vmcnt(0)
	v_cmp_ne_u16_e32 vcc, 0, v1
	v_cndmask_b32_e64 v1, 0, 1.0, vcc
	v_lshrrev_b32_e32 v1, 16, v1
	s_branch .LBB48_1022
.LBB48_1021:
	s_mov_b64 s[56:57], -1
                                        ; implicit-def: $vgpr1
.LBB48_1022:
	s_mov_b64 s[58:59], 0
.LBB48_1023:
	s_and_b64 vcc, exec, s[58:59]
	s_cbranch_vccz .LBB48_1072
; %bb.1024:
	s_waitcnt vmcnt(0)
	v_mov_b32_e32 v1, 5
	v_cmp_lt_i16_sdwa s[0:1], v7, v1 src0_sel:BYTE_0 src1_sel:DWORD
	s_and_b64 vcc, exec, s[0:1]
	s_cbranch_vccnz .LBB48_1029
; %bb.1025:
	v_mov_b32_e32 v1, 8
	v_cmp_lt_i16_sdwa s[0:1], v7, v1 src0_sel:BYTE_0 src1_sel:DWORD
	s_and_b64 vcc, exec, s[0:1]
	s_cbranch_vccnz .LBB48_1030
; %bb.1026:
	;; [unrolled: 5-line block ×3, first 2 shown]
	v_cmp_gt_i16_sdwa s[0:1], v7, v1 src0_sel:BYTE_0 src1_sel:DWORD
	s_and_b64 vcc, exec, s[0:1]
	s_cbranch_vccz .LBB48_1032
; %bb.1028:
	global_load_dwordx2 v[4:5], v[2:3], off
	s_movk_i32 s0, 0x7fff
	v_mov_b32_e32 v1, 0x7fc0
	s_waitcnt vmcnt(0)
	v_cvt_f32_f64_e32 v4, v[4:5]
	v_bfe_u32 v5, v4, 16, 1
	v_add3_u32 v5, v4, v5, s0
	v_lshrrev_b32_e32 v5, 16, v5
	v_cmp_o_f32_e32 vcc, v4, v4
	v_cndmask_b32_e32 v1, v1, v5, vcc
	s_mov_b64 s[0:1], 0
	s_branch .LBB48_1033
.LBB48_1029:
	s_mov_b64 s[0:1], -1
                                        ; implicit-def: $vgpr1
	s_branch .LBB48_1051
.LBB48_1030:
	s_mov_b64 s[0:1], -1
                                        ; implicit-def: $vgpr1
	s_branch .LBB48_1039
.LBB48_1031:
	s_mov_b64 s[0:1], -1
                                        ; implicit-def: $vgpr1
	s_branch .LBB48_1036
.LBB48_1032:
	s_mov_b64 s[0:1], -1
                                        ; implicit-def: $vgpr1
.LBB48_1033:
	s_andn2_b64 vcc, exec, s[0:1]
	s_cbranch_vccnz .LBB48_1035
; %bb.1034:
	global_load_dword v1, v[2:3], off
	s_movk_i32 s0, 0x7fff
	v_mov_b32_e32 v4, 0x7fc0
	s_waitcnt vmcnt(0)
	v_bfe_u32 v5, v1, 16, 1
	v_add3_u32 v5, v1, v5, s0
	v_lshrrev_b32_e32 v5, 16, v5
	v_cmp_o_f32_e32 vcc, v1, v1
	v_cndmask_b32_e32 v1, v4, v5, vcc
.LBB48_1035:
	s_mov_b64 s[0:1], 0
.LBB48_1036:
	s_andn2_b64 vcc, exec, s[0:1]
	s_cbranch_vccnz .LBB48_1038
; %bb.1037:
	global_load_dword v1, v[2:3], off
	s_movk_i32 s0, 0x7fff
	v_mov_b32_e32 v5, 0x7fc0
	s_waitcnt vmcnt(0)
	v_cvt_f32_f16_e32 v4, v1
	v_cmp_o_f16_e32 vcc, v1, v1
	v_bfe_u32 v11, v4, 16, 1
	v_add3_u32 v4, v4, v11, s0
	v_lshrrev_b32_e32 v4, 16, v4
	v_cndmask_b32_e32 v1, v5, v4, vcc
.LBB48_1038:
	s_mov_b64 s[0:1], 0
.LBB48_1039:
	s_andn2_b64 vcc, exec, s[0:1]
	s_cbranch_vccnz .LBB48_1050
; %bb.1040:
	v_mov_b32_e32 v1, 6
	v_cmp_lt_i16_sdwa s[0:1], v7, v1 src0_sel:BYTE_0 src1_sel:DWORD
	s_and_b64 vcc, exec, s[0:1]
	s_cbranch_vccnz .LBB48_1043
; %bb.1041:
	v_cmp_gt_i16_sdwa s[0:1], v7, v1 src0_sel:BYTE_0 src1_sel:DWORD
	s_and_b64 vcc, exec, s[0:1]
	s_cbranch_vccz .LBB48_1044
; %bb.1042:
	global_load_dwordx2 v[4:5], v[2:3], off
	s_movk_i32 s0, 0x7fff
	v_mov_b32_e32 v1, 0x7fc0
	s_waitcnt vmcnt(0)
	v_cvt_f32_f64_e32 v4, v[4:5]
	v_bfe_u32 v5, v4, 16, 1
	v_add3_u32 v5, v4, v5, s0
	v_lshrrev_b32_e32 v5, 16, v5
	v_cmp_o_f32_e32 vcc, v4, v4
	v_cndmask_b32_e32 v1, v1, v5, vcc
	s_mov_b64 s[0:1], 0
	s_branch .LBB48_1045
.LBB48_1043:
	s_mov_b64 s[0:1], -1
                                        ; implicit-def: $vgpr1
	s_branch .LBB48_1048
.LBB48_1044:
	s_mov_b64 s[0:1], -1
                                        ; implicit-def: $vgpr1
.LBB48_1045:
	s_andn2_b64 vcc, exec, s[0:1]
	s_cbranch_vccnz .LBB48_1047
; %bb.1046:
	global_load_dword v1, v[2:3], off
	s_movk_i32 s0, 0x7fff
	v_mov_b32_e32 v4, 0x7fc0
	s_waitcnt vmcnt(0)
	v_bfe_u32 v5, v1, 16, 1
	v_add3_u32 v5, v1, v5, s0
	v_lshrrev_b32_e32 v5, 16, v5
	v_cmp_o_f32_e32 vcc, v1, v1
	v_cndmask_b32_e32 v1, v4, v5, vcc
.LBB48_1047:
	s_mov_b64 s[0:1], 0
.LBB48_1048:
	s_andn2_b64 vcc, exec, s[0:1]
	s_cbranch_vccnz .LBB48_1050
; %bb.1049:
	global_load_ushort v1, v[2:3], off
	s_movk_i32 s0, 0x7fff
	v_mov_b32_e32 v5, 0x7fc0
	s_waitcnt vmcnt(0)
	v_cvt_f32_f16_e32 v4, v1
	v_cmp_o_f16_e32 vcc, v1, v1
	v_bfe_u32 v11, v4, 16, 1
	v_add3_u32 v4, v4, v11, s0
	v_lshrrev_b32_e32 v4, 16, v4
	v_cndmask_b32_e32 v1, v5, v4, vcc
.LBB48_1050:
	s_mov_b64 s[0:1], 0
.LBB48_1051:
	s_andn2_b64 vcc, exec, s[0:1]
	s_cbranch_vccnz .LBB48_1071
; %bb.1052:
	v_mov_b32_e32 v1, 2
	v_cmp_lt_i16_sdwa s[0:1], v7, v1 src0_sel:BYTE_0 src1_sel:DWORD
	s_and_b64 vcc, exec, s[0:1]
	s_cbranch_vccnz .LBB48_1056
; %bb.1053:
	v_mov_b32_e32 v1, 3
	v_cmp_lt_i16_sdwa s[0:1], v7, v1 src0_sel:BYTE_0 src1_sel:DWORD
	s_and_b64 vcc, exec, s[0:1]
	s_cbranch_vccnz .LBB48_1057
; %bb.1054:
	v_cmp_gt_i16_sdwa s[0:1], v7, v1 src0_sel:BYTE_0 src1_sel:DWORD
	s_and_b64 vcc, exec, s[0:1]
	s_cbranch_vccz .LBB48_1058
; %bb.1055:
	global_load_dwordx2 v[4:5], v[2:3], off
	s_movk_i32 s0, 0x7fff
	s_waitcnt vmcnt(0)
	v_xor_b32_e32 v11, v4, v5
	v_ffbh_i32_e32 v1, v5
	v_ashrrev_i32_e32 v11, 31, v11
	v_add_u32_e32 v1, -1, v1
	v_add_u32_e32 v11, 32, v11
	v_min_u32_e32 v1, v1, v11
	v_lshlrev_b64 v[4:5], v1, v[4:5]
	v_min_u32_e32 v4, 1, v4
	v_or_b32_e32 v4, v5, v4
	v_cvt_f32_i32_e32 v4, v4
	v_sub_u32_e32 v1, 32, v1
	v_ldexp_f32 v1, v4, v1
	v_bfe_u32 v4, v1, 16, 1
	v_add3_u32 v1, v1, v4, s0
	v_lshrrev_b32_e32 v1, 16, v1
	s_mov_b64 s[0:1], 0
	s_branch .LBB48_1059
.LBB48_1056:
	s_mov_b64 s[0:1], -1
                                        ; implicit-def: $vgpr1
	s_branch .LBB48_1065
.LBB48_1057:
	s_mov_b64 s[0:1], -1
                                        ; implicit-def: $vgpr1
	s_branch .LBB48_1062
.LBB48_1058:
	s_mov_b64 s[0:1], -1
                                        ; implicit-def: $vgpr1
.LBB48_1059:
	s_andn2_b64 vcc, exec, s[0:1]
	s_cbranch_vccnz .LBB48_1061
; %bb.1060:
	global_load_dword v1, v[2:3], off
	s_movk_i32 s0, 0x7fff
	s_waitcnt vmcnt(0)
	v_cvt_f32_i32_e32 v1, v1
	v_bfe_u32 v4, v1, 16, 1
	v_add3_u32 v1, v1, v4, s0
	v_lshrrev_b32_e32 v1, 16, v1
.LBB48_1061:
	s_mov_b64 s[0:1], 0
.LBB48_1062:
	s_andn2_b64 vcc, exec, s[0:1]
	s_cbranch_vccnz .LBB48_1064
; %bb.1063:
	global_load_sshort v1, v[2:3], off
	s_movk_i32 s0, 0x7fff
	s_waitcnt vmcnt(0)
	v_cvt_f32_i32_e32 v1, v1
	v_bfe_u32 v4, v1, 16, 1
	v_add3_u32 v1, v1, v4, s0
	v_lshrrev_b32_e32 v1, 16, v1
.LBB48_1064:
	s_mov_b64 s[0:1], 0
.LBB48_1065:
	s_andn2_b64 vcc, exec, s[0:1]
	s_cbranch_vccnz .LBB48_1071
; %bb.1066:
	v_mov_b32_e32 v1, 0
	v_cmp_gt_i16_sdwa s[0:1], v7, v1 src0_sel:BYTE_0 src1_sel:DWORD
	s_and_b64 vcc, exec, s[0:1]
	s_cbranch_vccz .LBB48_1068
; %bb.1067:
	global_load_sbyte v1, v[2:3], off
	s_movk_i32 s0, 0x7fff
	s_waitcnt vmcnt(0)
	v_cvt_f32_i32_e32 v1, v1
	v_bfe_u32 v4, v1, 16, 1
	v_add3_u32 v1, v1, v4, s0
	v_lshrrev_b32_e32 v1, 16, v1
	s_mov_b64 s[0:1], 0
	s_branch .LBB48_1069
.LBB48_1068:
	s_mov_b64 s[0:1], -1
                                        ; implicit-def: $vgpr1
.LBB48_1069:
	s_andn2_b64 vcc, exec, s[0:1]
	s_cbranch_vccnz .LBB48_1071
; %bb.1070:
	global_load_ubyte v1, v[2:3], off
	s_movk_i32 s0, 0x7fff
	s_waitcnt vmcnt(0)
	v_cvt_f32_ubyte0_e32 v1, v1
	v_bfe_u32 v2, v1, 16, 1
	v_add3_u32 v1, v1, v2, s0
	v_lshrrev_b32_e32 v1, 16, v1
.LBB48_1071:
	s_mov_b64 s[0:1], -1
.LBB48_1072:
	s_andn2_b64 vcc, exec, s[0:1]
	s_cbranch_vccnz .LBB48_1082
; %bb.1073:
	s_waitcnt vmcnt(0)
	v_lshlrev_b32_e32 v2, 16, v10
	v_cmp_nlt_f32_e32 vcc, 0, v2
	s_and_saveexec_b64 s[0:1], vcc
; %bb.1074:
	v_lshlrev_b32_e32 v1, 16, v1
	v_mul_f32_e32 v1, v2, v1
	v_bfe_u32 v2, v1, 16, 1
	s_movk_i32 s58, 0x7fff
	v_add3_u32 v2, v1, v2, s58
	v_lshrrev_b32_e32 v2, 16, v2
	v_mov_b32_e32 v3, 0x7fc0
	v_cmp_o_f32_e32 vcc, v1, v1
	v_cndmask_b32_e32 v10, v3, v2, vcc
; %bb.1075:
	s_or_b64 exec, exec, s[0:1]
	v_mov_b32_e32 v1, s9
	v_add_co_u32_e32 v0, vcc, s8, v0
	v_mov_b32_e32 v2, 11
	v_addc_co_u32_e32 v1, vcc, 0, v1, vcc
	v_cmp_lt_i16_sdwa s[0:1], v6, v2 src0_sel:BYTE_0 src1_sel:DWORD
	s_and_b64 vcc, exec, s[0:1]
	s_cbranch_vccnz .LBB48_1083
; %bb.1076:
	v_mov_b32_e32 v2, 25
	v_cmp_gt_i16_sdwa s[0:1], v6, v2 src0_sel:BYTE_0 src1_sel:DWORD
	s_and_b64 vcc, exec, s[0:1]
	s_cbranch_vccz .LBB48_1084
; %bb.1077:
	v_mov_b32_e32 v2, 28
	v_cmp_gt_i16_sdwa s[0:1], v6, v2 src0_sel:BYTE_0 src1_sel:DWORD
	s_and_b64 vcc, exec, s[0:1]
	s_cbranch_vccz .LBB48_1085
	;; [unrolled: 5-line block ×4, first 2 shown]
; %bb.1080:
	v_mov_b32_e32 v2, 46
	v_cmp_eq_u16_sdwa s[58:59], v6, v2 src0_sel:BYTE_0 src1_sel:DWORD
	s_mov_b64 s[60:61], 0
	s_mov_b64 s[0:1], -1
	s_and_b64 vcc, exec, s[58:59]
	s_mov_b64 s[58:59], 0
	s_cbranch_vccz .LBB48_1088
; %bb.1081:
	v_and_b32_e32 v2, 0xffff, v10
	global_store_dword v[0:1], v2, off
	s_mov_b64 s[58:59], -1
	s_mov_b64 s[0:1], 0
	s_branch .LBB48_1088
.LBB48_1082:
	s_mov_b64 s[60:61], 0
                                        ; implicit-def: $vgpr8
	s_mov_b64 s[0:1], s[48:49]
	s_branch .LBB48_1198
.LBB48_1083:
	s_mov_b64 s[60:61], -1
	s_mov_b64 s[58:59], 0
	s_mov_b64 s[0:1], s[48:49]
	s_branch .LBB48_1157
.LBB48_1084:
	s_mov_b64 s[60:61], -1
	s_mov_b64 s[58:59], 0
	s_mov_b64 s[0:1], s[48:49]
	s_branch .LBB48_1115
.LBB48_1085:
	s_mov_b64 s[60:61], -1
	s_mov_b64 s[58:59], 0
	s_mov_b64 s[0:1], s[48:49]
	s_branch .LBB48_1098
.LBB48_1086:
	s_mov_b64 s[60:61], -1
	s_mov_b64 s[58:59], 0
	s_mov_b64 s[0:1], s[48:49]
	s_branch .LBB48_1094
.LBB48_1087:
	s_mov_b64 s[60:61], -1
	s_mov_b64 s[58:59], 0
	s_mov_b64 s[0:1], s[48:49]
.LBB48_1088:
	s_and_b64 vcc, exec, s[60:61]
	s_cbranch_vccz .LBB48_1093
; %bb.1089:
	v_mov_b32_e32 v2, 44
	v_cmp_eq_u16_sdwa s[60:61], v6, v2 src0_sel:BYTE_0 src1_sel:DWORD
	s_mov_b64 s[0:1], -1
	s_and_b64 vcc, exec, s[60:61]
	s_cbranch_vccz .LBB48_1093
; %bb.1090:
	v_and_b32_e32 v3, 0xffff, v10
	v_bfe_u32 v2, v3, 7, 8
	s_movk_i32 s0, 0xff
	v_cmp_ne_u32_e32 vcc, s0, v2
	v_mov_b32_e32 v4, 0xff
	s_and_saveexec_b64 s[58:59], vcc
; %bb.1091:
	v_lshlrev_b32_e32 v5, 16, v3
	s_mov_b32 s0, 0x3f0000
	v_lshrrev_b32_e32 v4, 7, v3
	v_and_b32_e32 v3, 64, v3
	v_and_or_b32 v2, v5, s0, v2
	v_cmp_ne_u32_e32 vcc, 0, v3
	v_cmp_ne_u32_e64 s[0:1], 0, v2
	s_and_b64 s[0:1], vcc, s[0:1]
	v_cndmask_b32_e64 v2, 0, 1, s[0:1]
	v_add_u32_e32 v4, v4, v2
; %bb.1092:
	s_or_b64 exec, exec, s[58:59]
	s_mov_b64 s[58:59], -1
	s_mov_b64 s[0:1], 0
	global_store_byte v[0:1], v4, off
.LBB48_1093:
	s_mov_b64 s[60:61], 0
.LBB48_1094:
	s_and_b64 vcc, exec, s[60:61]
	s_cbranch_vccz .LBB48_1097
; %bb.1095:
	v_mov_b32_e32 v2, 29
	v_cmp_eq_u16_sdwa s[60:61], v6, v2 src0_sel:BYTE_0 src1_sel:DWORD
	s_mov_b64 s[0:1], -1
	s_and_b64 vcc, exec, s[60:61]
	s_cbranch_vccz .LBB48_1097
; %bb.1096:
	v_lshlrev_b32_e32 v2, 16, v10
	v_trunc_f32_e32 v2, v2
	v_mul_f32_e32 v3, 0x2f800000, v2
	v_floor_f32_e32 v4, v3
	v_fmac_f32_e32 v2, 0xcf800000, v4
	v_cvt_u32_f32_e32 v3, v4
	v_cvt_u32_f32_e32 v2, v2
	s_mov_b64 s[58:59], -1
	s_mov_b64 s[0:1], 0
	s_mov_b64 s[60:61], 0
	global_store_dwordx2 v[0:1], v[2:3], off
	s_branch .LBB48_1098
.LBB48_1097:
	s_mov_b64 s[60:61], 0
.LBB48_1098:
	s_and_b64 vcc, exec, s[60:61]
	s_cbranch_vccz .LBB48_1114
; %bb.1099:
	v_mov_b32_e32 v2, 27
	v_cmp_lt_i16_sdwa s[60:61], v6, v2 src0_sel:BYTE_0 src1_sel:DWORD
	s_mov_b64 s[58:59], -1
	s_and_b64 vcc, exec, s[60:61]
	s_cbranch_vccnz .LBB48_1105
; %bb.1100:
	v_cmp_gt_i16_sdwa s[60:61], v6, v2 src0_sel:BYTE_0 src1_sel:DWORD
	s_and_b64 vcc, exec, s[60:61]
	s_cbranch_vccz .LBB48_1102
; %bb.1101:
	v_lshlrev_b32_e32 v2, 16, v10
	v_cvt_u32_f32_e32 v2, v2
	s_mov_b64 s[58:59], 0
	global_store_dword v[0:1], v2, off
.LBB48_1102:
	s_andn2_b64 vcc, exec, s[58:59]
	s_cbranch_vccnz .LBB48_1104
; %bb.1103:
	v_lshlrev_b32_e32 v2, 16, v10
	v_cvt_u32_f32_e32 v2, v2
	global_store_short v[0:1], v2, off
.LBB48_1104:
	s_mov_b64 s[58:59], 0
.LBB48_1105:
	s_andn2_b64 vcc, exec, s[58:59]
	s_cbranch_vccnz .LBB48_1113
; %bb.1106:
	v_lshlrev_b32_e32 v4, 16, v10
	v_and_b32_e32 v3, 0x7fffffff, v4
	s_mov_b32 s58, 0x43800000
	v_cmp_gt_u32_e32 vcc, s58, v3
	v_mov_b32_e32 v5, 0x80
	s_and_saveexec_b64 s[58:59], vcc
	s_cbranch_execz .LBB48_1112
; %bb.1107:
	s_mov_b32 s60, 0x3bffffff
	v_and_b32_e32 v2, 0xffff, v10
	v_cmp_lt_u32_e32 vcc, s60, v3
	s_mov_b64 s[60:61], 0
                                        ; implicit-def: $vgpr3
	s_and_saveexec_b64 s[62:63], vcc
	s_xor_b64 s[62:63], exec, s[62:63]
	s_cbranch_execz .LBB48_1225
; %bb.1108:
	v_bfe_u32 v3, v2, 4, 1
	s_mov_b32 s64, 0x487ffff
	v_add3_u32 v3, v4, v3, s64
	s_mov_b64 s[60:61], exec
	v_lshrrev_b32_e32 v3, 20, v3
                                        ; implicit-def: $vgpr4
	s_or_saveexec_b64 s[62:63], s[62:63]
                                        ; implicit-def: $sgpr64
	s_xor_b64 exec, exec, s[62:63]
	s_cbranch_execnz .LBB48_1226
.LBB48_1109:
	s_or_b64 exec, exec, s[62:63]
	v_mov_b32_e32 v5, s64
	s_and_saveexec_b64 s[62:63], s[60:61]
.LBB48_1110:
	v_lshrrev_b32_e32 v2, 8, v2
	s_movk_i32 s60, 0x80
	v_and_or_b32 v5, v2, s60, v3
.LBB48_1111:
	s_or_b64 exec, exec, s[62:63]
.LBB48_1112:
	s_or_b64 exec, exec, s[58:59]
	global_store_byte v[0:1], v5, off
.LBB48_1113:
	s_mov_b64 s[58:59], -1
.LBB48_1114:
	s_mov_b64 s[60:61], 0
.LBB48_1115:
	s_and_b64 vcc, exec, s[60:61]
	s_cbranch_vccz .LBB48_1156
; %bb.1116:
	v_mov_b32_e32 v2, 22
	v_cmp_gt_i16_sdwa s[62:63], v6, v2 src0_sel:BYTE_0 src1_sel:DWORD
	s_mov_b64 s[60:61], -1
	s_and_b64 vcc, exec, s[62:63]
	s_cbranch_vccz .LBB48_1148
; %bb.1117:
	v_mov_b32_e32 v2, 24
	v_cmp_lt_i16_sdwa s[60:61], v6, v2 src0_sel:BYTE_0 src1_sel:DWORD
	s_mov_b64 s[58:59], -1
	s_and_b64 vcc, exec, s[60:61]
	s_cbranch_vccnz .LBB48_1137
; %bb.1118:
	v_cmp_gt_i16_sdwa s[60:61], v6, v2 src0_sel:BYTE_0 src1_sel:DWORD
	s_and_b64 vcc, exec, s[60:61]
	s_cbranch_vccz .LBB48_1126
; %bb.1119:
	v_lshlrev_b32_e32 v4, 16, v10
	v_and_b32_e32 v3, 0x7fffffff, v4
	s_mov_b32 s58, 0x47800000
	v_cmp_gt_u32_e32 vcc, s58, v3
	v_mov_b32_e32 v5, 0x80
	s_and_saveexec_b64 s[58:59], vcc
	s_cbranch_execz .LBB48_1125
; %bb.1120:
	s_mov_b32 s60, 0x37ffffff
	v_and_b32_e32 v2, 0xffff, v10
	v_cmp_lt_u32_e32 vcc, s60, v3
	s_mov_b64 s[60:61], 0
                                        ; implicit-def: $vgpr3
	s_and_saveexec_b64 s[62:63], vcc
	s_xor_b64 s[62:63], exec, s[62:63]
	s_cbranch_execz .LBB48_2292
; %bb.1121:
	v_bfe_u32 v3, v2, 5, 1
	s_mov_b32 s64, 0x88fffff
	v_add3_u32 v3, v4, v3, s64
	s_mov_b64 s[60:61], exec
	v_lshrrev_b32_e32 v3, 21, v3
                                        ; implicit-def: $vgpr4
	s_or_saveexec_b64 s[62:63], s[62:63]
                                        ; implicit-def: $sgpr64
	s_xor_b64 exec, exec, s[62:63]
	s_cbranch_execnz .LBB48_2293
.LBB48_1122:
	s_or_b64 exec, exec, s[62:63]
	v_mov_b32_e32 v5, s64
	s_and_saveexec_b64 s[62:63], s[60:61]
.LBB48_1123:
	v_lshrrev_b32_e32 v2, 8, v2
	s_movk_i32 s60, 0x80
	v_and_or_b32 v5, v2, s60, v3
.LBB48_1124:
	s_or_b64 exec, exec, s[62:63]
.LBB48_1125:
	s_or_b64 exec, exec, s[58:59]
	s_mov_b64 s[58:59], 0
	global_store_byte v[0:1], v5, off
.LBB48_1126:
	s_and_b64 vcc, exec, s[58:59]
	s_cbranch_vccz .LBB48_1136
; %bb.1127:
	v_lshlrev_b32_e32 v4, 16, v10
	v_and_b32_e32 v5, 0x7fffffff, v4
	s_mov_b32 s58, 0x43f00000
	v_and_b32_e32 v2, 0xffff, v10
	v_cmp_gt_u32_e32 vcc, s58, v5
                                        ; implicit-def: $vgpr3
	s_and_saveexec_b64 s[58:59], vcc
	s_xor_b64 s[58:59], exec, s[58:59]
	s_cbranch_execz .LBB48_1133
; %bb.1128:
	s_mov_b32 s60, 0x3c7fffff
	v_cmp_lt_u32_e32 vcc, s60, v5
                                        ; implicit-def: $vgpr3
	s_and_saveexec_b64 s[60:61], vcc
	s_xor_b64 s[60:61], exec, s[60:61]
; %bb.1129:
	v_bfe_u32 v3, v2, 4, 1
	s_mov_b32 s62, 0x407ffff
	v_add3_u32 v3, v4, v3, s62
	v_lshrrev_b32_e32 v4, 20, v3
	v_and_b32_e32 v3, 0xff00000, v3
	s_mov_b32 s62, 0x7f00000
	v_mov_b32_e32 v5, 0x7e
	v_cmp_ne_u32_e32 vcc, s62, v3
	v_cndmask_b32_e32 v3, v5, v4, vcc
                                        ; implicit-def: $vgpr4
; %bb.1130:
	s_andn2_saveexec_b64 s[60:61], s[60:61]
; %bb.1131:
	s_mov_b32 s62, 0x46800000
	v_add_f32_e64 v3, |v4|, s62
; %bb.1132:
	s_or_b64 exec, exec, s[60:61]
                                        ; implicit-def: $vgpr5
.LBB48_1133:
	s_andn2_saveexec_b64 s[58:59], s[58:59]
; %bb.1134:
	s_mov_b32 s60, 0x7f800000
	v_mov_b32_e32 v3, 0x7e
	v_mov_b32_e32 v4, 0x7f
	v_cmp_lt_u32_e32 vcc, s60, v5
	v_cndmask_b32_e32 v3, v3, v4, vcc
; %bb.1135:
	s_or_b64 exec, exec, s[58:59]
	v_lshrrev_b32_e32 v2, 8, v2
	s_movk_i32 s58, 0x80
	v_and_or_b32 v2, v2, s58, v3
	global_store_byte v[0:1], v2, off
.LBB48_1136:
	s_mov_b64 s[58:59], 0
.LBB48_1137:
	s_andn2_b64 vcc, exec, s[58:59]
	s_cbranch_vccnz .LBB48_1147
; %bb.1138:
	v_lshlrev_b32_e32 v4, 16, v10
	v_and_b32_e32 v5, 0x7fffffff, v4
	s_mov_b32 s58, 0x47800000
	v_and_b32_e32 v2, 0xffff, v10
	v_cmp_gt_u32_e32 vcc, s58, v5
                                        ; implicit-def: $vgpr3
	s_and_saveexec_b64 s[58:59], vcc
	s_xor_b64 s[58:59], exec, s[58:59]
	s_cbranch_execz .LBB48_1144
; %bb.1139:
	s_mov_b32 s60, 0x387fffff
	v_cmp_lt_u32_e32 vcc, s60, v5
                                        ; implicit-def: $vgpr3
	s_and_saveexec_b64 s[60:61], vcc
	s_xor_b64 s[60:61], exec, s[60:61]
; %bb.1140:
	v_bfe_u32 v3, v2, 5, 1
	s_mov_b32 s62, 0x80fffff
	v_add3_u32 v3, v4, v3, s62
	v_lshrrev_b32_e32 v3, 21, v3
                                        ; implicit-def: $vgpr4
; %bb.1141:
	s_andn2_saveexec_b64 s[60:61], s[60:61]
; %bb.1142:
	s_mov_b32 s62, 0x43000000
	v_add_f32_e64 v3, |v4|, s62
; %bb.1143:
	s_or_b64 exec, exec, s[60:61]
                                        ; implicit-def: $vgpr5
.LBB48_1144:
	s_andn2_saveexec_b64 s[58:59], s[58:59]
; %bb.1145:
	s_mov_b32 s60, 0x7f800000
	v_mov_b32_e32 v3, 0x7c
	v_mov_b32_e32 v4, 0x7f
	v_cmp_lt_u32_e32 vcc, s60, v5
	v_cndmask_b32_e32 v3, v3, v4, vcc
; %bb.1146:
	s_or_b64 exec, exec, s[58:59]
	v_lshrrev_b32_e32 v2, 8, v2
	s_movk_i32 s58, 0x80
	v_and_or_b32 v2, v2, s58, v3
	global_store_byte v[0:1], v2, off
.LBB48_1147:
	s_mov_b64 s[60:61], 0
	s_mov_b64 s[58:59], -1
.LBB48_1148:
	s_andn2_b64 vcc, exec, s[60:61]
	s_cbranch_vccnz .LBB48_1156
; %bb.1149:
	v_mov_b32_e32 v2, 14
	v_cmp_gt_i16_sdwa s[62:63], v6, v2 src0_sel:BYTE_0 src1_sel:DWORD
	s_mov_b64 s[60:61], -1
	s_and_b64 vcc, exec, s[62:63]
	s_cbranch_vccz .LBB48_1153
; %bb.1150:
	v_mov_b32_e32 v2, 15
	v_cmp_eq_u16_sdwa s[60:61], v6, v2 src0_sel:BYTE_0 src1_sel:DWORD
	s_mov_b64 s[0:1], -1
	s_and_b64 vcc, exec, s[60:61]
	s_cbranch_vccz .LBB48_1152
; %bb.1151:
	global_store_short v[0:1], v10, off
	s_mov_b64 s[58:59], -1
	s_mov_b64 s[0:1], 0
.LBB48_1152:
	s_mov_b64 s[60:61], 0
.LBB48_1153:
	s_and_b64 vcc, exec, s[60:61]
	s_cbranch_vccz .LBB48_1156
; %bb.1154:
	v_mov_b32_e32 v2, 11
	v_cmp_eq_u16_sdwa s[60:61], v6, v2 src0_sel:BYTE_0 src1_sel:DWORD
	s_mov_b64 s[0:1], -1
	s_and_b64 vcc, exec, s[60:61]
	s_cbranch_vccz .LBB48_1156
; %bb.1155:
	v_and_b32_e32 v2, 0x7fff, v10
	v_cmp_ne_u16_e32 vcc, 0, v2
	v_cndmask_b32_e64 v2, 0, 1, vcc
	s_mov_b64 s[58:59], -1
	s_mov_b64 s[0:1], 0
	global_store_byte v[0:1], v2, off
.LBB48_1156:
	s_mov_b64 s[60:61], 0
.LBB48_1157:
	s_and_b64 vcc, exec, s[60:61]
	s_cbranch_vccz .LBB48_1196
; %bb.1158:
	v_mov_b32_e32 v2, 5
	v_cmp_lt_i16_sdwa s[60:61], v6, v2 src0_sel:BYTE_0 src1_sel:DWORD
	s_mov_b64 s[58:59], -1
	s_and_b64 vcc, exec, s[60:61]
	s_cbranch_vccnz .LBB48_1179
; %bb.1159:
	v_mov_b32_e32 v2, 8
	v_cmp_lt_i16_sdwa s[60:61], v6, v2 src0_sel:BYTE_0 src1_sel:DWORD
	s_and_b64 vcc, exec, s[60:61]
	s_cbranch_vccnz .LBB48_1169
; %bb.1160:
	v_mov_b32_e32 v2, 9
	v_cmp_lt_i16_sdwa s[60:61], v6, v2 src0_sel:BYTE_0 src1_sel:DWORD
	s_and_b64 vcc, exec, s[60:61]
	s_cbranch_vccnz .LBB48_1166
; %bb.1161:
	v_cmp_gt_i16_sdwa s[60:61], v6, v2 src0_sel:BYTE_0 src1_sel:DWORD
	s_and_b64 vcc, exec, s[60:61]
	s_cbranch_vccz .LBB48_1163
; %bb.1162:
	v_lshlrev_b32_e32 v2, 16, v10
	v_mov_b32_e32 v4, 0
	v_cvt_f64_f32_e32 v[2:3], v2
	v_mov_b32_e32 v5, v4
	s_mov_b64 s[58:59], 0
	global_store_dwordx4 v[0:1], v[2:5], off
.LBB48_1163:
	s_andn2_b64 vcc, exec, s[58:59]
	s_cbranch_vccnz .LBB48_1165
; %bb.1164:
	v_lshlrev_b32_e32 v2, 16, v10
	v_mov_b32_e32 v3, 0
	global_store_dwordx2 v[0:1], v[2:3], off
.LBB48_1165:
	s_mov_b64 s[58:59], 0
.LBB48_1166:
	s_andn2_b64 vcc, exec, s[58:59]
	s_cbranch_vccnz .LBB48_1168
; %bb.1167:
	v_lshlrev_b32_e32 v2, 16, v10
	v_cvt_f16_f32_e32 v2, v2
	global_store_dword v[0:1], v2, off
.LBB48_1168:
	s_mov_b64 s[58:59], 0
.LBB48_1169:
	s_andn2_b64 vcc, exec, s[58:59]
	s_cbranch_vccnz .LBB48_1178
; %bb.1170:
	v_mov_b32_e32 v2, 6
	v_cmp_lt_i16_sdwa s[60:61], v6, v2 src0_sel:BYTE_0 src1_sel:DWORD
	s_mov_b64 s[58:59], -1
	s_and_b64 vcc, exec, s[60:61]
	s_cbranch_vccnz .LBB48_1176
; %bb.1171:
	v_cmp_gt_i16_sdwa s[60:61], v6, v2 src0_sel:BYTE_0 src1_sel:DWORD
	s_and_b64 vcc, exec, s[60:61]
	s_cbranch_vccz .LBB48_1173
; %bb.1172:
	v_lshlrev_b32_e32 v2, 16, v10
	v_cvt_f64_f32_e32 v[2:3], v2
	s_mov_b64 s[58:59], 0
	global_store_dwordx2 v[0:1], v[2:3], off
.LBB48_1173:
	s_andn2_b64 vcc, exec, s[58:59]
	s_cbranch_vccnz .LBB48_1175
; %bb.1174:
	v_lshlrev_b32_e32 v2, 16, v10
	global_store_dword v[0:1], v2, off
.LBB48_1175:
	s_mov_b64 s[58:59], 0
.LBB48_1176:
	s_andn2_b64 vcc, exec, s[58:59]
	s_cbranch_vccnz .LBB48_1178
; %bb.1177:
	v_lshlrev_b32_e32 v2, 16, v10
	v_cvt_f16_f32_e32 v2, v2
	global_store_short v[0:1], v2, off
.LBB48_1178:
	s_mov_b64 s[58:59], 0
.LBB48_1179:
	s_andn2_b64 vcc, exec, s[58:59]
	s_cbranch_vccnz .LBB48_1195
; %bb.1180:
	v_mov_b32_e32 v2, 2
	v_cmp_lt_i16_sdwa s[60:61], v6, v2 src0_sel:BYTE_0 src1_sel:DWORD
	s_mov_b64 s[58:59], -1
	s_and_b64 vcc, exec, s[60:61]
	s_cbranch_vccnz .LBB48_1190
; %bb.1181:
	v_mov_b32_e32 v2, 3
	v_cmp_lt_i16_sdwa s[60:61], v6, v2 src0_sel:BYTE_0 src1_sel:DWORD
	s_and_b64 vcc, exec, s[60:61]
	s_cbranch_vccnz .LBB48_1187
; %bb.1182:
	v_cmp_gt_i16_sdwa s[60:61], v6, v2 src0_sel:BYTE_0 src1_sel:DWORD
	s_and_b64 vcc, exec, s[60:61]
	s_cbranch_vccz .LBB48_1184
; %bb.1183:
	v_lshlrev_b32_e32 v2, 16, v10
	v_trunc_f32_e32 v2, v2
	s_mov_b32 s58, 0x2f800000
	v_mul_f32_e64 v3, |v2|, s58
	v_floor_f32_e32 v3, v3
	s_mov_b32 s58, 0xcf800000
	v_cvt_u32_f32_e32 v4, v3
	v_fma_f32 v3, v3, s58, |v2|
	v_cvt_u32_f32_e32 v3, v3
	v_ashrrev_i32_e32 v5, 31, v2
	v_xor_b32_e32 v4, v4, v5
	s_mov_b64 s[58:59], 0
	v_xor_b32_e32 v2, v3, v5
	v_sub_co_u32_e32 v2, vcc, v2, v5
	v_subb_co_u32_e32 v3, vcc, v4, v5, vcc
	global_store_dwordx2 v[0:1], v[2:3], off
.LBB48_1184:
	s_andn2_b64 vcc, exec, s[58:59]
	s_cbranch_vccnz .LBB48_1186
; %bb.1185:
	v_lshlrev_b32_e32 v2, 16, v10
	v_cvt_i32_f32_e32 v2, v2
	global_store_dword v[0:1], v2, off
.LBB48_1186:
	s_mov_b64 s[58:59], 0
.LBB48_1187:
	s_andn2_b64 vcc, exec, s[58:59]
	s_cbranch_vccnz .LBB48_1189
; %bb.1188:
	v_lshlrev_b32_e32 v2, 16, v10
	v_cvt_i32_f32_e32 v2, v2
	global_store_short v[0:1], v2, off
.LBB48_1189:
	s_mov_b64 s[58:59], 0
.LBB48_1190:
	s_andn2_b64 vcc, exec, s[58:59]
	s_cbranch_vccnz .LBB48_1195
; %bb.1191:
	v_mov_b32_e32 v2, 0
	v_cmp_gt_i16_sdwa s[60:61], v6, v2 src0_sel:BYTE_0 src1_sel:DWORD
	s_mov_b64 s[58:59], -1
	s_and_b64 vcc, exec, s[60:61]
	v_lshlrev_b32_e32 v2, 16, v10
	s_cbranch_vccz .LBB48_1193
; %bb.1192:
	v_cvt_i32_f32_e32 v3, v2
	s_mov_b64 s[58:59], 0
	global_store_byte v[0:1], v3, off
.LBB48_1193:
	s_andn2_b64 vcc, exec, s[58:59]
	s_cbranch_vccnz .LBB48_1195
; %bb.1194:
	v_trunc_f32_e32 v2, v2
	s_mov_b32 s58, 0x2f800000
	v_mul_f32_e64 v3, |v2|, s58
	v_floor_f32_e32 v3, v3
	s_mov_b32 s58, 0xcf800000
	v_fma_f32 v3, v3, s58, |v2|
	v_cvt_u32_f32_e32 v3, v3
	v_ashrrev_i32_e32 v2, 31, v2
	v_xor_b32_e32 v3, v3, v2
	v_sub_u32_e32 v2, v3, v2
	global_store_byte v[0:1], v2, off
.LBB48_1195:
	s_mov_b64 s[58:59], -1
.LBB48_1196:
	s_andn2_b64 vcc, exec, s[58:59]
	s_cbranch_vccnz .LBB48_1220
; %bb.1197:
	v_add_u32_e32 v8, 0x80, v8
	s_mov_b64 s[60:61], -1
.LBB48_1198:
	s_andn2_b64 s[58:59], s[48:49], exec
	s_and_b64 s[0:1], s[0:1], exec
	s_or_b64 s[58:59], s[58:59], s[0:1]
	s_andn2_b64 s[0:1], s[46:47], exec
	s_and_b64 s[56:57], s[56:57], exec
	s_or_b64 s[56:57], s[0:1], s[56:57]
	;; [unrolled: 3-line block ×3, first 2 shown]
	s_orn2_b64 s[64:65], s[60:61], exec
.LBB48_1199:
	s_or_b64 exec, exec, s[52:53]
	s_mov_b64 s[60:61], 0
	s_mov_b64 s[54:55], 0
	;; [unrolled: 1-line block ×3, first 2 shown]
                                        ; implicit-def: $vgpr3
                                        ; implicit-def: $vgpr4_vgpr5
                                        ; implicit-def: $vgpr2
                                        ; implicit-def: $vgpr0
                                        ; implicit-def: $vgpr1
	s_and_saveexec_b64 s[52:53], s[64:65]
	s_cbranch_execz .LBB48_1293
; %bb.1200:
	v_cmp_gt_i32_e32 vcc, s66, v8
	s_mov_b64 s[64:65], s[0:1]
	s_mov_b64 s[66:67], 0
                                        ; implicit-def: $vgpr3
                                        ; implicit-def: $vgpr4_vgpr5
                                        ; implicit-def: $vgpr2
                                        ; implicit-def: $vgpr0
                                        ; implicit-def: $vgpr1
	s_and_saveexec_b64 s[54:55], vcc
	s_cbranch_execz .LBB48_1292
; %bb.1201:
	s_andn2_b64 vcc, exec, s[20:21]
	s_cbranch_vccnz .LBB48_1208
; %bb.1202:
	s_andn2_b64 vcc, exec, s[34:35]
	v_mov_b32_e32 v2, 0
	v_mov_b32_e32 v4, 0
	;; [unrolled: 1-line block ×3, first 2 shown]
	s_cbranch_vccnz .LBB48_1207
; %bb.1203:
	s_add_i32 s34, s69, 1
	s_and_b32 s60, s34, 30
	s_add_u32 s34, s2, 0xffffffec
	s_addc_u32 s35, s3, -1
	v_mov_b32_e32 v0, 0
	s_waitcnt vmcnt(0)
	v_mov_b32_e32 v1, v8
	v_mov_b32_e32 v4, 0
	v_mov_b32_e32 v2, 0
.LBB48_1204:                            ; =>This Inner Loop Header: Depth=1
	s_mov_b64 s[62:63], s[34:35]
	s_load_dwordx4 s[64:67], s[62:63], 0x18
	s_load_dwordx2 s[70:71], s[62:63], 0x28
	s_load_dwordx2 s[76:77], s[62:63], 0xe8
	s_load_dwordx4 s[72:75], s[62:63], 0xd8
	s_add_u32 s34, s62, 24
	s_waitcnt lgkmcnt(0)
	v_mul_hi_u32 v3, s65, v1
	v_add_u32_e32 v3, v1, v3
	v_lshrrev_b32_e32 v3, s66, v3
	v_mul_lo_u32 v5, v3, s64
	v_mul_hi_u32 v10, s70, v3
	v_sub_u32_e32 v1, v1, v5
	v_add_u32_e32 v5, v3, v10
	v_mul_lo_u32 v10, v1, s72
	v_mul_lo_u32 v11, v1, s73
	;; [unrolled: 1-line block ×3, first 2 shown]
	v_lshrrev_b32_e32 v1, s71, v5
	v_mul_lo_u32 v5, v1, s67
	v_sub_u32_e32 v3, v3, v5
	s_addc_u32 s35, s63, 0
	s_add_i32 s60, s60, -2
	v_mul_lo_u32 v5, v3, s75
	v_mul_lo_u32 v13, v3, s76
	;; [unrolled: 1-line block ×3, first 2 shown]
	s_cmp_eq_u32 s60, 0
	v_add3_u32 v0, v10, v0, v5
	v_add3_u32 v2, v12, v2, v3
	;; [unrolled: 1-line block ×3, first 2 shown]
	s_cbranch_scc0 .LBB48_1204
; %bb.1205:
	s_bitcmp1_b32 s69, 0
	s_cselect_b64 s[60:61], -1, 0
	s_and_b64 vcc, exec, s[60:61]
	s_cbranch_vccnz .LBB48_1207
; %bb.1206:
	s_load_dwordx2 s[60:61], s[34:35], 0x18
	s_load_dword s62, s[34:35], 0x20
	s_load_dword s63, s[34:35], 0xe0
	s_nop 0
	s_load_dwordx2 s[34:35], s[34:35], 0xd8
	s_waitcnt lgkmcnt(0)
	v_mul_hi_u32 v3, s61, v1
	v_add_u32_e32 v3, v1, v3
	v_lshrrev_b32_e32 v3, s62, v3
	v_mul_lo_u32 v3, v3, s60
	v_sub_u32_e32 v3, v1, v3
	v_mad_u64_u32 v[0:1], s[60:61], v3, s34, v[0:1]
	v_mad_u64_u32 v[4:5], s[34:35], v3, s35, v[4:5]
	;; [unrolled: 1-line block ×3, first 2 shown]
.LBB48_1207:
	s_mov_b64 s[34:35], 0
	s_branch .LBB48_1209
.LBB48_1208:
	s_mov_b64 s[34:35], -1
                                        ; implicit-def: $vgpr2
                                        ; implicit-def: $vgpr4
                                        ; implicit-def: $vgpr0
.LBB48_1209:
	s_andn2_b64 vcc, exec, s[34:35]
	s_cbranch_vccnz .LBB48_1212
; %bb.1210:
	s_waitcnt lgkmcnt(0)
	v_mul_hi_u32 v0, s17, v8
	v_add_u32_e32 v0, v8, v0
	s_waitcnt vmcnt(0)
	v_lshrrev_b32_e32 v1, s18, v0
	v_mul_lo_u32 v0, v1, s16
	v_sub_u32_e32 v3, v8, v0
	v_mul_lo_u32 v0, v3, s12
	v_mul_lo_u32 v2, v3, s14
	s_andn2_b64 vcc, exec, s[30:31]
	v_mul_lo_u32 v4, v3, s13
	s_cbranch_vccnz .LBB48_1212
; %bb.1211:
	v_mul_hi_u32 v3, s28, v1
	v_add_u32_e32 v3, v1, v3
	v_lshrrev_b32_e32 v3, s29, v3
	v_mul_lo_u32 v3, v3, s19
	v_sub_u32_e32 v3, v1, v3
	v_mad_u64_u32 v[0:1], s[12:13], v3, s15, v[0:1]
	v_mad_u64_u32 v[4:5], s[12:13], v3, s26, v[4:5]
	;; [unrolled: 1-line block ×3, first 2 shown]
.LBB48_1212:
	s_waitcnt vmcnt(0) lgkmcnt(0)
	v_mov_b32_e32 v1, s11
	v_add_co_u32_e32 v4, vcc, s10, v4
	v_addc_co_u32_e32 v5, vcc, 0, v1, vcc
	v_and_b32_e32 v3, 0xff, v9
	v_cmp_gt_i16_e32 vcc, 11, v3
	s_cbranch_vccnz .LBB48_1219
; %bb.1213:
	v_cmp_lt_i16_e32 vcc, 25, v3
	s_mov_b64 s[12:13], 0
	s_cbranch_vccz .LBB48_1221
; %bb.1214:
	v_cmp_lt_i16_e32 vcc, 28, v3
	s_cbranch_vccz .LBB48_1222
; %bb.1215:
	v_cmp_lt_i16_e32 vcc, 43, v3
	;; [unrolled: 3-line block ×3, first 2 shown]
	s_cbranch_vccz .LBB48_1224
; %bb.1217:
	v_cmp_eq_u16_e32 vcc, 46, v3
	s_mov_b64 s[16:17], 0
	s_cbranch_vccz .LBB48_1227
; %bb.1218:
	global_load_dword v1, v[4:5], off
	s_mov_b64 s[10:11], 0
	s_mov_b64 s[14:15], -1
	s_branch .LBB48_1228
.LBB48_1219:
	s_mov_b64 s[16:17], -1
	s_mov_b64 s[14:15], 0
	s_mov_b64 s[12:13], 0
	;; [unrolled: 1-line block ×3, first 2 shown]
                                        ; implicit-def: $vgpr1
	s_branch .LBB48_1291
.LBB48_1220:
	s_mov_b64 s[60:61], 0
	s_branch .LBB48_949
.LBB48_1221:
	s_mov_b64 s[16:17], -1
	s_mov_b64 s[14:15], 0
	s_mov_b64 s[10:11], s[0:1]
                                        ; implicit-def: $vgpr1
	s_branch .LBB48_1257
.LBB48_1222:
	s_mov_b64 s[16:17], -1
	s_mov_b64 s[14:15], 0
	s_mov_b64 s[10:11], s[0:1]
                                        ; implicit-def: $vgpr1
	s_branch .LBB48_1238
.LBB48_1223:
	s_mov_b64 s[16:17], -1
	s_mov_b64 s[14:15], 0
	s_mov_b64 s[10:11], s[0:1]
                                        ; implicit-def: $vgpr1
	s_branch .LBB48_1233
.LBB48_1224:
	s_mov_b64 s[16:17], -1
	s_mov_b64 s[14:15], 0
	s_mov_b64 s[10:11], s[0:1]
                                        ; implicit-def: $vgpr1
	s_branch .LBB48_1228
.LBB48_1225:
	s_or_saveexec_b64 s[62:63], s[62:63]
                                        ; implicit-def: $sgpr64
	s_xor_b64 exec, exec, s[62:63]
	s_cbranch_execz .LBB48_1109
.LBB48_1226:
	s_mov_b32 s64, 0x46000000
	v_add_f32_e64 v3, |v4|, s64
	v_and_b32_e32 v3, 0xff, v3
	v_cmp_ne_u32_e32 vcc, 0, v3
	s_andn2_b64 s[60:61], s[60:61], exec
	s_and_b64 s[70:71], vcc, exec
	s_mov_b32 s64, 0
	s_or_b64 s[60:61], s[60:61], s[70:71]
	s_or_b64 exec, exec, s[62:63]
	v_mov_b32_e32 v5, s64
	s_and_saveexec_b64 s[62:63], s[60:61]
	s_cbranch_execnz .LBB48_1110
	s_branch .LBB48_1111
.LBB48_1227:
	s_mov_b64 s[10:11], -1
                                        ; implicit-def: $vgpr1
	s_mov_b64 s[14:15], 0
.LBB48_1228:
	s_and_b64 vcc, exec, s[16:17]
	s_cbranch_vccz .LBB48_1232
; %bb.1229:
	v_cmp_eq_u16_e32 vcc, 44, v3
	s_cbranch_vccz .LBB48_1231
; %bb.1230:
	global_load_ubyte v1, v[4:5], off
	s_movk_i32 s14, 0xff
	v_mov_b32_e32 v8, 0x7f800001
	v_mov_b32_e32 v9, 0x400000
	;; [unrolled: 1-line block ×3, first 2 shown]
	s_mov_b64 s[10:11], 0
	s_waitcnt vmcnt(0)
	v_lshlrev_b32_e32 v11, 23, v1
	v_cmp_ne_u32_e32 vcc, s14, v1
	v_cndmask_b32_e32 v8, v8, v11, vcc
	v_cmp_ne_u32_e32 vcc, 0, v1
	v_cndmask_b32_e32 v1, v9, v8, vcc
	v_add_u32_e32 v8, 0x7fff, v1
	v_lshrrev_b32_e32 v8, 16, v8
	v_cmp_o_f32_e32 vcc, v1, v1
	v_cndmask_b32_e32 v1, v10, v8, vcc
	s_mov_b64 s[14:15], -1
	s_branch .LBB48_1232
.LBB48_1231:
	s_mov_b64 s[10:11], -1
                                        ; implicit-def: $vgpr1
.LBB48_1232:
	s_mov_b64 s[16:17], 0
.LBB48_1233:
	s_and_b64 vcc, exec, s[16:17]
	s_cbranch_vccz .LBB48_1237
; %bb.1234:
	v_cmp_eq_u16_e32 vcc, 29, v3
	s_cbranch_vccz .LBB48_1236
; %bb.1235:
	global_load_dwordx2 v[8:9], v[4:5], off
	s_movk_i32 s14, 0x7fff
	s_mov_b64 s[10:11], 0
	s_mov_b64 s[16:17], 0
	s_waitcnt vmcnt(0)
	v_ffbh_u32_e32 v1, v9
	v_min_u32_e32 v1, 32, v1
	v_lshlrev_b64 v[8:9], v1, v[8:9]
	v_min_u32_e32 v8, 1, v8
	v_or_b32_e32 v8, v9, v8
	v_cvt_f32_u32_e32 v8, v8
	v_sub_u32_e32 v1, 32, v1
	v_ldexp_f32 v1, v8, v1
	v_bfe_u32 v8, v1, 16, 1
	v_add3_u32 v1, v1, v8, s14
	v_lshrrev_b32_e32 v1, 16, v1
	s_mov_b64 s[14:15], -1
	s_branch .LBB48_1238
.LBB48_1236:
	s_mov_b64 s[10:11], -1
                                        ; implicit-def: $vgpr1
.LBB48_1237:
	s_mov_b64 s[16:17], 0
.LBB48_1238:
	s_and_b64 vcc, exec, s[16:17]
	s_cbranch_vccz .LBB48_1256
; %bb.1239:
	v_cmp_gt_i16_e32 vcc, 27, v3
	s_cbranch_vccnz .LBB48_1242
; %bb.1240:
	v_cmp_lt_i16_e32 vcc, 27, v3
	s_cbranch_vccz .LBB48_1243
; %bb.1241:
	global_load_dword v1, v[4:5], off
	s_movk_i32 s14, 0x7fff
	s_waitcnt vmcnt(0)
	v_cvt_f32_u32_e32 v1, v1
	v_bfe_u32 v8, v1, 16, 1
	v_add3_u32 v1, v1, v8, s14
	v_lshrrev_b32_e32 v1, 16, v1
	s_mov_b64 s[14:15], 0
	s_branch .LBB48_1244
.LBB48_1242:
	s_mov_b64 s[14:15], -1
                                        ; implicit-def: $vgpr1
	s_branch .LBB48_1247
.LBB48_1243:
	s_mov_b64 s[14:15], -1
                                        ; implicit-def: $vgpr1
.LBB48_1244:
	s_andn2_b64 vcc, exec, s[14:15]
	s_cbranch_vccnz .LBB48_1246
; %bb.1245:
	global_load_ushort v1, v[4:5], off
	s_movk_i32 s14, 0x7fff
	s_waitcnt vmcnt(0)
	v_cvt_f32_u32_e32 v1, v1
	v_bfe_u32 v8, v1, 16, 1
	v_add3_u32 v1, v1, v8, s14
	v_lshrrev_b32_e32 v1, 16, v1
.LBB48_1246:
	s_mov_b64 s[14:15], 0
.LBB48_1247:
	s_andn2_b64 vcc, exec, s[14:15]
	s_cbranch_vccnz .LBB48_1255
; %bb.1248:
	global_load_ubyte v1, v[4:5], off
	s_movk_i32 s14, 0x7f
                                        ; implicit-def: $sgpr26
	s_waitcnt vmcnt(0)
	v_cmp_lt_i16_e32 vcc, s14, v1
	s_mov_b64 s[14:15], 0
	s_and_saveexec_b64 s[16:17], vcc
	s_xor_b64 s[16:17], exec, s[16:17]
	s_cbranch_execz .LBB48_1269
; %bb.1249:
	s_movk_i32 s14, 0x80
	v_cmp_eq_u16_e32 vcc, s14, v1
	s_mov_b64 s[14:15], -1
                                        ; implicit-def: $sgpr26
	s_and_saveexec_b64 s[18:19], vcc
; %bb.1250:
	s_mov_b32 s26, 0x7f800001
	s_xor_b64 s[14:15], exec, -1
; %bb.1251:
	s_or_b64 exec, exec, s[18:19]
	s_and_b64 s[14:15], s[14:15], exec
	s_or_saveexec_b64 s[16:17], s[16:17]
	v_mov_b32_e32 v8, s26
	s_xor_b64 exec, exec, s[16:17]
	s_cbranch_execnz .LBB48_1270
.LBB48_1252:
	s_or_b64 exec, exec, s[16:17]
	s_and_saveexec_b64 s[16:17], s[14:15]
	s_cbranch_execz .LBB48_1254
.LBB48_1253:
	v_lshlrev_b32_e32 v8, 24, v1
	v_and_b32_e32 v1, 0xffff, v1
	v_and_b32_e32 v9, 7, v1
	v_ffbh_u32_e32 v11, v9
	v_min_u32_e32 v11, 32, v11
	v_subrev_u32_e32 v12, 28, v11
	v_bfe_u32 v10, v1, 3, 4
	v_lshlrev_b32_e32 v1, v12, v1
	v_sub_u32_e32 v11, 29, v11
	v_and_b32_e32 v1, 7, v1
	v_cmp_eq_u32_e32 vcc, 0, v10
	v_cndmask_b32_e32 v10, v10, v11, vcc
	v_cndmask_b32_e32 v1, v9, v1, vcc
	v_mov_b32_e32 v9, 0x3b800000
	v_lshlrev_b32_e32 v1, 20, v1
	v_and_b32_e32 v8, 0x80000000, v8
	v_lshl_add_u32 v9, v10, 23, v9
	v_or3_b32 v8, v8, v9, v1
.LBB48_1254:
	s_or_b64 exec, exec, s[16:17]
	v_bfe_u32 v1, v8, 16, 1
	s_movk_i32 s14, 0x7fff
	v_add3_u32 v1, v8, v1, s14
	v_lshrrev_b32_e32 v1, 16, v1
	v_mov_b32_e32 v9, 0x7fc0
	v_cmp_o_f32_e32 vcc, v8, v8
	v_cndmask_b32_e32 v1, v9, v1, vcc
.LBB48_1255:
	s_mov_b64 s[14:15], -1
.LBB48_1256:
	s_mov_b64 s[16:17], 0
.LBB48_1257:
	s_and_b64 vcc, exec, s[16:17]
	s_cbranch_vccz .LBB48_1290
; %bb.1258:
	v_cmp_lt_i16_e32 vcc, 22, v3
	s_cbranch_vccz .LBB48_1268
; %bb.1259:
	v_cmp_gt_i16_e32 vcc, 24, v3
	s_cbranch_vccnz .LBB48_1271
; %bb.1260:
	v_cmp_lt_i16_e32 vcc, 24, v3
	s_cbranch_vccz .LBB48_1272
; %bb.1261:
	global_load_ubyte v1, v[4:5], off
	s_movk_i32 s12, 0x7f
                                        ; implicit-def: $sgpr18
	s_waitcnt vmcnt(0)
	v_cmp_lt_i16_e32 vcc, s12, v1
	s_mov_b64 s[12:13], 0
	s_and_saveexec_b64 s[14:15], vcc
	s_xor_b64 s[14:15], exec, s[14:15]
	s_cbranch_execz .LBB48_1284
; %bb.1262:
	s_movk_i32 s12, 0x80
	v_cmp_eq_u16_e32 vcc, s12, v1
	s_mov_b64 s[12:13], -1
                                        ; implicit-def: $sgpr18
	s_and_saveexec_b64 s[16:17], vcc
; %bb.1263:
	s_mov_b32 s18, 0x7f800001
	s_xor_b64 s[12:13], exec, -1
; %bb.1264:
	s_or_b64 exec, exec, s[16:17]
	s_and_b64 s[12:13], s[12:13], exec
	s_or_saveexec_b64 s[14:15], s[14:15]
	v_mov_b32_e32 v8, s18
	s_xor_b64 exec, exec, s[14:15]
	s_cbranch_execnz .LBB48_1285
.LBB48_1265:
	s_or_b64 exec, exec, s[14:15]
	s_and_saveexec_b64 s[14:15], s[12:13]
	s_cbranch_execz .LBB48_1267
.LBB48_1266:
	v_lshlrev_b32_e32 v8, 24, v1
	v_and_b32_e32 v1, 0xffff, v1
	v_and_b32_e32 v9, 3, v1
	v_ffbh_u32_e32 v11, v9
	v_min_u32_e32 v11, 32, v11
	v_subrev_u32_e32 v12, 29, v11
	v_bfe_u32 v10, v1, 2, 5
	v_lshlrev_b32_e32 v1, v12, v1
	v_sub_u32_e32 v11, 30, v11
	v_and_b32_e32 v1, 3, v1
	v_cmp_eq_u32_e32 vcc, 0, v10
	v_cndmask_b32_e32 v10, v10, v11, vcc
	v_cndmask_b32_e32 v1, v9, v1, vcc
	v_mov_b32_e32 v9, 0x37800000
	v_lshlrev_b32_e32 v1, 21, v1
	v_and_b32_e32 v8, 0x80000000, v8
	v_lshl_add_u32 v9, v10, 23, v9
	v_or3_b32 v8, v8, v9, v1
.LBB48_1267:
	s_or_b64 exec, exec, s[14:15]
	v_bfe_u32 v1, v8, 16, 1
	s_movk_i32 s12, 0x7fff
	v_add3_u32 v1, v8, v1, s12
	v_lshrrev_b32_e32 v1, 16, v1
	v_mov_b32_e32 v9, 0x7fc0
	v_cmp_o_f32_e32 vcc, v8, v8
	v_cndmask_b32_e32 v1, v9, v1, vcc
	s_mov_b64 s[12:13], 0
	s_branch .LBB48_1273
.LBB48_1268:
	s_mov_b64 s[12:13], -1
                                        ; implicit-def: $vgpr1
	s_branch .LBB48_1279
.LBB48_1269:
	s_or_saveexec_b64 s[16:17], s[16:17]
	v_mov_b32_e32 v8, s26
	s_xor_b64 exec, exec, s[16:17]
	s_cbranch_execz .LBB48_1252
.LBB48_1270:
	v_cmp_ne_u16_e32 vcc, 0, v1
	s_andn2_b64 s[14:15], s[14:15], exec
	s_and_b64 s[18:19], vcc, exec
	v_mov_b32_e32 v8, 0
	s_or_b64 s[14:15], s[14:15], s[18:19]
	s_or_b64 exec, exec, s[16:17]
	s_and_saveexec_b64 s[16:17], s[14:15]
	s_cbranch_execnz .LBB48_1253
	s_branch .LBB48_1254
.LBB48_1271:
	s_mov_b64 s[12:13], -1
                                        ; implicit-def: $vgpr1
	s_branch .LBB48_1276
.LBB48_1272:
	s_mov_b64 s[12:13], -1
                                        ; implicit-def: $vgpr1
.LBB48_1273:
	s_and_b64 vcc, exec, s[12:13]
	s_cbranch_vccz .LBB48_1275
; %bb.1274:
	global_load_ubyte v1, v[4:5], off
	s_mov_b32 s12, 0x7f800000
	s_brev_b32 s13, 1
	s_movk_i32 s14, 0x7fff
	v_mov_b32_e32 v8, 0x7fc0
	s_waitcnt vmcnt(0)
	v_lshlrev_b32_e32 v1, 24, v1
	v_and_b32_e32 v9, 0x7f000000, v1
	v_ffbh_u32_e32 v10, v9
	v_min_u32_e32 v10, 32, v10
	v_sub_u32_e64 v10, v10, 4 clamp
	v_lshlrev_b32_e32 v12, v10, v9
	v_lshlrev_b32_e32 v10, 23, v10
	v_lshrrev_b32_e32 v12, 4, v12
	v_add_u32_e32 v11, 0x1000000, v9
	v_sub_u32_e32 v10, v12, v10
	v_ashrrev_i32_e32 v11, 8, v11
	v_add_u32_e32 v10, 0x3c000000, v10
	v_and_or_b32 v10, v11, s12, v10
	v_cmp_ne_u32_e32 vcc, 0, v9
	v_cndmask_b32_e32 v9, 0, v10, vcc
	v_and_or_b32 v1, v1, s13, v9
	v_bfe_u32 v9, v9, 16, 1
	v_add3_u32 v9, v1, v9, s14
	v_lshrrev_b32_e32 v9, 16, v9
	v_cmp_o_f32_e32 vcc, v1, v1
	v_cndmask_b32_e32 v1, v8, v9, vcc
.LBB48_1275:
	s_mov_b64 s[12:13], 0
.LBB48_1276:
	s_andn2_b64 vcc, exec, s[12:13]
	s_cbranch_vccnz .LBB48_1278
; %bb.1277:
	global_load_ubyte v1, v[4:5], off
	s_movk_i32 s12, 0x7f00
	s_brev_b32 s13, 16
	s_brev_b32 s14, 1
	s_movk_i32 s15, 0x7fff
	v_mov_b32_e32 v8, 0x7fc0
	s_waitcnt vmcnt(0)
	v_lshlrev_b16_e32 v9, 8, v1
	v_lshlrev_b32_e32 v1, 25, v1
	v_lshrrev_b32_e32 v10, 4, v1
	v_and_or_b32 v11, v9, s12, 0.5
	v_or_b32_e32 v10, 0x70000000, v10
	v_add_f32_e32 v11, -0.5, v11
	v_mul_f32_e32 v10, 0x7800000, v10
	v_cmp_gt_u32_e32 vcc, s13, v1
	v_bfe_i32 v9, v9, 0, 16
	v_cndmask_b32_e32 v1, v10, v11, vcc
	v_and_or_b32 v9, v9, s14, v1
	v_bfe_u32 v1, v1, 16, 1
	v_add3_u32 v1, v9, v1, s15
	v_lshrrev_b32_e32 v1, 16, v1
	v_cmp_o_f32_e32 vcc, v9, v9
	v_cndmask_b32_e32 v1, v8, v1, vcc
.LBB48_1278:
	s_mov_b64 s[12:13], 0
	s_mov_b64 s[14:15], -1
.LBB48_1279:
	s_andn2_b64 vcc, exec, s[12:13]
	s_mov_b64 s[12:13], 0
	s_cbranch_vccnz .LBB48_1290
; %bb.1280:
	v_cmp_lt_i16_e32 vcc, 14, v3
	s_cbranch_vccz .LBB48_1283
; %bb.1281:
	v_cmp_eq_u16_e32 vcc, 15, v3
	s_cbranch_vccz .LBB48_1286
; %bb.1282:
	global_load_ushort v1, v[4:5], off
	s_mov_b64 s[10:11], 0
	s_mov_b64 s[14:15], -1
	s_branch .LBB48_1287
.LBB48_1283:
	s_mov_b64 s[16:17], -1
                                        ; implicit-def: $vgpr1
	s_branch .LBB48_1288
.LBB48_1284:
	s_or_saveexec_b64 s[14:15], s[14:15]
	v_mov_b32_e32 v8, s18
	s_xor_b64 exec, exec, s[14:15]
	s_cbranch_execz .LBB48_1265
.LBB48_1285:
	v_cmp_ne_u16_e32 vcc, 0, v1
	s_andn2_b64 s[12:13], s[12:13], exec
	s_and_b64 s[16:17], vcc, exec
	v_mov_b32_e32 v8, 0
	s_or_b64 s[12:13], s[12:13], s[16:17]
	s_or_b64 exec, exec, s[14:15]
	s_and_saveexec_b64 s[14:15], s[12:13]
	s_cbranch_execnz .LBB48_1266
	s_branch .LBB48_1267
.LBB48_1286:
	s_mov_b64 s[10:11], -1
                                        ; implicit-def: $vgpr1
.LBB48_1287:
	s_mov_b64 s[16:17], 0
.LBB48_1288:
	s_and_b64 vcc, exec, s[16:17]
	s_cbranch_vccz .LBB48_1290
; %bb.1289:
	v_cmp_ne_u16_e32 vcc, 11, v3
	s_andn2_b64 s[10:11], s[10:11], exec
	s_and_b64 s[16:17], vcc, exec
	s_mov_b64 s[12:13], -1
	s_or_b64 s[10:11], s[10:11], s[16:17]
                                        ; implicit-def: $vgpr1
.LBB48_1290:
	s_mov_b64 s[16:17], 0
.LBB48_1291:
	s_and_b64 s[60:61], s[12:13], exec
	s_andn2_b64 s[12:13], s[0:1], exec
	s_and_b64 s[10:11], s[10:11], exec
	s_and_b64 s[62:63], s[14:15], exec
	;; [unrolled: 1-line block ×3, first 2 shown]
	s_or_b64 s[64:65], s[12:13], s[10:11]
.LBB48_1292:
	s_or_b64 exec, exec, s[54:55]
	s_andn2_b64 s[0:1], s[0:1], exec
	s_waitcnt lgkmcnt(0)
	s_and_b64 s[10:11], s[64:65], exec
	s_and_b64 s[62:63], s[62:63], exec
	;; [unrolled: 1-line block ×4, first 2 shown]
	s_or_b64 s[0:1], s[0:1], s[10:11]
.LBB48_1293:
	s_or_b64 exec, exec, s[52:53]
	s_waitcnt lgkmcnt(0)
	s_andn2_b64 s[10:11], s[48:49], exec
	s_and_b64 s[12:13], s[58:59], exec
	s_or_b64 s[48:49], s[10:11], s[12:13]
	s_andn2_b64 s[10:11], s[46:47], exec
	s_and_b64 s[12:13], s[56:57], exec
	s_or_b64 s[46:47], s[10:11], s[12:13]
	s_andn2_b64 s[10:11], s[44:45], exec
	s_and_b64 s[0:1], s[0:1], exec
	s_and_b64 s[56:57], s[62:63], exec
	;; [unrolled: 1-line block ×4, first 2 shown]
	s_or_b64 s[44:45], s[10:11], s[0:1]
.LBB48_1294:
	s_or_b64 exec, exec, s[50:51]
	s_andn2_b64 s[0:1], s[36:37], exec
	s_waitcnt lgkmcnt(0)
	s_and_b64 s[10:11], s[48:49], exec
	s_or_b64 s[36:37], s[0:1], s[10:11]
	s_andn2_b64 s[0:1], s[38:39], exec
	s_and_b64 s[10:11], s[46:47], exec
	s_or_b64 s[38:39], s[0:1], s[10:11]
	s_andn2_b64 s[0:1], s[40:41], exec
	s_and_b64 s[10:11], s[44:45], exec
	s_and_b64 s[48:49], s[56:57], exec
	;; [unrolled: 1-line block ×4, first 2 shown]
	s_or_b64 s[40:41], s[0:1], s[10:11]
	s_or_b64 exec, exec, s[42:43]
	s_mov_b64 s[10:11], 0
	s_and_saveexec_b64 s[0:1], s[40:41]
	s_cbranch_execz .LBB48_405
.LBB48_1295:
	s_mov_b64 s[10:11], exec
	s_andn2_b64 s[46:47], s[46:47], exec
	s_trap 2
                                        ; implicit-def: $vgpr1
	s_or_b64 exec, exec, s[0:1]
	s_and_saveexec_b64 s[0:1], s[46:47]
	s_xor_b64 s[0:1], exec, s[0:1]
	s_cbranch_execnz .LBB48_406
.LBB48_1296:
	s_or_b64 exec, exec, s[0:1]
	s_and_saveexec_b64 s[0:1], s[50:51]
	s_cbranch_execz .LBB48_1342
.LBB48_1297:
	v_cmp_gt_i16_e32 vcc, 5, v3
	s_cbranch_vccnz .LBB48_1302
; %bb.1298:
	v_cmp_gt_i16_e32 vcc, 8, v3
	s_cbranch_vccnz .LBB48_1303
; %bb.1299:
	;; [unrolled: 3-line block ×3, first 2 shown]
	v_cmp_lt_i16_e32 vcc, 9, v3
	s_cbranch_vccz .LBB48_1305
; %bb.1301:
	global_load_dwordx2 v[8:9], v[4:5], off
	s_movk_i32 s12, 0x7fff
	s_waitcnt vmcnt(1)
	v_mov_b32_e32 v1, 0x7fc0
	s_waitcnt vmcnt(0)
	v_cvt_f32_f64_e32 v8, v[8:9]
	v_bfe_u32 v9, v8, 16, 1
	v_add3_u32 v9, v8, v9, s12
	v_lshrrev_b32_e32 v9, 16, v9
	v_cmp_o_f32_e32 vcc, v8, v8
	v_cndmask_b32_e32 v1, v1, v9, vcc
	s_mov_b64 s[12:13], 0
	s_branch .LBB48_1306
.LBB48_1302:
                                        ; implicit-def: $vgpr1
	s_branch .LBB48_1323
.LBB48_1303:
                                        ; implicit-def: $vgpr1
	s_branch .LBB48_1312
.LBB48_1304:
	s_mov_b64 s[12:13], -1
                                        ; implicit-def: $vgpr1
	s_branch .LBB48_1309
.LBB48_1305:
	s_mov_b64 s[12:13], -1
                                        ; implicit-def: $vgpr1
.LBB48_1306:
	s_andn2_b64 vcc, exec, s[12:13]
	s_cbranch_vccnz .LBB48_1308
; %bb.1307:
	global_load_dword v1, v[4:5], off
	s_movk_i32 s12, 0x7fff
	v_mov_b32_e32 v8, 0x7fc0
	s_waitcnt vmcnt(0)
	v_bfe_u32 v9, v1, 16, 1
	v_add3_u32 v9, v1, v9, s12
	v_lshrrev_b32_e32 v9, 16, v9
	v_cmp_o_f32_e32 vcc, v1, v1
	v_cndmask_b32_e32 v1, v8, v9, vcc
.LBB48_1308:
	s_mov_b64 s[12:13], 0
.LBB48_1309:
	s_andn2_b64 vcc, exec, s[12:13]
	s_cbranch_vccnz .LBB48_1311
; %bb.1310:
	global_load_dword v1, v[4:5], off
	s_movk_i32 s12, 0x7fff
	v_mov_b32_e32 v9, 0x7fc0
	s_waitcnt vmcnt(0)
	v_cvt_f32_f16_e32 v8, v1
	v_cmp_o_f16_e32 vcc, v1, v1
	v_bfe_u32 v10, v8, 16, 1
	v_add3_u32 v8, v8, v10, s12
	v_lshrrev_b32_e32 v8, 16, v8
	v_cndmask_b32_e32 v1, v9, v8, vcc
.LBB48_1311:
	s_cbranch_execnz .LBB48_1322
.LBB48_1312:
	v_cmp_gt_i16_e32 vcc, 6, v3
	s_cbranch_vccnz .LBB48_1315
; %bb.1313:
	v_cmp_lt_i16_e32 vcc, 6, v3
	s_cbranch_vccz .LBB48_1316
; %bb.1314:
	global_load_dwordx2 v[8:9], v[4:5], off
	s_movk_i32 s12, 0x7fff
	s_waitcnt vmcnt(1)
	v_mov_b32_e32 v1, 0x7fc0
	s_waitcnt vmcnt(0)
	v_cvt_f32_f64_e32 v8, v[8:9]
	v_bfe_u32 v9, v8, 16, 1
	v_add3_u32 v9, v8, v9, s12
	v_lshrrev_b32_e32 v9, 16, v9
	v_cmp_o_f32_e32 vcc, v8, v8
	v_cndmask_b32_e32 v1, v1, v9, vcc
	s_mov_b64 s[12:13], 0
	s_branch .LBB48_1317
.LBB48_1315:
	s_mov_b64 s[12:13], -1
                                        ; implicit-def: $vgpr1
	s_branch .LBB48_1320
.LBB48_1316:
	s_mov_b64 s[12:13], -1
                                        ; implicit-def: $vgpr1
.LBB48_1317:
	s_andn2_b64 vcc, exec, s[12:13]
	s_cbranch_vccnz .LBB48_1319
; %bb.1318:
	global_load_dword v1, v[4:5], off
	s_movk_i32 s12, 0x7fff
	v_mov_b32_e32 v8, 0x7fc0
	s_waitcnt vmcnt(0)
	v_bfe_u32 v9, v1, 16, 1
	v_add3_u32 v9, v1, v9, s12
	v_lshrrev_b32_e32 v9, 16, v9
	v_cmp_o_f32_e32 vcc, v1, v1
	v_cndmask_b32_e32 v1, v8, v9, vcc
.LBB48_1319:
	s_mov_b64 s[12:13], 0
.LBB48_1320:
	s_andn2_b64 vcc, exec, s[12:13]
	s_cbranch_vccnz .LBB48_1322
; %bb.1321:
	global_load_ushort v1, v[4:5], off
	s_movk_i32 s12, 0x7fff
	v_mov_b32_e32 v9, 0x7fc0
	s_waitcnt vmcnt(0)
	v_cvt_f32_f16_e32 v8, v1
	v_cmp_o_f16_e32 vcc, v1, v1
	v_bfe_u32 v10, v8, 16, 1
	v_add3_u32 v8, v8, v10, s12
	v_lshrrev_b32_e32 v8, 16, v8
	v_cndmask_b32_e32 v1, v9, v8, vcc
.LBB48_1322:
	s_cbranch_execnz .LBB48_1341
.LBB48_1323:
	v_cmp_gt_i16_e32 vcc, 2, v3
	s_cbranch_vccnz .LBB48_1327
; %bb.1324:
	v_cmp_gt_i16_e32 vcc, 3, v3
	s_cbranch_vccnz .LBB48_1328
; %bb.1325:
	v_cmp_lt_i16_e32 vcc, 3, v3
	s_cbranch_vccz .LBB48_1329
; %bb.1326:
	global_load_dwordx2 v[8:9], v[4:5], off
	s_movk_i32 s12, 0x7fff
	s_waitcnt vmcnt(0)
	v_xor_b32_e32 v10, v8, v9
	v_ffbh_i32_e32 v1, v9
	v_ashrrev_i32_e32 v10, 31, v10
	v_add_u32_e32 v1, -1, v1
	v_add_u32_e32 v10, 32, v10
	v_min_u32_e32 v1, v1, v10
	v_lshlrev_b64 v[8:9], v1, v[8:9]
	v_min_u32_e32 v8, 1, v8
	v_or_b32_e32 v8, v9, v8
	v_cvt_f32_i32_e32 v8, v8
	v_sub_u32_e32 v1, 32, v1
	v_ldexp_f32 v1, v8, v1
	v_bfe_u32 v8, v1, 16, 1
	v_add3_u32 v1, v1, v8, s12
	v_lshrrev_b32_e32 v1, 16, v1
	s_mov_b64 s[12:13], 0
	s_branch .LBB48_1330
.LBB48_1327:
                                        ; implicit-def: $vgpr1
	s_branch .LBB48_1336
.LBB48_1328:
	s_mov_b64 s[12:13], -1
                                        ; implicit-def: $vgpr1
	s_branch .LBB48_1333
.LBB48_1329:
	s_mov_b64 s[12:13], -1
                                        ; implicit-def: $vgpr1
.LBB48_1330:
	s_andn2_b64 vcc, exec, s[12:13]
	s_cbranch_vccnz .LBB48_1332
; %bb.1331:
	global_load_dword v1, v[4:5], off
	s_movk_i32 s12, 0x7fff
	s_waitcnt vmcnt(0)
	v_cvt_f32_i32_e32 v1, v1
	v_bfe_u32 v8, v1, 16, 1
	v_add3_u32 v1, v1, v8, s12
	v_lshrrev_b32_e32 v1, 16, v1
.LBB48_1332:
	s_mov_b64 s[12:13], 0
.LBB48_1333:
	s_andn2_b64 vcc, exec, s[12:13]
	s_cbranch_vccnz .LBB48_1335
; %bb.1334:
	global_load_sshort v1, v[4:5], off
	s_movk_i32 s12, 0x7fff
	s_waitcnt vmcnt(0)
	v_cvt_f32_i32_e32 v1, v1
	v_bfe_u32 v8, v1, 16, 1
	v_add3_u32 v1, v1, v8, s12
	v_lshrrev_b32_e32 v1, 16, v1
.LBB48_1335:
	s_cbranch_execnz .LBB48_1341
.LBB48_1336:
	v_cmp_lt_i16_e32 vcc, 0, v3
	s_cbranch_vccz .LBB48_1338
; %bb.1337:
	global_load_sbyte v1, v[4:5], off
	s_movk_i32 s12, 0x7fff
	s_waitcnt vmcnt(0)
	v_cvt_f32_i32_e32 v1, v1
	v_bfe_u32 v3, v1, 16, 1
	v_add3_u32 v1, v1, v3, s12
	v_lshrrev_b32_e32 v1, 16, v1
	s_mov_b64 s[12:13], 0
	s_branch .LBB48_1339
.LBB48_1338:
	s_mov_b64 s[12:13], -1
                                        ; implicit-def: $vgpr1
.LBB48_1339:
	s_andn2_b64 vcc, exec, s[12:13]
	s_cbranch_vccnz .LBB48_1341
; %bb.1340:
	global_load_ubyte v1, v[4:5], off
	s_movk_i32 s12, 0x7fff
	s_waitcnt vmcnt(0)
	v_cvt_f32_ubyte0_e32 v1, v1
	v_bfe_u32 v3, v1, 16, 1
	v_add3_u32 v1, v1, v3, s12
	v_lshrrev_b32_e32 v1, 16, v1
.LBB48_1341:
	s_or_b64 s[48:49], s[48:49], exec
.LBB48_1342:
	s_or_b64 exec, exec, s[0:1]
	s_mov_b64 s[16:17], 0
	s_mov_b64 s[18:19], 0
	;; [unrolled: 1-line block ×3, first 2 shown]
                                        ; implicit-def: $vgpr3
                                        ; implicit-def: $vgpr4_vgpr5
                                        ; implicit-def: $vgpr8
	s_and_saveexec_b64 s[0:1], s[48:49]
	s_cbranch_execz .LBB48_1350
; %bb.1343:
	v_mov_b32_e32 v3, s25
	v_add_co_u32_e32 v4, vcc, s24, v2
	v_addc_co_u32_e32 v5, vcc, 0, v3, vcc
	s_waitcnt vmcnt(0)
	v_and_b32_e32 v3, 0xff, v7
	v_cmp_gt_i16_e32 vcc, 11, v3
	s_cbranch_vccnz .LBB48_1353
; %bb.1344:
	v_cmp_lt_i16_e32 vcc, 25, v3
	s_cbranch_vccz .LBB48_1354
; %bb.1345:
	v_cmp_lt_i16_e32 vcc, 28, v3
	s_cbranch_vccz .LBB48_1355
	;; [unrolled: 3-line block ×4, first 2 shown]
; %bb.1348:
	v_cmp_eq_u16_e32 vcc, 46, v3
	s_cbranch_vccz .LBB48_1358
; %bb.1349:
	global_load_dword v8, v[4:5], off
	s_mov_b64 s[12:13], 0
	s_mov_b64 s[14:15], -1
	s_branch .LBB48_1360
.LBB48_1350:
	s_or_b64 exec, exec, s[0:1]
	s_and_saveexec_b64 s[0:1], s[38:39]
	s_cbranch_execnz .LBB48_1423
.LBB48_1351:
	s_or_b64 exec, exec, s[0:1]
	s_and_saveexec_b64 s[0:1], s[16:17]
	s_xor_b64 s[0:1], exec, s[0:1]
	s_cbranch_execz .LBB48_1424
.LBB48_1352:
	global_load_ubyte v2, v[4:5], off
	s_or_b64 s[14:15], s[14:15], exec
	s_waitcnt vmcnt(0)
	v_cmp_ne_u16_e32 vcc, 0, v2
	v_cndmask_b32_e64 v2, 0, 1.0, vcc
	v_lshrrev_b32_e32 v8, 16, v2
	s_or_b64 exec, exec, s[0:1]
	s_and_saveexec_b64 s[0:1], s[18:19]
	s_cbranch_execz .LBB48_1470
	s_branch .LBB48_1425
.LBB48_1353:
	s_mov_b64 s[18:19], -1
                                        ; implicit-def: $vgpr8
	s_mov_b64 s[12:13], s[38:39]
	s_branch .LBB48_1422
.LBB48_1354:
	s_mov_b64 s[12:13], s[38:39]
                                        ; implicit-def: $vgpr8
	s_cbranch_execnz .LBB48_1389
	s_branch .LBB48_1421
.LBB48_1355:
	s_mov_b64 s[18:19], -1
	s_mov_b64 s[12:13], s[38:39]
                                        ; implicit-def: $vgpr8
	s_branch .LBB48_1370
.LBB48_1356:
	s_mov_b64 s[18:19], -1
	s_mov_b64 s[12:13], s[38:39]
                                        ; implicit-def: $vgpr8
	s_branch .LBB48_1365
.LBB48_1357:
	s_mov_b64 s[18:19], -1
	s_mov_b64 s[12:13], s[38:39]
	s_branch .LBB48_1359
.LBB48_1358:
	s_mov_b64 s[12:13], -1
.LBB48_1359:
                                        ; implicit-def: $vgpr8
.LBB48_1360:
	s_and_b64 vcc, exec, s[18:19]
	s_cbranch_vccz .LBB48_1364
; %bb.1361:
	v_cmp_eq_u16_e32 vcc, 44, v3
	s_cbranch_vccz .LBB48_1363
; %bb.1362:
	global_load_ubyte v2, v[4:5], off
	s_movk_i32 s14, 0xff
	v_mov_b32_e32 v7, 0x7f800001
	s_waitcnt vmcnt(1)
	v_mov_b32_e32 v8, 0x400000
	v_mov_b32_e32 v9, 0x7fc0
	s_mov_b64 s[12:13], 0
	s_waitcnt vmcnt(0)
	v_lshlrev_b32_e32 v10, 23, v2
	v_cmp_ne_u32_e32 vcc, s14, v2
	v_cndmask_b32_e32 v7, v7, v10, vcc
	v_cmp_ne_u32_e32 vcc, 0, v2
	v_cndmask_b32_e32 v2, v8, v7, vcc
	v_add_u32_e32 v7, 0x7fff, v2
	v_lshrrev_b32_e32 v7, 16, v7
	v_cmp_o_f32_e32 vcc, v2, v2
	v_cndmask_b32_e32 v8, v9, v7, vcc
	s_mov_b64 s[14:15], -1
	s_branch .LBB48_1364
.LBB48_1363:
	s_mov_b64 s[12:13], -1
                                        ; implicit-def: $vgpr8
.LBB48_1364:
	s_mov_b64 s[18:19], 0
.LBB48_1365:
	s_and_b64 vcc, exec, s[18:19]
	s_cbranch_vccz .LBB48_1369
; %bb.1366:
	v_cmp_eq_u16_e32 vcc, 29, v3
	s_cbranch_vccz .LBB48_1368
; %bb.1367:
	global_load_dwordx2 v[8:9], v[4:5], off
	s_movk_i32 s14, 0x7fff
	s_mov_b64 s[12:13], 0
	s_mov_b64 s[18:19], 0
	s_waitcnt vmcnt(0)
	v_ffbh_u32_e32 v2, v9
	v_min_u32_e32 v2, 32, v2
	v_lshlrev_b64 v[8:9], v2, v[8:9]
	v_min_u32_e32 v7, 1, v8
	v_or_b32_e32 v7, v9, v7
	v_cvt_f32_u32_e32 v7, v7
	v_sub_u32_e32 v2, 32, v2
	v_ldexp_f32 v2, v7, v2
	v_bfe_u32 v7, v2, 16, 1
	v_add3_u32 v2, v2, v7, s14
	v_lshrrev_b32_e32 v8, 16, v2
	s_mov_b64 s[14:15], -1
	s_branch .LBB48_1370
.LBB48_1368:
	s_mov_b64 s[12:13], -1
                                        ; implicit-def: $vgpr8
.LBB48_1369:
	s_mov_b64 s[18:19], 0
.LBB48_1370:
	s_and_b64 vcc, exec, s[18:19]
	s_cbranch_vccz .LBB48_1388
; %bb.1371:
	v_cmp_gt_i16_e32 vcc, 27, v3
	s_cbranch_vccnz .LBB48_1374
; %bb.1372:
	v_cmp_lt_i16_e32 vcc, 27, v3
	s_cbranch_vccz .LBB48_1375
; %bb.1373:
	global_load_dword v2, v[4:5], off
	s_movk_i32 s14, 0x7fff
	s_waitcnt vmcnt(0)
	v_cvt_f32_u32_e32 v2, v2
	v_bfe_u32 v7, v2, 16, 1
	v_add3_u32 v2, v2, v7, s14
	v_lshrrev_b32_e32 v8, 16, v2
	s_mov_b64 s[14:15], 0
	s_branch .LBB48_1376
.LBB48_1374:
	s_mov_b64 s[14:15], -1
                                        ; implicit-def: $vgpr8
	s_branch .LBB48_1379
.LBB48_1375:
	s_mov_b64 s[14:15], -1
                                        ; implicit-def: $vgpr8
.LBB48_1376:
	s_andn2_b64 vcc, exec, s[14:15]
	s_cbranch_vccnz .LBB48_1378
; %bb.1377:
	global_load_ushort v2, v[4:5], off
	s_movk_i32 s14, 0x7fff
	s_waitcnt vmcnt(0)
	v_cvt_f32_u32_e32 v2, v2
	v_bfe_u32 v7, v2, 16, 1
	v_add3_u32 v2, v2, v7, s14
	v_lshrrev_b32_e32 v8, 16, v2
.LBB48_1378:
	s_mov_b64 s[14:15], 0
.LBB48_1379:
	s_andn2_b64 vcc, exec, s[14:15]
	s_cbranch_vccnz .LBB48_1387
; %bb.1380:
	global_load_ubyte v2, v[4:5], off
	s_movk_i32 s14, 0x7f
                                        ; implicit-def: $sgpr26
	s_waitcnt vmcnt(0)
	v_cmp_lt_i16_e32 vcc, s14, v2
	s_mov_b64 s[14:15], 0
	s_and_saveexec_b64 s[18:19], vcc
	s_xor_b64 s[18:19], exec, s[18:19]
	s_cbranch_execz .LBB48_1400
; %bb.1381:
	s_movk_i32 s14, 0x80
	v_cmp_eq_u16_e32 vcc, s14, v2
	s_mov_b64 s[14:15], -1
                                        ; implicit-def: $sgpr26
	s_and_saveexec_b64 s[24:25], vcc
; %bb.1382:
	s_mov_b32 s26, 0x7f800001
	s_xor_b64 s[14:15], exec, -1
; %bb.1383:
	s_or_b64 exec, exec, s[24:25]
	s_and_b64 s[14:15], s[14:15], exec
	s_or_saveexec_b64 s[18:19], s[18:19]
	v_mov_b32_e32 v7, s26
	s_xor_b64 exec, exec, s[18:19]
	s_cbranch_execnz .LBB48_1401
.LBB48_1384:
	s_or_b64 exec, exec, s[18:19]
	s_and_saveexec_b64 s[18:19], s[14:15]
	s_cbranch_execz .LBB48_1386
.LBB48_1385:
	v_lshlrev_b32_e32 v7, 24, v2
	v_and_b32_e32 v2, 0xffff, v2
	v_and_b32_e32 v8, 7, v2
	v_ffbh_u32_e32 v10, v8
	v_min_u32_e32 v10, 32, v10
	v_subrev_u32_e32 v11, 28, v10
	v_bfe_u32 v9, v2, 3, 4
	v_lshlrev_b32_e32 v2, v11, v2
	v_sub_u32_e32 v10, 29, v10
	v_and_b32_e32 v2, 7, v2
	v_cmp_eq_u32_e32 vcc, 0, v9
	v_cndmask_b32_e32 v9, v9, v10, vcc
	v_cndmask_b32_e32 v2, v8, v2, vcc
	v_mov_b32_e32 v8, 0x3b800000
	v_lshlrev_b32_e32 v2, 20, v2
	v_and_b32_e32 v7, 0x80000000, v7
	v_lshl_add_u32 v8, v9, 23, v8
	v_or3_b32 v7, v7, v8, v2
.LBB48_1386:
	s_or_b64 exec, exec, s[18:19]
	v_bfe_u32 v2, v7, 16, 1
	s_movk_i32 s14, 0x7fff
	v_add3_u32 v2, v7, v2, s14
	v_lshrrev_b32_e32 v2, 16, v2
	v_mov_b32_e32 v8, 0x7fc0
	v_cmp_o_f32_e32 vcc, v7, v7
	v_cndmask_b32_e32 v8, v8, v2, vcc
.LBB48_1387:
	s_mov_b64 s[14:15], -1
.LBB48_1388:
	s_branch .LBB48_1421
.LBB48_1389:
	v_cmp_lt_i16_e32 vcc, 22, v3
	s_cbranch_vccz .LBB48_1399
; %bb.1390:
	v_cmp_gt_i16_e32 vcc, 24, v3
	s_cbranch_vccnz .LBB48_1402
; %bb.1391:
	v_cmp_lt_i16_e32 vcc, 24, v3
	s_cbranch_vccz .LBB48_1403
; %bb.1392:
	global_load_ubyte v2, v[4:5], off
	s_movk_i32 s14, 0x7f
                                        ; implicit-def: $sgpr24
	s_waitcnt vmcnt(0)
	v_cmp_lt_i16_e32 vcc, s14, v2
	s_mov_b64 s[14:15], 0
	s_and_saveexec_b64 s[16:17], vcc
	s_xor_b64 s[16:17], exec, s[16:17]
	s_cbranch_execz .LBB48_1415
; %bb.1393:
	s_movk_i32 s14, 0x80
	v_cmp_eq_u16_e32 vcc, s14, v2
	s_mov_b64 s[14:15], -1
                                        ; implicit-def: $sgpr24
	s_and_saveexec_b64 s[18:19], vcc
; %bb.1394:
	s_mov_b32 s24, 0x7f800001
	s_xor_b64 s[14:15], exec, -1
; %bb.1395:
	s_or_b64 exec, exec, s[18:19]
	s_and_b64 s[14:15], s[14:15], exec
	s_or_saveexec_b64 s[16:17], s[16:17]
	v_mov_b32_e32 v7, s24
	s_xor_b64 exec, exec, s[16:17]
	s_cbranch_execnz .LBB48_1416
.LBB48_1396:
	s_or_b64 exec, exec, s[16:17]
	s_and_saveexec_b64 s[16:17], s[14:15]
	s_cbranch_execz .LBB48_1398
.LBB48_1397:
	v_lshlrev_b32_e32 v7, 24, v2
	v_and_b32_e32 v2, 0xffff, v2
	v_and_b32_e32 v8, 3, v2
	v_ffbh_u32_e32 v10, v8
	v_min_u32_e32 v10, 32, v10
	v_subrev_u32_e32 v11, 29, v10
	v_bfe_u32 v9, v2, 2, 5
	v_lshlrev_b32_e32 v2, v11, v2
	v_sub_u32_e32 v10, 30, v10
	v_and_b32_e32 v2, 3, v2
	v_cmp_eq_u32_e32 vcc, 0, v9
	v_cndmask_b32_e32 v9, v9, v10, vcc
	v_cndmask_b32_e32 v2, v8, v2, vcc
	v_mov_b32_e32 v8, 0x37800000
	v_lshlrev_b32_e32 v2, 21, v2
	v_and_b32_e32 v7, 0x80000000, v7
	v_lshl_add_u32 v8, v9, 23, v8
	v_or3_b32 v7, v7, v8, v2
.LBB48_1398:
	s_or_b64 exec, exec, s[16:17]
	v_bfe_u32 v2, v7, 16, 1
	s_movk_i32 s14, 0x7fff
	v_add3_u32 v2, v7, v2, s14
	v_lshrrev_b32_e32 v2, 16, v2
	v_mov_b32_e32 v8, 0x7fc0
	v_cmp_o_f32_e32 vcc, v7, v7
	v_cndmask_b32_e32 v8, v8, v2, vcc
	s_mov_b64 s[14:15], 0
	s_branch .LBB48_1404
.LBB48_1399:
	s_mov_b64 s[16:17], -1
                                        ; implicit-def: $vgpr8
	s_branch .LBB48_1410
.LBB48_1400:
	s_or_saveexec_b64 s[18:19], s[18:19]
	v_mov_b32_e32 v7, s26
	s_xor_b64 exec, exec, s[18:19]
	s_cbranch_execz .LBB48_1384
.LBB48_1401:
	v_cmp_ne_u16_e32 vcc, 0, v2
	s_andn2_b64 s[14:15], s[14:15], exec
	s_and_b64 s[24:25], vcc, exec
	v_mov_b32_e32 v7, 0
	s_or_b64 s[14:15], s[14:15], s[24:25]
	s_or_b64 exec, exec, s[18:19]
	s_and_saveexec_b64 s[18:19], s[14:15]
	s_cbranch_execnz .LBB48_1385
	s_branch .LBB48_1386
.LBB48_1402:
	s_mov_b64 s[14:15], -1
                                        ; implicit-def: $vgpr8
	s_branch .LBB48_1407
.LBB48_1403:
	s_mov_b64 s[14:15], -1
                                        ; implicit-def: $vgpr8
.LBB48_1404:
	s_and_b64 vcc, exec, s[14:15]
	s_cbranch_vccz .LBB48_1406
; %bb.1405:
	global_load_ubyte v2, v[4:5], off
	s_mov_b32 s14, 0x7f800000
	s_brev_b32 s15, 1
	s_movk_i32 s16, 0x7fff
	v_mov_b32_e32 v7, 0x7fc0
	s_waitcnt vmcnt(0)
	v_lshlrev_b32_e32 v2, 24, v2
	v_and_b32_e32 v8, 0x7f000000, v2
	v_ffbh_u32_e32 v9, v8
	v_min_u32_e32 v9, 32, v9
	v_sub_u32_e64 v9, v9, 4 clamp
	v_lshlrev_b32_e32 v11, v9, v8
	v_lshlrev_b32_e32 v9, 23, v9
	v_lshrrev_b32_e32 v11, 4, v11
	v_add_u32_e32 v10, 0x1000000, v8
	v_sub_u32_e32 v9, v11, v9
	v_ashrrev_i32_e32 v10, 8, v10
	v_add_u32_e32 v9, 0x3c000000, v9
	v_and_or_b32 v9, v10, s14, v9
	v_cmp_ne_u32_e32 vcc, 0, v8
	v_cndmask_b32_e32 v8, 0, v9, vcc
	v_and_or_b32 v2, v2, s15, v8
	v_bfe_u32 v8, v8, 16, 1
	v_add3_u32 v8, v2, v8, s16
	v_lshrrev_b32_e32 v8, 16, v8
	v_cmp_o_f32_e32 vcc, v2, v2
	v_cndmask_b32_e32 v8, v7, v8, vcc
.LBB48_1406:
	s_mov_b64 s[14:15], 0
.LBB48_1407:
	s_andn2_b64 vcc, exec, s[14:15]
	s_cbranch_vccnz .LBB48_1409
; %bb.1408:
	global_load_ubyte v2, v[4:5], off
	s_movk_i32 s14, 0x7f00
	s_brev_b32 s15, 16
	s_brev_b32 s16, 1
	s_movk_i32 s17, 0x7fff
	v_mov_b32_e32 v7, 0x7fc0
	s_waitcnt vmcnt(0)
	v_lshlrev_b16_e32 v8, 8, v2
	v_lshlrev_b32_e32 v2, 25, v2
	v_lshrrev_b32_e32 v9, 4, v2
	v_and_or_b32 v10, v8, s14, 0.5
	v_or_b32_e32 v9, 0x70000000, v9
	v_add_f32_e32 v10, -0.5, v10
	v_mul_f32_e32 v9, 0x7800000, v9
	v_cmp_gt_u32_e32 vcc, s15, v2
	v_bfe_i32 v8, v8, 0, 16
	v_cndmask_b32_e32 v2, v9, v10, vcc
	v_and_or_b32 v8, v8, s16, v2
	v_bfe_u32 v2, v2, 16, 1
	v_add3_u32 v2, v8, v2, s17
	v_lshrrev_b32_e32 v2, 16, v2
	v_cmp_o_f32_e32 vcc, v8, v8
	v_cndmask_b32_e32 v8, v7, v2, vcc
.LBB48_1409:
	s_mov_b64 s[16:17], 0
	s_mov_b64 s[14:15], -1
.LBB48_1410:
	s_andn2_b64 vcc, exec, s[16:17]
	s_mov_b64 s[16:17], 0
	s_cbranch_vccnz .LBB48_1421
; %bb.1411:
	v_cmp_lt_i16_e32 vcc, 14, v3
	s_cbranch_vccz .LBB48_1414
; %bb.1412:
	v_cmp_eq_u16_e32 vcc, 15, v3
	s_cbranch_vccz .LBB48_1417
; %bb.1413:
	global_load_ushort v8, v[4:5], off
	s_mov_b64 s[12:13], 0
	s_mov_b64 s[14:15], -1
	s_branch .LBB48_1418
.LBB48_1414:
	s_mov_b64 s[18:19], -1
                                        ; implicit-def: $vgpr8
	s_branch .LBB48_1419
.LBB48_1415:
	s_or_saveexec_b64 s[16:17], s[16:17]
	v_mov_b32_e32 v7, s24
	s_xor_b64 exec, exec, s[16:17]
	s_cbranch_execz .LBB48_1396
.LBB48_1416:
	v_cmp_ne_u16_e32 vcc, 0, v2
	s_andn2_b64 s[14:15], s[14:15], exec
	s_and_b64 s[18:19], vcc, exec
	v_mov_b32_e32 v7, 0
	s_or_b64 s[14:15], s[14:15], s[18:19]
	s_or_b64 exec, exec, s[16:17]
	s_and_saveexec_b64 s[16:17], s[14:15]
	s_cbranch_execnz .LBB48_1397
	s_branch .LBB48_1398
.LBB48_1417:
	s_mov_b64 s[12:13], -1
                                        ; implicit-def: $vgpr8
.LBB48_1418:
	s_mov_b64 s[18:19], 0
.LBB48_1419:
	s_and_b64 vcc, exec, s[18:19]
	s_cbranch_vccz .LBB48_1421
; %bb.1420:
	v_cmp_ne_u16_e32 vcc, 11, v3
	s_andn2_b64 s[12:13], s[12:13], exec
	s_and_b64 s[18:19], vcc, exec
	s_mov_b64 s[16:17], -1
	s_or_b64 s[12:13], s[12:13], s[18:19]
                                        ; implicit-def: $vgpr8
.LBB48_1421:
	s_mov_b64 s[18:19], 0
.LBB48_1422:
	s_andn2_b64 s[24:25], s[38:39], exec
	s_and_b64 s[12:13], s[12:13], exec
	s_and_b64 s[14:15], s[14:15], exec
	s_and_b64 s[18:19], s[18:19], exec
	s_and_b64 s[16:17], s[16:17], exec
	s_or_b64 s[38:39], s[24:25], s[12:13]
	s_or_b64 exec, exec, s[0:1]
	s_and_saveexec_b64 s[0:1], s[38:39]
	s_cbranch_execz .LBB48_1351
.LBB48_1423:
	s_or_b64 s[10:11], s[10:11], exec
	s_andn2_b64 s[16:17], s[16:17], exec
	s_trap 2
                                        ; implicit-def: $vgpr8
	s_or_b64 exec, exec, s[0:1]
	s_and_saveexec_b64 s[0:1], s[16:17]
	s_xor_b64 s[0:1], exec, s[0:1]
	s_cbranch_execnz .LBB48_1352
.LBB48_1424:
	s_or_b64 exec, exec, s[0:1]
	s_and_saveexec_b64 s[0:1], s[18:19]
	s_cbranch_execz .LBB48_1470
.LBB48_1425:
	v_cmp_gt_i16_e32 vcc, 5, v3
	s_cbranch_vccnz .LBB48_1430
; %bb.1426:
	v_cmp_gt_i16_e32 vcc, 8, v3
	s_cbranch_vccnz .LBB48_1431
; %bb.1427:
	;; [unrolled: 3-line block ×3, first 2 shown]
	v_cmp_lt_i16_e32 vcc, 9, v3
	s_cbranch_vccz .LBB48_1433
; %bb.1429:
	global_load_dwordx2 v[8:9], v[4:5], off
	s_movk_i32 s12, 0x7fff
	v_mov_b32_e32 v2, 0x7fc0
	s_waitcnt vmcnt(0)
	v_cvt_f32_f64_e32 v7, v[8:9]
	v_bfe_u32 v8, v7, 16, 1
	v_add3_u32 v8, v7, v8, s12
	v_lshrrev_b32_e32 v8, 16, v8
	v_cmp_o_f32_e32 vcc, v7, v7
	v_cndmask_b32_e32 v8, v2, v8, vcc
	s_mov_b64 s[12:13], 0
	s_branch .LBB48_1434
.LBB48_1430:
                                        ; implicit-def: $vgpr8
	s_branch .LBB48_1451
.LBB48_1431:
                                        ; implicit-def: $vgpr8
	s_branch .LBB48_1440
.LBB48_1432:
	s_mov_b64 s[12:13], -1
                                        ; implicit-def: $vgpr8
	s_branch .LBB48_1437
.LBB48_1433:
	s_mov_b64 s[12:13], -1
                                        ; implicit-def: $vgpr8
.LBB48_1434:
	s_andn2_b64 vcc, exec, s[12:13]
	s_cbranch_vccnz .LBB48_1436
; %bb.1435:
	global_load_dword v2, v[4:5], off
	s_movk_i32 s12, 0x7fff
	s_waitcnt vmcnt(1)
	v_mov_b32_e32 v7, 0x7fc0
	s_waitcnt vmcnt(0)
	v_bfe_u32 v8, v2, 16, 1
	v_add3_u32 v8, v2, v8, s12
	v_lshrrev_b32_e32 v8, 16, v8
	v_cmp_o_f32_e32 vcc, v2, v2
	v_cndmask_b32_e32 v8, v7, v8, vcc
.LBB48_1436:
	s_mov_b64 s[12:13], 0
.LBB48_1437:
	s_andn2_b64 vcc, exec, s[12:13]
	s_cbranch_vccnz .LBB48_1439
; %bb.1438:
	global_load_dword v2, v[4:5], off
	s_movk_i32 s12, 0x7fff
	s_waitcnt vmcnt(1)
	v_mov_b32_e32 v8, 0x7fc0
	s_waitcnt vmcnt(0)
	v_cvt_f32_f16_e32 v7, v2
	v_cmp_o_f16_e32 vcc, v2, v2
	v_bfe_u32 v9, v7, 16, 1
	v_add3_u32 v7, v7, v9, s12
	v_lshrrev_b32_e32 v7, 16, v7
	v_cndmask_b32_e32 v8, v8, v7, vcc
.LBB48_1439:
	s_cbranch_execnz .LBB48_1450
.LBB48_1440:
	v_cmp_gt_i16_e32 vcc, 6, v3
	s_cbranch_vccnz .LBB48_1443
; %bb.1441:
	v_cmp_lt_i16_e32 vcc, 6, v3
	s_cbranch_vccz .LBB48_1444
; %bb.1442:
	global_load_dwordx2 v[8:9], v[4:5], off
	s_movk_i32 s12, 0x7fff
	v_mov_b32_e32 v2, 0x7fc0
	s_waitcnt vmcnt(0)
	v_cvt_f32_f64_e32 v7, v[8:9]
	v_bfe_u32 v8, v7, 16, 1
	v_add3_u32 v8, v7, v8, s12
	v_lshrrev_b32_e32 v8, 16, v8
	v_cmp_o_f32_e32 vcc, v7, v7
	v_cndmask_b32_e32 v8, v2, v8, vcc
	s_mov_b64 s[12:13], 0
	s_branch .LBB48_1445
.LBB48_1443:
	s_mov_b64 s[12:13], -1
                                        ; implicit-def: $vgpr8
	s_branch .LBB48_1448
.LBB48_1444:
	s_mov_b64 s[12:13], -1
                                        ; implicit-def: $vgpr8
.LBB48_1445:
	s_andn2_b64 vcc, exec, s[12:13]
	s_cbranch_vccnz .LBB48_1447
; %bb.1446:
	global_load_dword v2, v[4:5], off
	s_movk_i32 s12, 0x7fff
	s_waitcnt vmcnt(1)
	v_mov_b32_e32 v7, 0x7fc0
	s_waitcnt vmcnt(0)
	v_bfe_u32 v8, v2, 16, 1
	v_add3_u32 v8, v2, v8, s12
	v_lshrrev_b32_e32 v8, 16, v8
	v_cmp_o_f32_e32 vcc, v2, v2
	v_cndmask_b32_e32 v8, v7, v8, vcc
.LBB48_1447:
	s_mov_b64 s[12:13], 0
.LBB48_1448:
	s_andn2_b64 vcc, exec, s[12:13]
	s_cbranch_vccnz .LBB48_1450
; %bb.1449:
	global_load_ushort v2, v[4:5], off
	s_movk_i32 s12, 0x7fff
	s_waitcnt vmcnt(1)
	v_mov_b32_e32 v8, 0x7fc0
	s_waitcnt vmcnt(0)
	v_cvt_f32_f16_e32 v7, v2
	v_cmp_o_f16_e32 vcc, v2, v2
	v_bfe_u32 v9, v7, 16, 1
	v_add3_u32 v7, v7, v9, s12
	v_lshrrev_b32_e32 v7, 16, v7
	v_cndmask_b32_e32 v8, v8, v7, vcc
.LBB48_1450:
	s_cbranch_execnz .LBB48_1469
.LBB48_1451:
	v_cmp_gt_i16_e32 vcc, 2, v3
	s_cbranch_vccnz .LBB48_1455
; %bb.1452:
	v_cmp_gt_i16_e32 vcc, 3, v3
	s_cbranch_vccnz .LBB48_1456
; %bb.1453:
	v_cmp_lt_i16_e32 vcc, 3, v3
	s_cbranch_vccz .LBB48_1457
; %bb.1454:
	global_load_dwordx2 v[8:9], v[4:5], off
	s_movk_i32 s12, 0x7fff
	s_waitcnt vmcnt(0)
	v_xor_b32_e32 v7, v8, v9
	v_ffbh_i32_e32 v2, v9
	v_ashrrev_i32_e32 v7, 31, v7
	v_add_u32_e32 v2, -1, v2
	v_add_u32_e32 v7, 32, v7
	v_min_u32_e32 v2, v2, v7
	v_lshlrev_b64 v[8:9], v2, v[8:9]
	v_min_u32_e32 v7, 1, v8
	v_or_b32_e32 v7, v9, v7
	v_cvt_f32_i32_e32 v7, v7
	v_sub_u32_e32 v2, 32, v2
	v_ldexp_f32 v2, v7, v2
	v_bfe_u32 v7, v2, 16, 1
	v_add3_u32 v2, v2, v7, s12
	v_lshrrev_b32_e32 v8, 16, v2
	s_mov_b64 s[12:13], 0
	s_branch .LBB48_1458
.LBB48_1455:
                                        ; implicit-def: $vgpr8
	s_branch .LBB48_1464
.LBB48_1456:
	s_mov_b64 s[12:13], -1
                                        ; implicit-def: $vgpr8
	s_branch .LBB48_1461
.LBB48_1457:
	s_mov_b64 s[12:13], -1
                                        ; implicit-def: $vgpr8
.LBB48_1458:
	s_andn2_b64 vcc, exec, s[12:13]
	s_cbranch_vccnz .LBB48_1460
; %bb.1459:
	global_load_dword v2, v[4:5], off
	s_movk_i32 s12, 0x7fff
	s_waitcnt vmcnt(0)
	v_cvt_f32_i32_e32 v2, v2
	v_bfe_u32 v7, v2, 16, 1
	v_add3_u32 v2, v2, v7, s12
	v_lshrrev_b32_e32 v8, 16, v2
.LBB48_1460:
	s_mov_b64 s[12:13], 0
.LBB48_1461:
	s_andn2_b64 vcc, exec, s[12:13]
	s_cbranch_vccnz .LBB48_1463
; %bb.1462:
	global_load_sshort v2, v[4:5], off
	s_movk_i32 s12, 0x7fff
	s_waitcnt vmcnt(0)
	v_cvt_f32_i32_e32 v2, v2
	v_bfe_u32 v7, v2, 16, 1
	v_add3_u32 v2, v2, v7, s12
	v_lshrrev_b32_e32 v8, 16, v2
.LBB48_1463:
	s_cbranch_execnz .LBB48_1469
.LBB48_1464:
	v_cmp_lt_i16_e32 vcc, 0, v3
	s_cbranch_vccz .LBB48_1466
; %bb.1465:
	global_load_sbyte v2, v[4:5], off
	s_movk_i32 s12, 0x7fff
	s_waitcnt vmcnt(0)
	v_cvt_f32_i32_e32 v2, v2
	v_bfe_u32 v3, v2, 16, 1
	v_add3_u32 v2, v2, v3, s12
	v_lshrrev_b32_e32 v8, 16, v2
	s_mov_b64 s[12:13], 0
	s_branch .LBB48_1467
.LBB48_1466:
	s_mov_b64 s[12:13], -1
                                        ; implicit-def: $vgpr8
.LBB48_1467:
	s_andn2_b64 vcc, exec, s[12:13]
	s_cbranch_vccnz .LBB48_1469
; %bb.1468:
	global_load_ubyte v2, v[4:5], off
	s_movk_i32 s12, 0x7fff
	s_waitcnt vmcnt(0)
	v_cvt_f32_ubyte0_e32 v2, v2
	v_bfe_u32 v3, v2, 16, 1
	v_add3_u32 v2, v2, v3, s12
	v_lshrrev_b32_e32 v8, 16, v2
.LBB48_1469:
	s_or_b64 s[14:15], s[14:15], exec
.LBB48_1470:
	s_or_b64 exec, exec, s[0:1]
	s_mov_b64 s[18:19], 0
	s_mov_b64 s[16:17], 0
                                        ; implicit-def: $vgpr4
                                        ; implicit-def: $vgpr2_vgpr3
	s_and_saveexec_b64 s[12:13], s[14:15]
	s_cbranch_execz .LBB48_1490
; %bb.1471:
	s_waitcnt vmcnt(0)
	v_lshlrev_b32_e32 v2, 16, v1
	v_cmp_nlt_f32_e32 vcc, 0, v2
	s_and_saveexec_b64 s[0:1], vcc
; %bb.1472:
	v_lshlrev_b32_e32 v1, 16, v8
	v_mul_f32_e32 v1, v2, v1
	v_bfe_u32 v2, v1, 16, 1
	s_movk_i32 s14, 0x7fff
	v_add3_u32 v2, v1, v2, s14
	v_lshrrev_b32_e32 v2, 16, v2
	v_mov_b32_e32 v3, 0x7fc0
	v_cmp_o_f32_e32 vcc, v1, v1
	v_cndmask_b32_e32 v1, v3, v2, vcc
; %bb.1473:
	s_or_b64 exec, exec, s[0:1]
	v_mov_b32_e32 v3, s9
	v_add_co_u32_e32 v2, vcc, s8, v0
	v_addc_co_u32_e32 v3, vcc, 0, v3, vcc
	v_and_b32_e32 v4, 0xff, v6
	v_cmp_gt_i16_e32 vcc, 11, v4
	s_cbranch_vccnz .LBB48_1493
; %bb.1474:
	v_cmp_lt_i16_e32 vcc, 25, v4
	s_mov_b64 s[14:15], -1
	s_mov_b64 s[0:1], s[36:37]
	s_cbranch_vccz .LBB48_1511
; %bb.1475:
	v_cmp_lt_i16_e32 vcc, 28, v4
	s_mov_b64 s[8:9], -1
	s_mov_b64 s[0:1], s[36:37]
	s_cbranch_vccz .LBB48_1495
; %bb.1476:
	v_cmp_lt_i16_e32 vcc, 43, v4
	s_mov_b64 s[0:1], s[36:37]
	s_cbranch_vccz .LBB48_1487
; %bb.1477:
	v_cmp_lt_i16_e32 vcc, 45, v4
	s_mov_b64 s[0:1], s[36:37]
	s_cbranch_vccz .LBB48_1481
; %bb.1478:
	v_cmp_eq_u16_e32 vcc, 46, v4
	s_mov_b64 s[0:1], -1
	s_cbranch_vccz .LBB48_1480
; %bb.1479:
	v_and_b32_e32 v0, 0xffff, v1
	global_store_dword v[2:3], v0, off
	s_mov_b64 s[0:1], 0
.LBB48_1480:
	s_mov_b64 s[8:9], 0
.LBB48_1481:
	s_and_b64 vcc, exec, s[8:9]
	s_cbranch_vccz .LBB48_1486
; %bb.1482:
	v_cmp_eq_u16_e32 vcc, 44, v4
	s_mov_b64 s[0:1], -1
	s_cbranch_vccz .LBB48_1486
; %bb.1483:
	v_and_b32_e32 v5, 0xffff, v1
	v_bfe_u32 v0, v5, 7, 8
	s_movk_i32 s0, 0xff
	v_cmp_ne_u32_e32 vcc, s0, v0
	v_mov_b32_e32 v6, 0xff
	s_and_saveexec_b64 s[8:9], vcc
; %bb.1484:
	v_lshlrev_b32_e32 v7, 16, v5
	s_mov_b32 s0, 0x3f0000
	v_lshrrev_b32_e32 v6, 7, v5
	v_and_b32_e32 v5, 64, v5
	v_and_or_b32 v0, v7, s0, v0
	v_cmp_ne_u32_e32 vcc, 0, v5
	v_cmp_ne_u32_e64 s[0:1], 0, v0
	s_and_b64 s[0:1], vcc, s[0:1]
	v_cndmask_b32_e64 v0, 0, 1, s[0:1]
	v_add_u32_e32 v6, v6, v0
; %bb.1485:
	s_or_b64 exec, exec, s[8:9]
	s_mov_b64 s[0:1], 0
	global_store_byte v[2:3], v6, off
.LBB48_1486:
	s_mov_b64 s[8:9], 0
.LBB48_1487:
	s_and_b64 vcc, exec, s[8:9]
	s_cbranch_vccz .LBB48_1494
; %bb.1488:
	v_cmp_eq_u16_e32 vcc, 29, v4
	s_mov_b64 s[0:1], -1
	s_cbranch_vccz .LBB48_1494
; %bb.1489:
	v_lshlrev_b32_e32 v0, 16, v1
	v_trunc_f32_e32 v0, v0
	v_mul_f32_e32 v5, 0x2f800000, v0
	v_floor_f32_e32 v5, v5
	v_fmac_f32_e32 v0, 0xcf800000, v5
	v_cvt_u32_f32_e32 v7, v5
	v_cvt_u32_f32_e32 v6, v0
	s_mov_b64 s[0:1], 0
	s_mov_b64 s[8:9], 0
	global_store_dwordx2 v[2:3], v[6:7], off
	s_branch .LBB48_1495
.LBB48_1490:
	s_or_b64 exec, exec, s[12:13]
	s_and_saveexec_b64 s[0:1], s[36:37]
	s_cbranch_execnz .LBB48_1553
.LBB48_1491:
	s_or_b64 exec, exec, s[0:1]
	s_and_saveexec_b64 s[0:1], s[18:19]
	s_xor_b64 s[0:1], exec, s[0:1]
	s_cbranch_execz .LBB48_1554
.LBB48_1492:
	s_waitcnt vmcnt(0)
	v_and_b32_e32 v0, 0x7fff, v1
	v_cmp_ne_u16_e32 vcc, 0, v0
	v_cndmask_b32_e64 v0, 0, 1, vcc
	global_store_byte v[2:3], v0, off
	s_or_b64 exec, exec, s[0:1]
	s_and_saveexec_b64 s[0:1], s[16:17]
	s_xor_b64 s[0:1], exec, s[0:1]
	s_cbranch_execz .LBB48_1592
	s_branch .LBB48_1555
.LBB48_1493:
	s_mov_b64 s[14:15], 0
	s_mov_b64 s[8:9], -1
	s_mov_b64 s[0:1], s[36:37]
	s_branch .LBB48_1552
.LBB48_1494:
	s_mov_b64 s[8:9], 0
.LBB48_1495:
	s_and_b64 vcc, exec, s[8:9]
	s_cbranch_vccz .LBB48_1510
; %bb.1496:
	v_cmp_gt_i16_e32 vcc, 27, v4
	s_mov_b64 s[8:9], -1
	s_cbranch_vccnz .LBB48_1502
; %bb.1497:
	v_cmp_lt_i16_e32 vcc, 27, v4
	s_cbranch_vccz .LBB48_1499
; %bb.1498:
	v_lshlrev_b32_e32 v0, 16, v1
	v_cvt_u32_f32_e32 v0, v0
	s_mov_b64 s[8:9], 0
	global_store_dword v[2:3], v0, off
.LBB48_1499:
	s_andn2_b64 vcc, exec, s[8:9]
	s_cbranch_vccnz .LBB48_1501
; %bb.1500:
	v_lshlrev_b32_e32 v0, 16, v1
	v_cvt_u32_f32_e32 v0, v0
	global_store_short v[2:3], v0, off
.LBB48_1501:
	s_mov_b64 s[8:9], 0
.LBB48_1502:
	s_andn2_b64 vcc, exec, s[8:9]
	s_cbranch_vccnz .LBB48_1510
; %bb.1503:
	v_lshlrev_b32_e32 v6, 16, v1
	v_and_b32_e32 v5, 0x7fffffff, v6
	s_mov_b32 s8, 0x43800000
	v_cmp_gt_u32_e32 vcc, s8, v5
	v_mov_b32_e32 v7, 0x80
	s_and_saveexec_b64 s[8:9], vcc
	s_cbranch_execz .LBB48_1509
; %bb.1504:
	s_mov_b32 s14, 0x3bffffff
	v_and_b32_e32 v0, 0xffff, v1
	v_cmp_lt_u32_e32 vcc, s14, v5
	s_mov_b64 s[14:15], 0
                                        ; implicit-def: $vgpr5
	s_and_saveexec_b64 s[16:17], vcc
	s_xor_b64 s[16:17], exec, s[16:17]
	s_cbranch_execz .LBB48_1647
; %bb.1505:
	v_bfe_u32 v5, v0, 4, 1
	s_mov_b32 s18, 0x487ffff
	v_add3_u32 v5, v6, v5, s18
	s_mov_b64 s[14:15], exec
	v_lshrrev_b32_e32 v5, 20, v5
                                        ; implicit-def: $vgpr6
	s_or_saveexec_b64 s[16:17], s[16:17]
                                        ; implicit-def: $sgpr18
	s_xor_b64 exec, exec, s[16:17]
	s_cbranch_execnz .LBB48_1648
.LBB48_1506:
	s_or_b64 exec, exec, s[16:17]
	v_mov_b32_e32 v7, s18
	s_and_saveexec_b64 s[16:17], s[14:15]
.LBB48_1507:
	v_lshrrev_b32_e32 v0, 8, v0
	s_movk_i32 s14, 0x80
	v_and_or_b32 v7, v0, s14, v5
.LBB48_1508:
	s_or_b64 exec, exec, s[16:17]
.LBB48_1509:
	s_or_b64 exec, exec, s[8:9]
	global_store_byte v[2:3], v7, off
.LBB48_1510:
	s_mov_b64 s[14:15], 0
.LBB48_1511:
	s_mov_b64 s[8:9], 0
	s_and_b64 vcc, exec, s[14:15]
	s_cbranch_vccz .LBB48_1551
; %bb.1512:
	v_cmp_lt_i16_e32 vcc, 22, v4
	s_mov_b64 s[14:15], -1
	s_cbranch_vccz .LBB48_1544
; %bb.1513:
	v_cmp_gt_i16_e32 vcc, 24, v4
	s_cbranch_vccnz .LBB48_1533
; %bb.1514:
	v_cmp_lt_i16_e32 vcc, 24, v4
	s_cbranch_vccz .LBB48_1522
; %bb.1515:
	v_lshlrev_b32_e32 v6, 16, v1
	v_and_b32_e32 v5, 0x7fffffff, v6
	s_mov_b32 s14, 0x47800000
	v_cmp_gt_u32_e32 vcc, s14, v5
	v_mov_b32_e32 v7, 0x80
	s_and_saveexec_b64 s[14:15], vcc
	s_cbranch_execz .LBB48_1521
; %bb.1516:
	s_mov_b32 s16, 0x37ffffff
	v_and_b32_e32 v0, 0xffff, v1
	v_cmp_lt_u32_e32 vcc, s16, v5
	s_mov_b64 s[16:17], 0
                                        ; implicit-def: $vgpr5
	s_and_saveexec_b64 s[18:19], vcc
	s_xor_b64 s[18:19], exec, s[18:19]
	s_cbranch_execz .LBB48_1771
; %bb.1517:
	v_bfe_u32 v5, v0, 5, 1
	s_mov_b32 s24, 0x88fffff
	v_add3_u32 v5, v6, v5, s24
	s_mov_b64 s[16:17], exec
	v_lshrrev_b32_e32 v5, 21, v5
                                        ; implicit-def: $vgpr6
	s_or_saveexec_b64 s[18:19], s[18:19]
                                        ; implicit-def: $sgpr24
	s_xor_b64 exec, exec, s[18:19]
	s_cbranch_execnz .LBB48_1772
.LBB48_1518:
	s_or_b64 exec, exec, s[18:19]
	v_mov_b32_e32 v7, s24
	s_and_saveexec_b64 s[18:19], s[16:17]
.LBB48_1519:
	v_lshrrev_b32_e32 v0, 8, v0
	s_movk_i32 s16, 0x80
	v_and_or_b32 v7, v0, s16, v5
.LBB48_1520:
	s_or_b64 exec, exec, s[18:19]
.LBB48_1521:
	s_or_b64 exec, exec, s[14:15]
	s_mov_b64 s[14:15], 0
	global_store_byte v[2:3], v7, off
.LBB48_1522:
	s_and_b64 vcc, exec, s[14:15]
	s_cbranch_vccz .LBB48_1532
; %bb.1523:
	v_lshlrev_b32_e32 v6, 16, v1
	v_and_b32_e32 v7, 0x7fffffff, v6
	s_mov_b32 s14, 0x43f00000
	v_and_b32_e32 v0, 0xffff, v1
	v_cmp_gt_u32_e32 vcc, s14, v7
                                        ; implicit-def: $vgpr5
	s_and_saveexec_b64 s[14:15], vcc
	s_xor_b64 s[14:15], exec, s[14:15]
	s_cbranch_execz .LBB48_1529
; %bb.1524:
	s_mov_b32 s16, 0x3c7fffff
	v_cmp_lt_u32_e32 vcc, s16, v7
                                        ; implicit-def: $vgpr5
	s_and_saveexec_b64 s[16:17], vcc
	s_xor_b64 s[16:17], exec, s[16:17]
; %bb.1525:
	v_bfe_u32 v5, v0, 4, 1
	s_mov_b32 s18, 0x407ffff
	v_add3_u32 v5, v6, v5, s18
	v_lshrrev_b32_e32 v6, 20, v5
	v_and_b32_e32 v5, 0xff00000, v5
	s_mov_b32 s18, 0x7f00000
	v_mov_b32_e32 v7, 0x7e
	v_cmp_ne_u32_e32 vcc, s18, v5
	v_cndmask_b32_e32 v5, v7, v6, vcc
                                        ; implicit-def: $vgpr6
; %bb.1526:
	s_andn2_saveexec_b64 s[16:17], s[16:17]
; %bb.1527:
	s_mov_b32 s18, 0x46800000
	v_add_f32_e64 v5, |v6|, s18
; %bb.1528:
	s_or_b64 exec, exec, s[16:17]
                                        ; implicit-def: $vgpr7
.LBB48_1529:
	s_andn2_saveexec_b64 s[14:15], s[14:15]
; %bb.1530:
	s_mov_b32 s16, 0x7f800000
	v_mov_b32_e32 v5, 0x7e
	v_mov_b32_e32 v6, 0x7f
	v_cmp_lt_u32_e32 vcc, s16, v7
	v_cndmask_b32_e32 v5, v5, v6, vcc
; %bb.1531:
	s_or_b64 exec, exec, s[14:15]
	v_lshrrev_b32_e32 v0, 8, v0
	s_movk_i32 s14, 0x80
	v_and_or_b32 v0, v0, s14, v5
	global_store_byte v[2:3], v0, off
.LBB48_1532:
	s_mov_b64 s[14:15], 0
.LBB48_1533:
	s_andn2_b64 vcc, exec, s[14:15]
	s_cbranch_vccnz .LBB48_1543
; %bb.1534:
	v_lshlrev_b32_e32 v6, 16, v1
	v_and_b32_e32 v7, 0x7fffffff, v6
	s_mov_b32 s14, 0x47800000
	v_and_b32_e32 v0, 0xffff, v1
	v_cmp_gt_u32_e32 vcc, s14, v7
                                        ; implicit-def: $vgpr5
	s_and_saveexec_b64 s[14:15], vcc
	s_xor_b64 s[14:15], exec, s[14:15]
	s_cbranch_execz .LBB48_1540
; %bb.1535:
	s_mov_b32 s16, 0x387fffff
	v_cmp_lt_u32_e32 vcc, s16, v7
                                        ; implicit-def: $vgpr5
	s_and_saveexec_b64 s[16:17], vcc
	s_xor_b64 s[16:17], exec, s[16:17]
; %bb.1536:
	v_bfe_u32 v5, v0, 5, 1
	s_mov_b32 s18, 0x80fffff
	v_add3_u32 v5, v6, v5, s18
	v_lshrrev_b32_e32 v5, 21, v5
                                        ; implicit-def: $vgpr6
; %bb.1537:
	s_andn2_saveexec_b64 s[16:17], s[16:17]
; %bb.1538:
	s_mov_b32 s18, 0x43000000
	v_add_f32_e64 v5, |v6|, s18
; %bb.1539:
	s_or_b64 exec, exec, s[16:17]
                                        ; implicit-def: $vgpr7
.LBB48_1540:
	s_andn2_saveexec_b64 s[14:15], s[14:15]
; %bb.1541:
	s_mov_b32 s16, 0x7f800000
	v_mov_b32_e32 v5, 0x7c
	v_mov_b32_e32 v6, 0x7f
	v_cmp_lt_u32_e32 vcc, s16, v7
	v_cndmask_b32_e32 v5, v5, v6, vcc
; %bb.1542:
	s_or_b64 exec, exec, s[14:15]
	v_lshrrev_b32_e32 v0, 8, v0
	s_movk_i32 s14, 0x80
	v_and_or_b32 v0, v0, s14, v5
	global_store_byte v[2:3], v0, off
.LBB48_1543:
	s_mov_b64 s[14:15], 0
.LBB48_1544:
	s_andn2_b64 vcc, exec, s[14:15]
	s_mov_b64 s[14:15], 0
	s_cbranch_vccnz .LBB48_1552
; %bb.1545:
	v_cmp_lt_i16_e32 vcc, 14, v4
	s_mov_b64 s[16:17], -1
	s_cbranch_vccz .LBB48_1549
; %bb.1546:
	v_cmp_eq_u16_e32 vcc, 15, v4
	s_mov_b64 s[0:1], -1
	s_cbranch_vccz .LBB48_1548
; %bb.1547:
	global_store_short v[2:3], v1, off
	s_mov_b64 s[0:1], 0
.LBB48_1548:
	s_mov_b64 s[16:17], 0
.LBB48_1549:
	s_and_b64 vcc, exec, s[16:17]
	s_cbranch_vccz .LBB48_1552
; %bb.1550:
	v_cmp_ne_u16_e32 vcc, 11, v4
	s_andn2_b64 s[0:1], s[0:1], exec
	s_and_b64 s[16:17], vcc, exec
	s_mov_b64 s[14:15], -1
	s_or_b64 s[0:1], s[0:1], s[16:17]
	s_branch .LBB48_1552
.LBB48_1551:
	s_mov_b64 s[14:15], 0
.LBB48_1552:
	s_and_b64 s[16:17], s[8:9], exec
	s_andn2_b64 s[8:9], s[36:37], exec
	s_and_b64 s[0:1], s[0:1], exec
	s_and_b64 s[18:19], s[14:15], exec
	s_or_b64 s[36:37], s[8:9], s[0:1]
	s_or_b64 exec, exec, s[12:13]
	s_and_saveexec_b64 s[0:1], s[36:37]
	s_cbranch_execz .LBB48_1491
.LBB48_1553:
	s_or_b64 s[10:11], s[10:11], exec
	s_andn2_b64 s[18:19], s[18:19], exec
	s_trap 2
	s_or_b64 exec, exec, s[0:1]
	s_and_saveexec_b64 s[0:1], s[18:19]
	s_xor_b64 s[0:1], exec, s[0:1]
	s_cbranch_execnz .LBB48_1492
.LBB48_1554:
	s_or_b64 exec, exec, s[0:1]
	s_and_saveexec_b64 s[0:1], s[16:17]
	s_xor_b64 s[0:1], exec, s[0:1]
	s_cbranch_execz .LBB48_1592
.LBB48_1555:
	v_cmp_gt_i16_e32 vcc, 5, v4
	s_mov_b64 s[8:9], -1
	s_cbranch_vccnz .LBB48_1576
; %bb.1556:
	v_cmp_gt_i16_e32 vcc, 8, v4
	s_cbranch_vccnz .LBB48_1566
; %bb.1557:
	v_cmp_gt_i16_e32 vcc, 9, v4
	s_cbranch_vccnz .LBB48_1563
; %bb.1558:
	v_cmp_lt_i16_e32 vcc, 9, v4
	s_cbranch_vccz .LBB48_1560
; %bb.1559:
	s_waitcnt vmcnt(0)
	v_lshlrev_b32_e32 v0, 16, v1
	v_mov_b32_e32 v8, 0
	v_cvt_f64_f32_e32 v[6:7], v0
	v_mov_b32_e32 v9, v8
	s_mov_b64 s[8:9], 0
	global_store_dwordx4 v[2:3], v[6:9], off
.LBB48_1560:
	s_andn2_b64 vcc, exec, s[8:9]
	s_cbranch_vccnz .LBB48_1562
; %bb.1561:
	s_waitcnt vmcnt(0)
	v_lshlrev_b32_e32 v6, 16, v1
	v_mov_b32_e32 v7, 0
	global_store_dwordx2 v[2:3], v[6:7], off
.LBB48_1562:
	s_mov_b64 s[8:9], 0
.LBB48_1563:
	s_andn2_b64 vcc, exec, s[8:9]
	s_cbranch_vccnz .LBB48_1565
; %bb.1564:
	s_waitcnt vmcnt(0)
	v_lshlrev_b32_e32 v0, 16, v1
	v_cvt_f16_f32_e32 v0, v0
	global_store_dword v[2:3], v0, off
.LBB48_1565:
	s_mov_b64 s[8:9], 0
.LBB48_1566:
	s_andn2_b64 vcc, exec, s[8:9]
	s_cbranch_vccnz .LBB48_1575
; %bb.1567:
	v_cmp_gt_i16_e32 vcc, 6, v4
	s_mov_b64 s[8:9], -1
	s_cbranch_vccnz .LBB48_1573
; %bb.1568:
	v_cmp_lt_i16_e32 vcc, 6, v4
	s_cbranch_vccz .LBB48_1570
; %bb.1569:
	s_waitcnt vmcnt(0)
	v_lshlrev_b32_e32 v0, 16, v1
	v_cvt_f64_f32_e32 v[6:7], v0
	s_mov_b64 s[8:9], 0
	global_store_dwordx2 v[2:3], v[6:7], off
.LBB48_1570:
	s_andn2_b64 vcc, exec, s[8:9]
	s_cbranch_vccnz .LBB48_1572
; %bb.1571:
	s_waitcnt vmcnt(0)
	v_lshlrev_b32_e32 v0, 16, v1
	global_store_dword v[2:3], v0, off
.LBB48_1572:
	s_mov_b64 s[8:9], 0
.LBB48_1573:
	s_andn2_b64 vcc, exec, s[8:9]
	s_cbranch_vccnz .LBB48_1575
; %bb.1574:
	s_waitcnt vmcnt(0)
	v_lshlrev_b32_e32 v0, 16, v1
	v_cvt_f16_f32_e32 v0, v0
	global_store_short v[2:3], v0, off
.LBB48_1575:
	s_mov_b64 s[8:9], 0
.LBB48_1576:
	s_andn2_b64 vcc, exec, s[8:9]
	s_cbranch_vccnz .LBB48_1592
; %bb.1577:
	v_cmp_gt_i16_e32 vcc, 2, v4
	s_mov_b64 s[8:9], -1
	s_cbranch_vccnz .LBB48_1587
; %bb.1578:
	v_cmp_gt_i16_e32 vcc, 3, v4
	s_cbranch_vccnz .LBB48_1584
; %bb.1579:
	v_cmp_lt_i16_e32 vcc, 3, v4
	s_cbranch_vccz .LBB48_1581
; %bb.1580:
	s_waitcnt vmcnt(0)
	v_lshlrev_b32_e32 v0, 16, v1
	v_trunc_f32_e32 v0, v0
	s_mov_b32 s8, 0x2f800000
	v_mul_f32_e64 v5, |v0|, s8
	v_floor_f32_e32 v5, v5
	s_mov_b32 s8, 0xcf800000
	v_cvt_u32_f32_e32 v6, v5
	v_fma_f32 v5, v5, s8, |v0|
	v_cvt_u32_f32_e32 v5, v5
	v_ashrrev_i32_e32 v0, 31, v0
	v_xor_b32_e32 v7, v6, v0
	s_mov_b64 s[8:9], 0
	v_xor_b32_e32 v5, v5, v0
	v_sub_co_u32_e32 v6, vcc, v5, v0
	v_subb_co_u32_e32 v7, vcc, v7, v0, vcc
	global_store_dwordx2 v[2:3], v[6:7], off
.LBB48_1581:
	s_andn2_b64 vcc, exec, s[8:9]
	s_cbranch_vccnz .LBB48_1583
; %bb.1582:
	s_waitcnt vmcnt(0)
	v_lshlrev_b32_e32 v0, 16, v1
	v_cvt_i32_f32_e32 v0, v0
	global_store_dword v[2:3], v0, off
.LBB48_1583:
	s_mov_b64 s[8:9], 0
.LBB48_1584:
	s_andn2_b64 vcc, exec, s[8:9]
	s_cbranch_vccnz .LBB48_1586
; %bb.1585:
	s_waitcnt vmcnt(0)
	v_lshlrev_b32_e32 v0, 16, v1
	v_cvt_i32_f32_e32 v0, v0
	global_store_short v[2:3], v0, off
.LBB48_1586:
	s_mov_b64 s[8:9], 0
.LBB48_1587:
	s_andn2_b64 vcc, exec, s[8:9]
	s_cbranch_vccnz .LBB48_1592
; %bb.1588:
	v_cmp_lt_i16_e32 vcc, 0, v4
	s_mov_b64 s[8:9], -1
	s_waitcnt vmcnt(0)
	v_lshlrev_b32_e32 v0, 16, v1
	s_cbranch_vccz .LBB48_1590
; %bb.1589:
	v_cvt_i32_f32_e32 v1, v0
	s_mov_b64 s[8:9], 0
	global_store_byte v[2:3], v1, off
.LBB48_1590:
	s_andn2_b64 vcc, exec, s[8:9]
	s_cbranch_vccnz .LBB48_1592
; %bb.1591:
	v_trunc_f32_e32 v0, v0
	s_mov_b32 s8, 0x2f800000
	v_mul_f32_e64 v1, |v0|, s8
	v_floor_f32_e32 v1, v1
	s_mov_b32 s8, 0xcf800000
	v_fma_f32 v1, v1, s8, |v0|
	v_cvt_u32_f32_e32 v1, v1
	v_ashrrev_i32_e32 v0, 31, v0
	v_xor_b32_e32 v1, v1, v0
	v_sub_u32_e32 v0, v1, v0
	global_store_byte v[2:3], v0, off
.LBB48_1592:
	s_or_b64 exec, exec, s[0:1]
	s_and_b64 s[12:13], s[10:11], exec
                                        ; implicit-def: $vgpr24
                                        ; implicit-def: $vgpr8
.LBB48_1593:
	s_or_saveexec_b64 s[14:15], s[22:23]
	s_mov_b64 s[0:1], 0
                                        ; implicit-def: $vgpr0_vgpr1
                                        ; implicit-def: $vgpr2
                                        ; implicit-def: $vgpr12
	s_xor_b64 exec, exec, s[14:15]
	s_cbranch_execz .LBB48_2685
; %bb.1594:
	v_cndmask_b32_e64 v0, 0, 1, s[20:21]
	v_cmp_ne_u32_e64 s[0:1], 1, v0
	s_andn2_b64 vcc, exec, s[20:21]
	s_cbranch_vccnz .LBB48_1600
; %bb.1595:
	s_cmp_lg_u32 s33, 0
	v_mov_b32_e32 v20, 0
	v_mov_b32_e32 v22, 0
	;; [unrolled: 1-line block ×3, first 2 shown]
	s_cbranch_scc0 .LBB48_1601
; %bb.1596:
	s_min_u32 s8, s68, 15
	s_add_i32 s6, s8, 1
	s_and_b32 s9, s6, 30
	s_add_u32 s6, s2, 0xffffffec
	s_addc_u32 s7, s3, -1
	v_mov_b32_e32 v6, 0
	s_waitcnt vmcnt(0)
	v_mov_b32_e32 v0, v8
	v_mov_b32_e32 v22, 0
	;; [unrolled: 1-line block ×3, first 2 shown]
.LBB48_1597:                            ; =>This Inner Loop Header: Depth=1
	s_mov_b64 s[10:11], s[6:7]
	s_load_dwordx4 s[16:19], s[10:11], 0x18
	s_load_dwordx2 s[24:25], s[10:11], 0x28
	s_load_dwordx2 s[26:27], s[10:11], 0xe8
	s_load_dwordx4 s[20:23], s[10:11], 0xd8
	s_add_u32 s6, s10, 24
	s_waitcnt lgkmcnt(0)
	v_mul_hi_u32 v1, s17, v0
	v_add_u32_e32 v1, v0, v1
	v_lshrrev_b32_e32 v1, s18, v1
	v_mul_lo_u32 v2, v1, s16
	v_mul_hi_u32 v3, s24, v1
	v_sub_u32_e32 v0, v0, v2
	v_add_u32_e32 v2, v1, v3
	v_mul_lo_u32 v3, v0, s20
	v_mul_lo_u32 v4, v0, s21
	v_mul_lo_u32 v5, v0, s22
	v_lshrrev_b32_e32 v0, s25, v2
	v_mul_lo_u32 v2, v0, s19
	v_sub_u32_e32 v1, v1, v2
	s_addc_u32 s7, s11, 0
	s_add_i32 s9, s9, -2
	v_mul_lo_u32 v2, v1, s23
	v_mul_lo_u32 v7, v1, s26
	;; [unrolled: 1-line block ×3, first 2 shown]
	s_cmp_lg_u32 s9, 0
	v_add3_u32 v6, v3, v6, v2
	v_add3_u32 v20, v5, v20, v1
	;; [unrolled: 1-line block ×3, first 2 shown]
	s_cbranch_scc1 .LBB48_1597
; %bb.1598:
	s_bitcmp1_b32 s8, 0
	s_cselect_b64 s[8:9], -1, 0
	s_and_b64 vcc, exec, s[8:9]
	s_cbranch_vccnz .LBB48_1601
; %bb.1599:
	s_load_dwordx2 s[8:9], s[6:7], 0x18
	s_load_dword s16, s[6:7], 0x20
	s_load_dword s17, s[6:7], 0xe0
	s_load_dwordx2 s[10:11], s[6:7], 0xd8
	s_waitcnt lgkmcnt(0)
	v_mul_hi_u32 v1, s9, v0
	v_add_u32_e32 v1, v0, v1
	v_lshrrev_b32_e32 v1, s16, v1
	v_mul_lo_u32 v1, v1, s8
	v_sub_u32_e32 v0, v0, v1
	v_mad_u64_u32 v[6:7], s[6:7], v0, s10, v[6:7]
	v_mad_u64_u32 v[22:23], s[6:7], v0, s11, v[22:23]
	;; [unrolled: 1-line block ×3, first 2 shown]
	s_cbranch_execz .LBB48_1602
	s_branch .LBB48_1604
.LBB48_1600:
                                        ; implicit-def: $vgpr20
                                        ; implicit-def: $vgpr22
                                        ; implicit-def: $vgpr6
	s_branch .LBB48_1602
.LBB48_1601:
	s_cbranch_execnz .LBB48_1604
.LBB48_1602:
	s_load_dwordx4 s[8:11], s[2:3], 0x4
	s_load_dwordx4 s[16:19], s[2:3], 0xc4
	s_cmp_lt_u32 s33, 2
	s_waitcnt vmcnt(0) lgkmcnt(0)
	v_mul_hi_u32 v0, s9, v8
	v_add_u32_e32 v0, v8, v0
	v_lshrrev_b32_e32 v0, s10, v0
	v_mul_lo_u32 v1, v0, s8
	v_sub_u32_e32 v1, v8, v1
	v_mul_lo_u32 v6, v1, s16
	v_mul_lo_u32 v20, v1, s18
	;; [unrolled: 1-line block ×3, first 2 shown]
	s_cbranch_scc1 .LBB48_1604
; %bb.1603:
	s_load_dwordx4 s[8:11], s[2:3], 0x10
	s_load_dwordx4 s[16:19], s[2:3], 0xd0
	s_waitcnt lgkmcnt(0)
	v_mul_hi_u32 v1, s9, v0
	v_add_u32_e32 v1, v0, v1
	v_lshrrev_b32_e32 v1, s10, v1
	v_mul_lo_u32 v1, v1, s8
	v_sub_u32_e32 v0, v0, v1
	v_mad_u64_u32 v[6:7], s[6:7], v0, s16, v[6:7]
	v_mad_u64_u32 v[22:23], s[6:7], v0, s17, v[22:23]
	;; [unrolled: 1-line block ×3, first 2 shown]
.LBB48_1604:
	s_and_b64 vcc, exec, s[0:1]
	s_waitcnt vmcnt(0)
	v_add_u32_e32 v0, 0x80, v8
	s_cbranch_vccnz .LBB48_1610
; %bb.1605:
	s_cmp_lg_u32 s33, 0
	v_mov_b32_e32 v16, 0
	v_mov_b32_e32 v18, 0
	;; [unrolled: 1-line block ×3, first 2 shown]
	s_cbranch_scc0 .LBB48_1611
; %bb.1606:
	s_min_u32 s8, s68, 15
	s_add_i32 s6, s8, 1
	s_and_b32 s9, s6, 30
	s_add_u32 s6, s2, 0xffffffec
	s_addc_u32 s7, s3, -1
	v_mov_b32_e32 v4, 0
	v_mov_b32_e32 v1, v0
	v_mov_b32_e32 v18, 0
	v_mov_b32_e32 v16, 0
.LBB48_1607:                            ; =>This Inner Loop Header: Depth=1
	s_mov_b64 s[10:11], s[6:7]
	s_load_dwordx4 s[16:19], s[10:11], 0x18
	s_load_dwordx2 s[24:25], s[10:11], 0x28
	s_load_dwordx2 s[26:27], s[10:11], 0xe8
	s_load_dwordx4 s[20:23], s[10:11], 0xd8
	s_add_u32 s6, s10, 24
	s_waitcnt lgkmcnt(0)
	v_mul_hi_u32 v2, s17, v1
	v_add_u32_e32 v2, v1, v2
	v_lshrrev_b32_e32 v2, s18, v2
	v_mul_lo_u32 v3, v2, s16
	v_mul_hi_u32 v5, s24, v2
	v_sub_u32_e32 v1, v1, v3
	v_add_u32_e32 v3, v2, v5
	v_mul_lo_u32 v5, v1, s20
	v_mul_lo_u32 v7, v1, s21
	;; [unrolled: 1-line block ×3, first 2 shown]
	v_lshrrev_b32_e32 v1, s25, v3
	v_mul_lo_u32 v3, v1, s19
	v_sub_u32_e32 v2, v2, v3
	s_addc_u32 s7, s11, 0
	s_add_i32 s9, s9, -2
	v_mul_lo_u32 v3, v2, s23
	v_mul_lo_u32 v10, v2, s26
	;; [unrolled: 1-line block ×3, first 2 shown]
	s_cmp_lg_u32 s9, 0
	v_add3_u32 v4, v5, v4, v3
	v_add3_u32 v16, v9, v16, v2
	;; [unrolled: 1-line block ×3, first 2 shown]
	s_cbranch_scc1 .LBB48_1607
; %bb.1608:
	s_bitcmp1_b32 s8, 0
	s_cselect_b64 s[8:9], -1, 0
	s_and_b64 vcc, exec, s[8:9]
	s_cbranch_vccnz .LBB48_1611
; %bb.1609:
	s_load_dwordx2 s[8:9], s[6:7], 0x18
	s_load_dword s16, s[6:7], 0x20
	s_load_dword s17, s[6:7], 0xe0
	s_load_dwordx2 s[10:11], s[6:7], 0xd8
	s_waitcnt lgkmcnt(0)
	v_mul_hi_u32 v2, s9, v1
	v_add_u32_e32 v2, v1, v2
	v_lshrrev_b32_e32 v2, s16, v2
	v_mul_lo_u32 v2, v2, s8
	v_sub_u32_e32 v1, v1, v2
	v_mad_u64_u32 v[4:5], s[6:7], v1, s10, v[4:5]
	v_mad_u64_u32 v[18:19], s[6:7], v1, s11, v[18:19]
	;; [unrolled: 1-line block ×3, first 2 shown]
	s_cbranch_execz .LBB48_1612
	s_branch .LBB48_1614
.LBB48_1610:
                                        ; implicit-def: $vgpr16
                                        ; implicit-def: $vgpr18
                                        ; implicit-def: $vgpr4
	s_branch .LBB48_1612
.LBB48_1611:
	s_cbranch_execnz .LBB48_1614
.LBB48_1612:
	s_load_dwordx4 s[8:11], s[2:3], 0x4
	s_load_dwordx4 s[16:19], s[2:3], 0xc4
	s_cmp_lt_u32 s33, 2
	s_waitcnt lgkmcnt(0)
	v_mul_hi_u32 v1, s9, v0
	v_add_u32_e32 v1, v0, v1
	v_lshrrev_b32_e32 v1, s10, v1
	v_mul_lo_u32 v2, v1, s8
	v_sub_u32_e32 v0, v0, v2
	v_mul_lo_u32 v4, v0, s16
	v_mul_lo_u32 v16, v0, s18
	;; [unrolled: 1-line block ×3, first 2 shown]
	s_cbranch_scc1 .LBB48_1614
; %bb.1613:
	s_load_dwordx4 s[8:11], s[2:3], 0x10
	s_load_dwordx4 s[16:19], s[2:3], 0xd0
	s_waitcnt lgkmcnt(0)
	v_mul_hi_u32 v0, s9, v1
	v_add_u32_e32 v0, v1, v0
	v_lshrrev_b32_e32 v0, s10, v0
	v_mul_lo_u32 v0, v0, s8
	v_sub_u32_e32 v0, v1, v0
	v_mad_u64_u32 v[4:5], s[6:7], v0, s16, v[4:5]
	v_mad_u64_u32 v[18:19], s[6:7], v0, s17, v[18:19]
	;; [unrolled: 1-line block ×3, first 2 shown]
.LBB48_1614:
	s_and_b64 vcc, exec, s[0:1]
	v_add_u32_e32 v0, 0x100, v8
	s_cbranch_vccnz .LBB48_1620
; %bb.1615:
	s_cmp_lg_u32 s33, 0
	v_mov_b32_e32 v12, 0
	v_mov_b32_e32 v14, 0
	;; [unrolled: 1-line block ×3, first 2 shown]
	s_cbranch_scc0 .LBB48_1621
; %bb.1616:
	s_min_u32 s8, s68, 15
	s_add_i32 s6, s8, 1
	s_and_b32 s9, s6, 30
	s_add_u32 s6, s2, 0xffffffec
	s_addc_u32 s7, s3, -1
	v_mov_b32_e32 v2, 0
	v_mov_b32_e32 v1, v0
	;; [unrolled: 1-line block ×4, first 2 shown]
.LBB48_1617:                            ; =>This Inner Loop Header: Depth=1
	s_mov_b64 s[10:11], s[6:7]
	s_load_dwordx4 s[16:19], s[10:11], 0x18
	s_load_dwordx2 s[24:25], s[10:11], 0x28
	s_load_dwordx2 s[26:27], s[10:11], 0xe8
	s_load_dwordx4 s[20:23], s[10:11], 0xd8
	s_add_u32 s6, s10, 24
	s_waitcnt lgkmcnt(0)
	v_mul_hi_u32 v3, s17, v1
	v_add_u32_e32 v3, v1, v3
	v_lshrrev_b32_e32 v3, s18, v3
	v_mul_lo_u32 v5, v3, s16
	v_mul_hi_u32 v7, s24, v3
	v_sub_u32_e32 v1, v1, v5
	v_add_u32_e32 v5, v3, v7
	v_mul_lo_u32 v7, v1, s20
	v_mul_lo_u32 v8, v1, s21
	;; [unrolled: 1-line block ×3, first 2 shown]
	v_lshrrev_b32_e32 v1, s25, v5
	v_mul_lo_u32 v5, v1, s19
	v_sub_u32_e32 v3, v3, v5
	s_addc_u32 s7, s11, 0
	s_add_i32 s9, s9, -2
	v_mul_lo_u32 v5, v3, s23
	v_mul_lo_u32 v10, v3, s26
	;; [unrolled: 1-line block ×3, first 2 shown]
	s_cmp_lg_u32 s9, 0
	v_add3_u32 v2, v7, v2, v5
	v_add3_u32 v12, v9, v12, v3
	;; [unrolled: 1-line block ×3, first 2 shown]
	s_cbranch_scc1 .LBB48_1617
; %bb.1618:
	s_bitcmp1_b32 s8, 0
	s_cselect_b64 s[8:9], -1, 0
	s_and_b64 vcc, exec, s[8:9]
	s_cbranch_vccnz .LBB48_1621
; %bb.1619:
	s_load_dwordx2 s[8:9], s[6:7], 0x18
	s_load_dword s16, s[6:7], 0x20
	s_load_dword s17, s[6:7], 0xe0
	s_load_dwordx2 s[10:11], s[6:7], 0xd8
	s_waitcnt lgkmcnt(0)
	v_mul_hi_u32 v3, s9, v1
	v_add_u32_e32 v3, v1, v3
	v_lshrrev_b32_e32 v3, s16, v3
	v_mul_lo_u32 v3, v3, s8
	v_sub_u32_e32 v1, v1, v3
	v_mad_u64_u32 v[2:3], s[6:7], v1, s10, v[2:3]
	v_mad_u64_u32 v[14:15], s[6:7], v1, s11, v[14:15]
	;; [unrolled: 1-line block ×3, first 2 shown]
	s_cbranch_execz .LBB48_1622
	s_branch .LBB48_1624
.LBB48_1620:
                                        ; implicit-def: $vgpr12
                                        ; implicit-def: $vgpr14
                                        ; implicit-def: $vgpr2
	s_branch .LBB48_1622
.LBB48_1621:
	s_cbranch_execnz .LBB48_1624
.LBB48_1622:
	s_load_dwordx4 s[8:11], s[2:3], 0x4
	s_load_dwordx4 s[16:19], s[2:3], 0xc4
	s_cmp_lt_u32 s33, 2
	s_waitcnt lgkmcnt(0)
	v_mul_hi_u32 v1, s9, v0
	v_add_u32_e32 v1, v0, v1
	v_lshrrev_b32_e32 v1, s10, v1
	v_mul_lo_u32 v2, v1, s8
	v_sub_u32_e32 v0, v0, v2
	v_mul_lo_u32 v2, v0, s16
	v_mul_lo_u32 v12, v0, s18
	;; [unrolled: 1-line block ×3, first 2 shown]
	s_cbranch_scc1 .LBB48_1624
; %bb.1623:
	s_load_dwordx4 s[8:11], s[2:3], 0x10
	s_load_dwordx4 s[16:19], s[2:3], 0xd0
	s_waitcnt lgkmcnt(0)
	v_mul_hi_u32 v0, s9, v1
	v_add_u32_e32 v0, v1, v0
	v_lshrrev_b32_e32 v0, s10, v0
	v_mul_lo_u32 v0, v0, s8
	v_sub_u32_e32 v0, v1, v0
	v_mad_u64_u32 v[2:3], s[6:7], v0, s16, v[2:3]
	v_mad_u64_u32 v[14:15], s[6:7], v0, s17, v[14:15]
	;; [unrolled: 1-line block ×3, first 2 shown]
.LBB48_1624:
	s_and_b64 vcc, exec, s[0:1]
	s_cbranch_vccnz .LBB48_1630
; %bb.1625:
	s_cmp_lg_u32 s33, 0
	v_mov_b32_e32 v8, 0
	v_mov_b32_e32 v10, 0
	;; [unrolled: 1-line block ×3, first 2 shown]
	s_cbranch_scc0 .LBB48_1631
; %bb.1626:
	s_min_u32 s6, s68, 15
	s_add_i32 s0, s6, 1
	s_and_b32 s7, s0, 30
	s_add_u32 s0, s2, 0xffffffec
	s_addc_u32 s1, s3, -1
	v_mov_b32_e32 v0, 0
	v_mov_b32_e32 v1, v24
	;; [unrolled: 1-line block ×4, first 2 shown]
.LBB48_1627:                            ; =>This Inner Loop Header: Depth=1
	s_mov_b64 s[20:21], s[0:1]
	s_load_dwordx4 s[8:11], s[20:21], 0x18
	s_load_dwordx2 s[22:23], s[20:21], 0x28
	s_load_dwordx2 s[24:25], s[20:21], 0xe8
	s_load_dwordx4 s[16:19], s[20:21], 0xd8
	s_add_u32 s0, s20, 24
	s_waitcnt lgkmcnt(0)
	v_mul_hi_u32 v3, s9, v1
	v_add_u32_e32 v3, v1, v3
	v_lshrrev_b32_e32 v3, s10, v3
	v_mul_lo_u32 v5, v3, s8
	v_mul_hi_u32 v7, s22, v3
	v_sub_u32_e32 v1, v1, v5
	v_add_u32_e32 v5, v3, v7
	v_mul_lo_u32 v7, v1, s16
	v_mul_lo_u32 v9, v1, s17
	;; [unrolled: 1-line block ×3, first 2 shown]
	v_lshrrev_b32_e32 v1, s23, v5
	v_mul_lo_u32 v5, v1, s11
	v_sub_u32_e32 v3, v3, v5
	s_addc_u32 s1, s21, 0
	s_add_i32 s7, s7, -2
	v_mul_lo_u32 v5, v3, s19
	v_mul_lo_u32 v13, v3, s24
	;; [unrolled: 1-line block ×3, first 2 shown]
	s_cmp_lg_u32 s7, 0
	v_add3_u32 v0, v7, v0, v5
	v_add3_u32 v8, v11, v8, v3
	v_add3_u32 v10, v9, v10, v13
	s_cbranch_scc1 .LBB48_1627
; %bb.1628:
	s_bitcmp1_b32 s6, 0
	s_cselect_b64 s[6:7], -1, 0
	s_and_b64 vcc, exec, s[6:7]
	s_cbranch_vccnz .LBB48_1631
; %bb.1629:
	s_load_dwordx2 s[6:7], s[0:1], 0x18
	s_load_dword s10, s[0:1], 0x20
	s_load_dword s11, s[0:1], 0xe0
	s_load_dwordx2 s[8:9], s[0:1], 0xd8
	s_waitcnt lgkmcnt(0)
	v_mul_hi_u32 v3, s7, v1
	v_add_u32_e32 v3, v1, v3
	v_lshrrev_b32_e32 v3, s10, v3
	v_mul_lo_u32 v3, v3, s6
	v_sub_u32_e32 v3, v1, v3
	v_mad_u64_u32 v[0:1], s[0:1], v3, s8, v[0:1]
	v_mad_u64_u32 v[10:11], s[0:1], v3, s9, v[10:11]
	;; [unrolled: 1-line block ×3, first 2 shown]
	s_cbranch_execz .LBB48_1632
	s_branch .LBB48_1634
.LBB48_1630:
                                        ; implicit-def: $vgpr8
                                        ; implicit-def: $vgpr10
                                        ; implicit-def: $vgpr0
	s_branch .LBB48_1632
.LBB48_1631:
	s_cbranch_execnz .LBB48_1634
.LBB48_1632:
	s_load_dwordx4 s[8:11], s[2:3], 0x4
	s_load_dwordx4 s[16:19], s[2:3], 0xc4
	s_cmp_lt_u32 s33, 2
	s_waitcnt lgkmcnt(0)
	v_mul_hi_u32 v0, s9, v24
	v_add_u32_e32 v0, v24, v0
	v_lshrrev_b32_e32 v1, s10, v0
	v_mul_lo_u32 v0, v1, s8
	v_sub_u32_e32 v3, v24, v0
	v_mul_lo_u32 v0, v3, s16
	v_mul_lo_u32 v8, v3, s18
	v_mul_lo_u32 v10, v3, s17
	s_cbranch_scc1 .LBB48_1634
; %bb.1633:
	s_load_dwordx4 s[8:11], s[2:3], 0x10
	s_load_dwordx4 s[16:19], s[2:3], 0xd0
	s_waitcnt lgkmcnt(0)
	v_mul_hi_u32 v3, s9, v1
	v_add_u32_e32 v3, v1, v3
	v_lshrrev_b32_e32 v3, s10, v3
	v_mul_lo_u32 v3, v3, s8
	v_sub_u32_e32 v3, v1, v3
	v_mad_u64_u32 v[0:1], s[0:1], v3, s16, v[0:1]
	v_mad_u64_u32 v[10:11], s[0:1], v3, s17, v[10:11]
	;; [unrolled: 1-line block ×3, first 2 shown]
.LBB48_1634:
	s_load_dword s24, s[4:5], 0x1a8
	s_load_dwordx4 s[8:11], s[2:3], 0x188
	s_waitcnt lgkmcnt(0)
	s_lshr_b32 s25, s24, 16
	v_mov_b32_e32 v1, s11
	v_add_co_u32_e32 v22, vcc, s10, v22
	v_addc_co_u32_e32 v23, vcc, 0, v1, vcc
	v_mov_b32_e32 v1, 11
	v_cmp_lt_i16_sdwa s[0:1], s25, v1 src0_sel:BYTE_0 src1_sel:DWORD
	s_and_b64 vcc, exec, s[0:1]
	s_cbranch_vccnz .LBB48_1641
; %bb.1635:
	v_mov_b32_e32 v1, 25
	v_cmp_gt_i16_sdwa s[0:1], s25, v1 src0_sel:BYTE_0 src1_sel:DWORD
	s_mov_b64 s[6:7], 0
	s_and_b64 vcc, exec, s[0:1]
	s_cbranch_vccz .LBB48_1643
; %bb.1636:
	v_mov_b32_e32 v1, 28
	v_cmp_gt_i16_sdwa s[0:1], s25, v1 src0_sel:BYTE_0 src1_sel:DWORD
	s_and_b64 vcc, exec, s[0:1]
	s_cbranch_vccz .LBB48_1644
; %bb.1637:
	v_mov_b32_e32 v1, 43
	v_cmp_gt_i16_sdwa s[0:1], s25, v1 src0_sel:BYTE_0 src1_sel:DWORD
	s_and_b64 vcc, exec, s[0:1]
	s_cbranch_vccz .LBB48_1645
; %bb.1638:
	v_mov_b32_e32 v1, 45
	v_cmp_gt_i16_sdwa s[0:1], s25, v1 src0_sel:BYTE_0 src1_sel:DWORD
	s_and_b64 vcc, exec, s[0:1]
	s_cbranch_vccz .LBB48_1646
; %bb.1639:
	v_mov_b32_e32 v1, 46
	v_cmp_eq_u16_sdwa s[0:1], s25, v1 src0_sel:BYTE_0 src1_sel:DWORD
	s_mov_b64 s[4:5], 0
	s_and_b64 vcc, exec, s[0:1]
	s_cbranch_vccz .LBB48_1649
; %bb.1640:
	global_load_dword v1, v[22:23], off
	s_mov_b64 s[0:1], 0
	s_mov_b64 s[16:17], -1
	s_branch .LBB48_1650
.LBB48_1641:
	s_mov_b64 s[16:17], 0
                                        ; implicit-def: $vgpr1
	s_mov_b64 s[4:5], s[12:13]
	s_cbranch_execnz .LBB48_1712
.LBB48_1642:
	s_andn2_b64 vcc, exec, s[16:17]
	s_cbranch_vccz .LBB48_1757
	s_branch .LBB48_2682
.LBB48_1643:
	s_mov_b64 s[16:17], 0
	s_mov_b64 s[0:1], 0
                                        ; implicit-def: $vgpr1
	s_cbranch_execnz .LBB48_1677
	s_branch .LBB48_1708
.LBB48_1644:
	s_mov_b64 s[16:17], 0
	s_mov_b64 s[0:1], 0
                                        ; implicit-def: $vgpr1
	s_cbranch_execz .LBB48_1676
	s_branch .LBB48_1659
.LBB48_1645:
	s_mov_b64 s[16:17], 0
	s_mov_b64 s[0:1], 0
                                        ; implicit-def: $vgpr1
	s_cbranch_execnz .LBB48_1655
	s_branch .LBB48_1658
.LBB48_1646:
	s_mov_b64 s[4:5], -1
	s_mov_b64 s[16:17], 0
	s_mov_b64 s[0:1], 0
                                        ; implicit-def: $vgpr1
	s_branch .LBB48_1650
.LBB48_1647:
	s_or_saveexec_b64 s[16:17], s[16:17]
                                        ; implicit-def: $sgpr18
	s_xor_b64 exec, exec, s[16:17]
	s_cbranch_execz .LBB48_1506
.LBB48_1648:
	s_mov_b32 s18, 0x46000000
	v_add_f32_e64 v5, |v6|, s18
	v_and_b32_e32 v5, 0xff, v5
	v_cmp_ne_u32_e32 vcc, 0, v5
	s_andn2_b64 s[14:15], s[14:15], exec
	s_and_b64 s[24:25], vcc, exec
	s_mov_b32 s18, 0
	s_or_b64 s[14:15], s[14:15], s[24:25]
	s_or_b64 exec, exec, s[16:17]
	v_mov_b32_e32 v7, s18
	s_and_saveexec_b64 s[16:17], s[14:15]
	s_cbranch_execnz .LBB48_1507
	s_branch .LBB48_1508
.LBB48_1649:
	s_mov_b64 s[0:1], -1
                                        ; implicit-def: $vgpr1
	s_mov_b64 s[16:17], 0
.LBB48_1650:
	s_and_b64 vcc, exec, s[4:5]
	s_cbranch_vccz .LBB48_1653
; %bb.1651:
	s_waitcnt vmcnt(0)
	v_mov_b32_e32 v1, 44
	v_cmp_eq_u16_sdwa s[0:1], s25, v1 src0_sel:BYTE_0 src1_sel:DWORD
	s_and_b64 vcc, exec, s[0:1]
	s_cbranch_vccz .LBB48_1654
; %bb.1652:
	global_load_ubyte v1, v[22:23], off
	s_movk_i32 s4, 0xff
	v_mov_b32_e32 v3, 0x7f800001
	v_mov_b32_e32 v5, 0x400000
	;; [unrolled: 1-line block ×3, first 2 shown]
	s_mov_b64 s[0:1], 0
	s_mov_b64 s[16:17], -1
	s_waitcnt vmcnt(0)
	v_lshlrev_b32_e32 v9, 23, v1
	v_cmp_ne_u32_e32 vcc, s4, v1
	v_cndmask_b32_e32 v3, v3, v9, vcc
	v_cmp_ne_u32_e32 vcc, 0, v1
	v_cndmask_b32_e32 v1, v5, v3, vcc
	v_add_u32_e32 v3, 0x7fff, v1
	v_lshrrev_b32_e32 v3, 16, v3
	v_cmp_o_f32_e32 vcc, v1, v1
	v_cndmask_b32_e32 v1, v7, v3, vcc
.LBB48_1653:
	s_branch .LBB48_1658
.LBB48_1654:
	s_mov_b64 s[0:1], -1
                                        ; implicit-def: $vgpr1
	s_branch .LBB48_1658
.LBB48_1655:
	s_waitcnt vmcnt(0)
	v_mov_b32_e32 v1, 29
	v_cmp_eq_u16_sdwa s[0:1], s25, v1 src0_sel:BYTE_0 src1_sel:DWORD
	s_and_b64 vcc, exec, s[0:1]
	s_cbranch_vccz .LBB48_1657
; %bb.1656:
	global_load_dwordx2 v[24:25], v[22:23], off
	s_movk_i32 s4, 0x7fff
	s_mov_b64 s[0:1], 0
	s_mov_b64 s[16:17], -1
	s_waitcnt vmcnt(0)
	v_ffbh_u32_e32 v1, v25
	v_min_u32_e32 v1, 32, v1
	v_lshlrev_b64 v[24:25], v1, v[24:25]
	v_min_u32_e32 v3, 1, v24
	v_or_b32_e32 v3, v25, v3
	v_cvt_f32_u32_e32 v3, v3
	v_sub_u32_e32 v1, 32, v1
	v_ldexp_f32 v1, v3, v1
	v_bfe_u32 v3, v1, 16, 1
	v_add3_u32 v1, v1, v3, s4
	v_lshrrev_b32_e32 v1, 16, v1
	s_branch .LBB48_1658
.LBB48_1657:
	s_mov_b64 s[0:1], -1
                                        ; implicit-def: $vgpr1
.LBB48_1658:
	s_branch .LBB48_1676
.LBB48_1659:
	s_waitcnt vmcnt(0)
	v_mov_b32_e32 v1, 27
	v_cmp_lt_i16_sdwa s[4:5], s25, v1 src0_sel:BYTE_0 src1_sel:DWORD
	s_and_b64 vcc, exec, s[4:5]
	s_cbranch_vccnz .LBB48_1662
; %bb.1660:
	v_cmp_gt_i16_sdwa s[4:5], s25, v1 src0_sel:BYTE_0 src1_sel:DWORD
	s_and_b64 vcc, exec, s[4:5]
	s_cbranch_vccz .LBB48_1663
; %bb.1661:
	global_load_dword v1, v[22:23], off
	s_movk_i32 s4, 0x7fff
	s_waitcnt vmcnt(0)
	v_cvt_f32_u32_e32 v1, v1
	v_bfe_u32 v3, v1, 16, 1
	v_add3_u32 v1, v1, v3, s4
	v_lshrrev_b32_e32 v1, 16, v1
	s_mov_b64 s[4:5], 0
	s_branch .LBB48_1664
.LBB48_1662:
	s_mov_b64 s[4:5], -1
                                        ; implicit-def: $vgpr1
	s_branch .LBB48_1667
.LBB48_1663:
	s_mov_b64 s[4:5], -1
                                        ; implicit-def: $vgpr1
.LBB48_1664:
	s_andn2_b64 vcc, exec, s[4:5]
	s_cbranch_vccnz .LBB48_1666
; %bb.1665:
	global_load_ushort v1, v[22:23], off
	s_movk_i32 s4, 0x7fff
	s_waitcnt vmcnt(0)
	v_cvt_f32_u32_e32 v1, v1
	v_bfe_u32 v3, v1, 16, 1
	v_add3_u32 v1, v1, v3, s4
	v_lshrrev_b32_e32 v1, 16, v1
.LBB48_1666:
	s_mov_b64 s[4:5], 0
.LBB48_1667:
	s_andn2_b64 vcc, exec, s[4:5]
	s_cbranch_vccnz .LBB48_1675
; %bb.1668:
	global_load_ubyte v1, v[22:23], off
	s_movk_i32 s4, 0x7f
                                        ; implicit-def: $sgpr20
	s_waitcnt vmcnt(0)
	v_cmp_lt_i16_e32 vcc, s4, v1
	s_mov_b64 s[4:5], 0
	s_and_saveexec_b64 s[16:17], vcc
	s_xor_b64 s[16:17], exec, s[16:17]
	s_cbranch_execz .LBB48_1688
; %bb.1669:
	s_movk_i32 s4, 0x80
	v_cmp_eq_u16_e32 vcc, s4, v1
	s_mov_b64 s[4:5], -1
                                        ; implicit-def: $sgpr20
	s_and_saveexec_b64 s[18:19], vcc
; %bb.1670:
	s_mov_b32 s20, 0x7f800001
	s_xor_b64 s[4:5], exec, -1
; %bb.1671:
	s_or_b64 exec, exec, s[18:19]
	s_and_b64 s[4:5], s[4:5], exec
	s_or_saveexec_b64 s[16:17], s[16:17]
	v_mov_b32_e32 v3, s20
	s_xor_b64 exec, exec, s[16:17]
	s_cbranch_execnz .LBB48_1689
.LBB48_1672:
	s_or_b64 exec, exec, s[16:17]
	s_and_saveexec_b64 s[16:17], s[4:5]
	s_cbranch_execz .LBB48_1674
.LBB48_1673:
	v_lshlrev_b32_e32 v3, 24, v1
	v_and_b32_e32 v1, 0xffff, v1
	v_and_b32_e32 v5, 7, v1
	v_ffbh_u32_e32 v9, v5
	v_min_u32_e32 v9, 32, v9
	v_subrev_u32_e32 v11, 28, v9
	v_bfe_u32 v7, v1, 3, 4
	v_lshlrev_b32_e32 v1, v11, v1
	v_sub_u32_e32 v9, 29, v9
	v_and_b32_e32 v1, 7, v1
	v_cmp_eq_u32_e32 vcc, 0, v7
	v_cndmask_b32_e32 v7, v7, v9, vcc
	v_cndmask_b32_e32 v1, v5, v1, vcc
	v_mov_b32_e32 v5, 0x3b800000
	v_lshlrev_b32_e32 v1, 20, v1
	v_and_b32_e32 v3, 0x80000000, v3
	v_lshl_add_u32 v5, v7, 23, v5
	v_or3_b32 v3, v3, v5, v1
.LBB48_1674:
	s_or_b64 exec, exec, s[16:17]
	v_bfe_u32 v1, v3, 16, 1
	s_movk_i32 s4, 0x7fff
	v_add3_u32 v1, v3, v1, s4
	v_lshrrev_b32_e32 v1, 16, v1
	v_mov_b32_e32 v5, 0x7fc0
	v_cmp_o_f32_e32 vcc, v3, v3
	v_cndmask_b32_e32 v1, v5, v1, vcc
.LBB48_1675:
	s_mov_b64 s[16:17], -1
.LBB48_1676:
	s_branch .LBB48_1708
.LBB48_1677:
	s_waitcnt vmcnt(0)
	v_mov_b32_e32 v1, 22
	v_cmp_gt_i16_sdwa s[4:5], s25, v1 src0_sel:BYTE_0 src1_sel:DWORD
	s_and_b64 vcc, exec, s[4:5]
	s_cbranch_vccz .LBB48_1687
; %bb.1678:
	v_mov_b32_e32 v1, 24
	v_cmp_lt_i16_sdwa s[4:5], s25, v1 src0_sel:BYTE_0 src1_sel:DWORD
	s_and_b64 vcc, exec, s[4:5]
	s_cbranch_vccnz .LBB48_1690
; %bb.1679:
	v_cmp_gt_i16_sdwa s[4:5], s25, v1 src0_sel:BYTE_0 src1_sel:DWORD
	s_and_b64 vcc, exec, s[4:5]
	s_cbranch_vccz .LBB48_1691
; %bb.1680:
	global_load_ubyte v1, v[22:23], off
	s_movk_i32 s4, 0x7f
                                        ; implicit-def: $sgpr18
	s_waitcnt vmcnt(0)
	v_cmp_lt_i16_e32 vcc, s4, v1
	s_mov_b64 s[4:5], 0
	s_and_saveexec_b64 s[6:7], vcc
	s_xor_b64 s[6:7], exec, s[6:7]
	s_cbranch_execz .LBB48_1702
; %bb.1681:
	s_movk_i32 s4, 0x80
	v_cmp_eq_u16_e32 vcc, s4, v1
	s_mov_b64 s[4:5], -1
                                        ; implicit-def: $sgpr18
	s_and_saveexec_b64 s[16:17], vcc
; %bb.1682:
	s_mov_b32 s18, 0x7f800001
	s_xor_b64 s[4:5], exec, -1
; %bb.1683:
	s_or_b64 exec, exec, s[16:17]
	s_and_b64 s[4:5], s[4:5], exec
	s_or_saveexec_b64 s[6:7], s[6:7]
	v_mov_b32_e32 v3, s18
	s_xor_b64 exec, exec, s[6:7]
	s_cbranch_execnz .LBB48_1703
.LBB48_1684:
	s_or_b64 exec, exec, s[6:7]
	s_and_saveexec_b64 s[6:7], s[4:5]
	s_cbranch_execz .LBB48_1686
.LBB48_1685:
	v_lshlrev_b32_e32 v3, 24, v1
	v_and_b32_e32 v1, 0xffff, v1
	v_and_b32_e32 v5, 3, v1
	v_ffbh_u32_e32 v9, v5
	v_min_u32_e32 v9, 32, v9
	v_subrev_u32_e32 v11, 29, v9
	v_bfe_u32 v7, v1, 2, 5
	v_lshlrev_b32_e32 v1, v11, v1
	v_sub_u32_e32 v9, 30, v9
	v_and_b32_e32 v1, 3, v1
	v_cmp_eq_u32_e32 vcc, 0, v7
	v_cndmask_b32_e32 v7, v7, v9, vcc
	v_cndmask_b32_e32 v1, v5, v1, vcc
	v_mov_b32_e32 v5, 0x37800000
	v_lshlrev_b32_e32 v1, 21, v1
	v_and_b32_e32 v3, 0x80000000, v3
	v_lshl_add_u32 v5, v7, 23, v5
	v_or3_b32 v3, v3, v5, v1
.LBB48_1686:
	s_or_b64 exec, exec, s[6:7]
	v_bfe_u32 v1, v3, 16, 1
	s_movk_i32 s4, 0x7fff
	v_add3_u32 v1, v3, v1, s4
	v_lshrrev_b32_e32 v1, 16, v1
	v_mov_b32_e32 v5, 0x7fc0
	v_cmp_o_f32_e32 vcc, v3, v3
	v_cndmask_b32_e32 v1, v5, v1, vcc
	s_mov_b64 s[4:5], 0
	s_branch .LBB48_1692
.LBB48_1687:
                                        ; implicit-def: $vgpr1
	s_mov_b64 s[6:7], 0
	s_branch .LBB48_1698
.LBB48_1688:
	s_or_saveexec_b64 s[16:17], s[16:17]
	v_mov_b32_e32 v3, s20
	s_xor_b64 exec, exec, s[16:17]
	s_cbranch_execz .LBB48_1672
.LBB48_1689:
	v_cmp_ne_u16_e32 vcc, 0, v1
	s_andn2_b64 s[4:5], s[4:5], exec
	s_and_b64 s[18:19], vcc, exec
	v_mov_b32_e32 v3, 0
	s_or_b64 s[4:5], s[4:5], s[18:19]
	s_or_b64 exec, exec, s[16:17]
	s_and_saveexec_b64 s[16:17], s[4:5]
	s_cbranch_execnz .LBB48_1673
	s_branch .LBB48_1674
.LBB48_1690:
	s_mov_b64 s[4:5], -1
                                        ; implicit-def: $vgpr1
	s_branch .LBB48_1695
.LBB48_1691:
	s_mov_b64 s[4:5], -1
                                        ; implicit-def: $vgpr1
.LBB48_1692:
	s_and_b64 vcc, exec, s[4:5]
	s_cbranch_vccz .LBB48_1694
; %bb.1693:
	global_load_ubyte v1, v[22:23], off
	s_mov_b32 s4, 0x7f800000
	s_brev_b32 s5, 1
	s_movk_i32 s6, 0x7fff
	v_mov_b32_e32 v3, 0x7fc0
	s_waitcnt vmcnt(0)
	v_lshlrev_b32_e32 v1, 24, v1
	v_and_b32_e32 v5, 0x7f000000, v1
	v_ffbh_u32_e32 v7, v5
	v_min_u32_e32 v7, 32, v7
	v_sub_u32_e64 v7, v7, 4 clamp
	v_lshlrev_b32_e32 v11, v7, v5
	v_lshlrev_b32_e32 v7, 23, v7
	v_lshrrev_b32_e32 v11, 4, v11
	v_add_u32_e32 v9, 0x1000000, v5
	v_sub_u32_e32 v7, v11, v7
	v_ashrrev_i32_e32 v9, 8, v9
	v_add_u32_e32 v7, 0x3c000000, v7
	v_and_or_b32 v7, v9, s4, v7
	v_cmp_ne_u32_e32 vcc, 0, v5
	v_cndmask_b32_e32 v5, 0, v7, vcc
	v_and_or_b32 v1, v1, s5, v5
	v_bfe_u32 v5, v5, 16, 1
	v_add3_u32 v5, v1, v5, s6
	v_lshrrev_b32_e32 v5, 16, v5
	v_cmp_o_f32_e32 vcc, v1, v1
	v_cndmask_b32_e32 v1, v3, v5, vcc
.LBB48_1694:
	s_mov_b64 s[4:5], 0
.LBB48_1695:
	s_andn2_b64 vcc, exec, s[4:5]
	s_cbranch_vccnz .LBB48_1697
; %bb.1696:
	global_load_ubyte v1, v[22:23], off
	s_movk_i32 s4, 0x7f00
	s_brev_b32 s5, 16
	s_brev_b32 s6, 1
	s_movk_i32 s7, 0x7fff
	v_mov_b32_e32 v3, 0x7fc0
	s_waitcnt vmcnt(0)
	v_lshlrev_b16_e32 v5, 8, v1
	v_lshlrev_b32_e32 v1, 25, v1
	v_lshrrev_b32_e32 v7, 4, v1
	v_and_or_b32 v9, v5, s4, 0.5
	v_or_b32_e32 v7, 0x70000000, v7
	v_add_f32_e32 v9, -0.5, v9
	v_mul_f32_e32 v7, 0x7800000, v7
	v_cmp_gt_u32_e32 vcc, s5, v1
	v_bfe_i32 v5, v5, 0, 16
	v_cndmask_b32_e32 v1, v7, v9, vcc
	v_and_or_b32 v5, v5, s6, v1
	v_bfe_u32 v1, v1, 16, 1
	v_add3_u32 v1, v5, v1, s7
	v_lshrrev_b32_e32 v1, 16, v1
	v_cmp_o_f32_e32 vcc, v5, v5
	v_cndmask_b32_e32 v1, v3, v1, vcc
.LBB48_1697:
	s_mov_b64 s[16:17], -1
	s_mov_b64 s[6:7], 0
	s_cbranch_execnz .LBB48_1708
.LBB48_1698:
	v_mov_b32_e32 v1, 14
	v_cmp_gt_i16_sdwa s[4:5], s25, v1 src0_sel:BYTE_0 src1_sel:DWORD
	s_and_b64 vcc, exec, s[4:5]
	s_cbranch_vccz .LBB48_1701
; %bb.1699:
	v_mov_b32_e32 v1, 15
	v_cmp_eq_u16_sdwa s[0:1], s25, v1 src0_sel:BYTE_0 src1_sel:DWORD
	s_and_b64 vcc, exec, s[0:1]
	s_cbranch_vccz .LBB48_1704
; %bb.1700:
	global_load_ushort v1, v[22:23], off
	s_mov_b64 s[0:1], 0
	s_mov_b64 s[16:17], -1
	s_branch .LBB48_1705
.LBB48_1701:
	s_mov_b64 s[4:5], -1
                                        ; implicit-def: $vgpr1
	s_branch .LBB48_1706
.LBB48_1702:
	s_or_saveexec_b64 s[6:7], s[6:7]
	v_mov_b32_e32 v3, s18
	s_xor_b64 exec, exec, s[6:7]
	s_cbranch_execz .LBB48_1684
.LBB48_1703:
	v_cmp_ne_u16_e32 vcc, 0, v1
	s_andn2_b64 s[4:5], s[4:5], exec
	s_and_b64 s[16:17], vcc, exec
	v_mov_b32_e32 v3, 0
	s_or_b64 s[4:5], s[4:5], s[16:17]
	s_or_b64 exec, exec, s[6:7]
	s_and_saveexec_b64 s[6:7], s[4:5]
	s_cbranch_execnz .LBB48_1685
	s_branch .LBB48_1686
.LBB48_1704:
	s_mov_b64 s[0:1], -1
                                        ; implicit-def: $vgpr1
.LBB48_1705:
	s_mov_b64 s[4:5], 0
.LBB48_1706:
	s_and_b64 vcc, exec, s[4:5]
	s_cbranch_vccz .LBB48_1708
; %bb.1707:
	s_waitcnt vmcnt(0)
	v_mov_b32_e32 v1, 11
	v_cmp_ne_u16_sdwa s[0:1], s25, v1 src0_sel:BYTE_0 src1_sel:DWORD
	s_mov_b64 s[6:7], -1
                                        ; implicit-def: $vgpr1
.LBB48_1708:
	s_and_b64 vcc, exec, s[0:1]
	s_mov_b64 s[4:5], s[12:13]
	s_cbranch_vccnz .LBB48_1769
; %bb.1709:
	s_andn2_b64 vcc, exec, s[6:7]
	s_cbranch_vccnz .LBB48_1711
.LBB48_1710:
	global_load_ubyte v1, v[22:23], off
	s_mov_b64 s[16:17], -1
	s_waitcnt vmcnt(0)
	v_cmp_ne_u16_e32 vcc, 0, v1
	v_cndmask_b32_e64 v1, 0, 1.0, vcc
	v_lshrrev_b32_e32 v1, 16, v1
.LBB48_1711:
	s_branch .LBB48_1642
.LBB48_1712:
	s_waitcnt vmcnt(0)
	v_mov_b32_e32 v1, 5
	v_cmp_lt_i16_sdwa s[0:1], s25, v1 src0_sel:BYTE_0 src1_sel:DWORD
	s_and_b64 vcc, exec, s[0:1]
	s_cbranch_vccnz .LBB48_1717
; %bb.1713:
	v_mov_b32_e32 v1, 8
	v_cmp_lt_i16_sdwa s[0:1], s25, v1 src0_sel:BYTE_0 src1_sel:DWORD
	s_and_b64 vcc, exec, s[0:1]
	s_cbranch_vccnz .LBB48_1718
; %bb.1714:
	;; [unrolled: 5-line block ×3, first 2 shown]
	v_cmp_gt_i16_sdwa s[0:1], s25, v1 src0_sel:BYTE_0 src1_sel:DWORD
	s_and_b64 vcc, exec, s[0:1]
	s_cbranch_vccz .LBB48_1720
; %bb.1716:
	global_load_dwordx2 v[24:25], v[22:23], off
	s_movk_i32 s0, 0x7fff
	v_mov_b32_e32 v1, 0x7fc0
	s_waitcnt vmcnt(0)
	v_cvt_f32_f64_e32 v3, v[24:25]
	v_bfe_u32 v5, v3, 16, 1
	v_add3_u32 v5, v3, v5, s0
	v_lshrrev_b32_e32 v5, 16, v5
	v_cmp_o_f32_e32 vcc, v3, v3
	v_cndmask_b32_e32 v1, v1, v5, vcc
	s_mov_b64 s[0:1], 0
	s_branch .LBB48_1721
.LBB48_1717:
                                        ; implicit-def: $vgpr1
	s_branch .LBB48_1738
.LBB48_1718:
                                        ; implicit-def: $vgpr1
	s_branch .LBB48_1727
.LBB48_1719:
	s_mov_b64 s[0:1], -1
                                        ; implicit-def: $vgpr1
	s_branch .LBB48_1724
.LBB48_1720:
	s_mov_b64 s[0:1], -1
                                        ; implicit-def: $vgpr1
.LBB48_1721:
	s_andn2_b64 vcc, exec, s[0:1]
	s_cbranch_vccnz .LBB48_1723
; %bb.1722:
	global_load_dword v1, v[22:23], off
	s_movk_i32 s0, 0x7fff
	v_mov_b32_e32 v3, 0x7fc0
	s_waitcnt vmcnt(0)
	v_bfe_u32 v5, v1, 16, 1
	v_add3_u32 v5, v1, v5, s0
	v_lshrrev_b32_e32 v5, 16, v5
	v_cmp_o_f32_e32 vcc, v1, v1
	v_cndmask_b32_e32 v1, v3, v5, vcc
.LBB48_1723:
	s_mov_b64 s[0:1], 0
.LBB48_1724:
	s_andn2_b64 vcc, exec, s[0:1]
	s_cbranch_vccnz .LBB48_1726
; %bb.1725:
	global_load_dword v1, v[22:23], off
	s_movk_i32 s0, 0x7fff
	v_mov_b32_e32 v5, 0x7fc0
	s_waitcnt vmcnt(0)
	v_cvt_f32_f16_e32 v3, v1
	v_cmp_o_f16_e32 vcc, v1, v1
	v_bfe_u32 v7, v3, 16, 1
	v_add3_u32 v3, v3, v7, s0
	v_lshrrev_b32_e32 v3, 16, v3
	v_cndmask_b32_e32 v1, v5, v3, vcc
.LBB48_1726:
	s_cbranch_execnz .LBB48_1737
.LBB48_1727:
	v_mov_b32_e32 v1, 6
	v_cmp_lt_i16_sdwa s[0:1], s25, v1 src0_sel:BYTE_0 src1_sel:DWORD
	s_and_b64 vcc, exec, s[0:1]
	s_cbranch_vccnz .LBB48_1730
; %bb.1728:
	v_cmp_gt_i16_sdwa s[0:1], s25, v1 src0_sel:BYTE_0 src1_sel:DWORD
	s_and_b64 vcc, exec, s[0:1]
	s_cbranch_vccz .LBB48_1731
; %bb.1729:
	global_load_dwordx2 v[24:25], v[22:23], off
	s_movk_i32 s0, 0x7fff
	v_mov_b32_e32 v1, 0x7fc0
	s_waitcnt vmcnt(0)
	v_cvt_f32_f64_e32 v3, v[24:25]
	v_bfe_u32 v5, v3, 16, 1
	v_add3_u32 v5, v3, v5, s0
	v_lshrrev_b32_e32 v5, 16, v5
	v_cmp_o_f32_e32 vcc, v3, v3
	v_cndmask_b32_e32 v1, v1, v5, vcc
	s_mov_b64 s[0:1], 0
	s_branch .LBB48_1732
.LBB48_1730:
	s_mov_b64 s[0:1], -1
                                        ; implicit-def: $vgpr1
	s_branch .LBB48_1735
.LBB48_1731:
	s_mov_b64 s[0:1], -1
                                        ; implicit-def: $vgpr1
.LBB48_1732:
	s_andn2_b64 vcc, exec, s[0:1]
	s_cbranch_vccnz .LBB48_1734
; %bb.1733:
	global_load_dword v1, v[22:23], off
	s_movk_i32 s0, 0x7fff
	v_mov_b32_e32 v3, 0x7fc0
	s_waitcnt vmcnt(0)
	v_bfe_u32 v5, v1, 16, 1
	v_add3_u32 v5, v1, v5, s0
	v_lshrrev_b32_e32 v5, 16, v5
	v_cmp_o_f32_e32 vcc, v1, v1
	v_cndmask_b32_e32 v1, v3, v5, vcc
.LBB48_1734:
	s_mov_b64 s[0:1], 0
.LBB48_1735:
	s_andn2_b64 vcc, exec, s[0:1]
	s_cbranch_vccnz .LBB48_1737
; %bb.1736:
	global_load_ushort v1, v[22:23], off
	s_movk_i32 s0, 0x7fff
	v_mov_b32_e32 v5, 0x7fc0
	s_waitcnt vmcnt(0)
	v_cvt_f32_f16_e32 v3, v1
	v_cmp_o_f16_e32 vcc, v1, v1
	v_bfe_u32 v7, v3, 16, 1
	v_add3_u32 v3, v3, v7, s0
	v_lshrrev_b32_e32 v3, 16, v3
	v_cndmask_b32_e32 v1, v5, v3, vcc
.LBB48_1737:
	s_cbranch_execnz .LBB48_1756
.LBB48_1738:
	v_mov_b32_e32 v1, 2
	v_cmp_lt_i16_sdwa s[0:1], s25, v1 src0_sel:BYTE_0 src1_sel:DWORD
	s_and_b64 vcc, exec, s[0:1]
	s_cbranch_vccnz .LBB48_1742
; %bb.1739:
	v_mov_b32_e32 v1, 3
	v_cmp_lt_i16_sdwa s[0:1], s25, v1 src0_sel:BYTE_0 src1_sel:DWORD
	s_and_b64 vcc, exec, s[0:1]
	s_cbranch_vccnz .LBB48_1743
; %bb.1740:
	v_cmp_gt_i16_sdwa s[0:1], s25, v1 src0_sel:BYTE_0 src1_sel:DWORD
	s_and_b64 vcc, exec, s[0:1]
	s_cbranch_vccz .LBB48_1744
; %bb.1741:
	global_load_dwordx2 v[24:25], v[22:23], off
	s_movk_i32 s0, 0x7fff
	s_waitcnt vmcnt(0)
	v_xor_b32_e32 v3, v24, v25
	v_ffbh_i32_e32 v1, v25
	v_ashrrev_i32_e32 v3, 31, v3
	v_add_u32_e32 v1, -1, v1
	v_add_u32_e32 v3, 32, v3
	v_min_u32_e32 v1, v1, v3
	v_lshlrev_b64 v[24:25], v1, v[24:25]
	v_min_u32_e32 v3, 1, v24
	v_or_b32_e32 v3, v25, v3
	v_cvt_f32_i32_e32 v3, v3
	v_sub_u32_e32 v1, 32, v1
	v_ldexp_f32 v1, v3, v1
	v_bfe_u32 v3, v1, 16, 1
	v_add3_u32 v1, v1, v3, s0
	v_lshrrev_b32_e32 v1, 16, v1
	s_mov_b64 s[0:1], 0
	s_branch .LBB48_1745
.LBB48_1742:
                                        ; implicit-def: $vgpr1
	s_branch .LBB48_1751
.LBB48_1743:
	s_mov_b64 s[0:1], -1
                                        ; implicit-def: $vgpr1
	s_branch .LBB48_1748
.LBB48_1744:
	s_mov_b64 s[0:1], -1
                                        ; implicit-def: $vgpr1
.LBB48_1745:
	s_andn2_b64 vcc, exec, s[0:1]
	s_cbranch_vccnz .LBB48_1747
; %bb.1746:
	global_load_dword v1, v[22:23], off
	s_movk_i32 s0, 0x7fff
	s_waitcnt vmcnt(0)
	v_cvt_f32_i32_e32 v1, v1
	v_bfe_u32 v3, v1, 16, 1
	v_add3_u32 v1, v1, v3, s0
	v_lshrrev_b32_e32 v1, 16, v1
.LBB48_1747:
	s_mov_b64 s[0:1], 0
.LBB48_1748:
	s_andn2_b64 vcc, exec, s[0:1]
	s_cbranch_vccnz .LBB48_1750
; %bb.1749:
	global_load_sshort v1, v[22:23], off
	s_movk_i32 s0, 0x7fff
	s_waitcnt vmcnt(0)
	v_cvt_f32_i32_e32 v1, v1
	v_bfe_u32 v3, v1, 16, 1
	v_add3_u32 v1, v1, v3, s0
	v_lshrrev_b32_e32 v1, 16, v1
.LBB48_1750:
	s_cbranch_execnz .LBB48_1756
.LBB48_1751:
	v_mov_b32_e32 v1, 0
	v_cmp_gt_i16_sdwa s[0:1], s25, v1 src0_sel:BYTE_0 src1_sel:DWORD
	s_and_b64 vcc, exec, s[0:1]
	s_cbranch_vccz .LBB48_1753
; %bb.1752:
	global_load_sbyte v1, v[22:23], off
	s_movk_i32 s0, 0x7fff
	s_waitcnt vmcnt(0)
	v_cvt_f32_i32_e32 v1, v1
	v_bfe_u32 v3, v1, 16, 1
	v_add3_u32 v1, v1, v3, s0
	v_lshrrev_b32_e32 v1, 16, v1
	s_mov_b64 s[0:1], 0
	s_branch .LBB48_1754
.LBB48_1753:
	s_mov_b64 s[0:1], -1
                                        ; implicit-def: $vgpr1
.LBB48_1754:
	s_andn2_b64 vcc, exec, s[0:1]
	s_cbranch_vccnz .LBB48_1756
; %bb.1755:
	global_load_ubyte v1, v[22:23], off
	s_movk_i32 s0, 0x7fff
	s_waitcnt vmcnt(0)
	v_cvt_f32_ubyte0_e32 v1, v1
	v_bfe_u32 v3, v1, 16, 1
	v_add3_u32 v1, v1, v3, s0
	v_lshrrev_b32_e32 v1, 16, v1
.LBB48_1756:
.LBB48_1757:
	s_load_dwordx2 s[0:1], s[2:3], 0x198
	s_lshr_b32 s26, s24, 24
	v_cmp_lt_i16_e64 s[2:3], s26, 11
	s_waitcnt lgkmcnt(0)
	v_mov_b32_e32 v3, s1
	v_add_co_u32_e32 v20, vcc, s0, v20
	v_addc_co_u32_e32 v21, vcc, 0, v3, vcc
	s_and_b64 vcc, exec, s[2:3]
	s_cbranch_vccnz .LBB48_1764
; %bb.1758:
	v_cmp_gt_i16_e64 s[6:7], s26, 25
	s_mov_b64 s[16:17], 0
	s_and_b64 vcc, exec, s[6:7]
	s_cbranch_vccz .LBB48_1766
; %bb.1759:
	v_cmp_gt_i16_e64 s[6:7], s26, 28
	s_and_b64 vcc, exec, s[6:7]
	s_cbranch_vccz .LBB48_1767
; %bb.1760:
	v_cmp_gt_i16_e64 s[6:7], s26, 43
	s_and_b64 vcc, exec, s[6:7]
	s_cbranch_vccz .LBB48_1768
; %bb.1761:
	v_cmp_gt_i16_e64 s[6:7], s26, 45
	s_and_b64 vcc, exec, s[6:7]
	s_cbranch_vccz .LBB48_1770
; %bb.1762:
	v_cmp_eq_u16_e64 s[6:7], s26, 46
	s_mov_b64 s[20:21], 0
	s_and_b64 vcc, exec, s[6:7]
	s_cbranch_vccz .LBB48_1773
; %bb.1763:
	global_load_dword v3, v[20:21], off
	s_mov_b64 s[6:7], 0
	s_mov_b64 s[18:19], -1
	s_branch .LBB48_1774
.LBB48_1764:
	s_mov_b64 s[18:19], 0
                                        ; implicit-def: $vgpr3
	s_cbranch_execnz .LBB48_1839
.LBB48_1765:
	s_andn2_b64 vcc, exec, s[18:19]
	s_cbranch_vccnz .LBB48_2682
	s_branch .LBB48_1886
.LBB48_1766:
	s_mov_b64 s[18:19], 0
	s_mov_b64 s[6:7], 0
                                        ; implicit-def: $vgpr3
	s_cbranch_execnz .LBB48_1803
	s_branch .LBB48_1835
.LBB48_1767:
	s_mov_b64 s[20:21], -1
	s_mov_b64 s[18:19], 0
	s_mov_b64 s[6:7], 0
                                        ; implicit-def: $vgpr3
	s_branch .LBB48_1784
.LBB48_1768:
	s_mov_b64 s[20:21], -1
	s_mov_b64 s[18:19], 0
	s_mov_b64 s[6:7], 0
                                        ; implicit-def: $vgpr3
	s_branch .LBB48_1779
.LBB48_1769:
	s_or_b64 s[4:5], s[12:13], exec
	s_trap 2
                                        ; implicit-def: $vgpr1
	s_cbranch_execz .LBB48_1710
	s_branch .LBB48_1711
.LBB48_1770:
	s_mov_b64 s[20:21], -1
	s_mov_b64 s[18:19], 0
	s_mov_b64 s[6:7], 0
                                        ; implicit-def: $vgpr3
	s_branch .LBB48_1774
.LBB48_1771:
	s_or_saveexec_b64 s[18:19], s[18:19]
                                        ; implicit-def: $sgpr24
	s_xor_b64 exec, exec, s[18:19]
	s_cbranch_execz .LBB48_1518
.LBB48_1772:
	s_mov_b32 s24, 0x42800000
	v_add_f32_e64 v5, |v6|, s24
	v_and_b32_e32 v5, 0xff, v5
	v_cmp_ne_u32_e32 vcc, 0, v5
	s_andn2_b64 s[16:17], s[16:17], exec
	s_and_b64 s[26:27], vcc, exec
	s_mov_b32 s24, 0
	s_or_b64 s[16:17], s[16:17], s[26:27]
	s_or_b64 exec, exec, s[18:19]
	v_mov_b32_e32 v7, s24
	s_and_saveexec_b64 s[18:19], s[16:17]
	s_cbranch_execnz .LBB48_1519
	s_branch .LBB48_1520
.LBB48_1773:
	s_mov_b64 s[6:7], -1
                                        ; implicit-def: $vgpr3
	s_mov_b64 s[18:19], 0
.LBB48_1774:
	s_and_b64 vcc, exec, s[20:21]
	s_cbranch_vccz .LBB48_1778
; %bb.1775:
	v_cmp_eq_u16_e64 s[6:7], s26, 44
	s_and_b64 vcc, exec, s[6:7]
	s_cbranch_vccz .LBB48_1777
; %bb.1776:
	global_load_ubyte v3, v[20:21], off
	s_movk_i32 s18, 0xff
	v_mov_b32_e32 v5, 0x7f800001
	v_mov_b32_e32 v7, 0x400000
	;; [unrolled: 1-line block ×3, first 2 shown]
	s_mov_b64 s[6:7], 0
	s_waitcnt vmcnt(0)
	v_lshlrev_b32_e32 v11, 23, v3
	v_cmp_ne_u32_e32 vcc, s18, v3
	v_cndmask_b32_e32 v5, v5, v11, vcc
	v_cmp_ne_u32_e32 vcc, 0, v3
	v_cndmask_b32_e32 v3, v7, v5, vcc
	v_add_u32_e32 v5, 0x7fff, v3
	v_lshrrev_b32_e32 v5, 16, v5
	v_cmp_o_f32_e32 vcc, v3, v3
	v_cndmask_b32_e32 v3, v9, v5, vcc
	s_mov_b64 s[18:19], -1
	s_branch .LBB48_1778
.LBB48_1777:
	s_mov_b64 s[6:7], -1
                                        ; implicit-def: $vgpr3
.LBB48_1778:
	s_mov_b64 s[20:21], 0
.LBB48_1779:
	s_and_b64 vcc, exec, s[20:21]
	s_cbranch_vccz .LBB48_1783
; %bb.1780:
	v_cmp_eq_u16_e64 s[6:7], s26, 29
	s_and_b64 vcc, exec, s[6:7]
	s_cbranch_vccz .LBB48_1782
; %bb.1781:
	global_load_dwordx2 v[22:23], v[20:21], off
	s_movk_i32 s18, 0x7fff
	s_mov_b64 s[6:7], 0
	s_mov_b64 s[20:21], 0
	s_waitcnt vmcnt(0)
	v_ffbh_u32_e32 v3, v23
	v_min_u32_e32 v3, 32, v3
	v_lshlrev_b64 v[22:23], v3, v[22:23]
	v_min_u32_e32 v5, 1, v22
	v_or_b32_e32 v5, v23, v5
	v_cvt_f32_u32_e32 v5, v5
	v_sub_u32_e32 v3, 32, v3
	v_ldexp_f32 v3, v5, v3
	v_bfe_u32 v5, v3, 16, 1
	v_add3_u32 v3, v3, v5, s18
	v_lshrrev_b32_e32 v3, 16, v3
	s_mov_b64 s[18:19], -1
	s_branch .LBB48_1784
.LBB48_1782:
	s_mov_b64 s[6:7], -1
                                        ; implicit-def: $vgpr3
.LBB48_1783:
	s_mov_b64 s[20:21], 0
.LBB48_1784:
	s_and_b64 vcc, exec, s[20:21]
	s_cbranch_vccz .LBB48_1802
; %bb.1785:
	v_cmp_lt_i16_e64 s[18:19], s26, 27
	s_and_b64 vcc, exec, s[18:19]
	s_cbranch_vccnz .LBB48_1788
; %bb.1786:
	v_cmp_gt_i16_e64 s[18:19], s26, 27
	s_and_b64 vcc, exec, s[18:19]
	s_cbranch_vccz .LBB48_1789
; %bb.1787:
	global_load_dword v3, v[20:21], off
	s_movk_i32 s18, 0x7fff
	s_waitcnt vmcnt(0)
	v_cvt_f32_u32_e32 v3, v3
	v_bfe_u32 v5, v3, 16, 1
	v_add3_u32 v3, v3, v5, s18
	v_lshrrev_b32_e32 v3, 16, v3
	s_mov_b64 s[18:19], 0
	s_branch .LBB48_1790
.LBB48_1788:
	s_mov_b64 s[18:19], -1
                                        ; implicit-def: $vgpr3
	s_branch .LBB48_1793
.LBB48_1789:
	s_mov_b64 s[18:19], -1
                                        ; implicit-def: $vgpr3
.LBB48_1790:
	s_andn2_b64 vcc, exec, s[18:19]
	s_cbranch_vccnz .LBB48_1792
; %bb.1791:
	global_load_ushort v3, v[20:21], off
	s_movk_i32 s18, 0x7fff
	s_waitcnt vmcnt(0)
	v_cvt_f32_u32_e32 v3, v3
	v_bfe_u32 v5, v3, 16, 1
	v_add3_u32 v3, v3, v5, s18
	v_lshrrev_b32_e32 v3, 16, v3
.LBB48_1792:
	s_mov_b64 s[18:19], 0
.LBB48_1793:
	s_andn2_b64 vcc, exec, s[18:19]
	s_cbranch_vccnz .LBB48_1801
; %bb.1794:
	global_load_ubyte v3, v[20:21], off
	s_movk_i32 s18, 0x7f
                                        ; implicit-def: $sgpr27
	s_waitcnt vmcnt(0)
	v_cmp_lt_i16_e32 vcc, s18, v3
	s_mov_b64 s[18:19], 0
	s_and_saveexec_b64 s[20:21], vcc
	s_xor_b64 s[20:21], exec, s[20:21]
	s_cbranch_execz .LBB48_1814
; %bb.1795:
	s_movk_i32 s18, 0x80
	v_cmp_eq_u16_e32 vcc, s18, v3
	s_mov_b64 s[18:19], -1
                                        ; implicit-def: $sgpr27
	s_and_saveexec_b64 s[22:23], vcc
; %bb.1796:
	s_mov_b32 s27, 0x7f800001
	s_xor_b64 s[18:19], exec, -1
; %bb.1797:
	s_or_b64 exec, exec, s[22:23]
	s_and_b64 s[18:19], s[18:19], exec
	s_or_saveexec_b64 s[20:21], s[20:21]
	v_mov_b32_e32 v5, s27
	s_xor_b64 exec, exec, s[20:21]
	s_cbranch_execnz .LBB48_1815
.LBB48_1798:
	s_or_b64 exec, exec, s[20:21]
	s_and_saveexec_b64 s[20:21], s[18:19]
	s_cbranch_execz .LBB48_1800
.LBB48_1799:
	v_lshlrev_b32_e32 v5, 24, v3
	v_and_b32_e32 v3, 0xffff, v3
	v_and_b32_e32 v7, 7, v3
	v_ffbh_u32_e32 v11, v7
	v_min_u32_e32 v11, 32, v11
	v_subrev_u32_e32 v13, 28, v11
	v_bfe_u32 v9, v3, 3, 4
	v_lshlrev_b32_e32 v3, v13, v3
	v_sub_u32_e32 v11, 29, v11
	v_and_b32_e32 v3, 7, v3
	v_cmp_eq_u32_e32 vcc, 0, v9
	v_cndmask_b32_e32 v9, v9, v11, vcc
	v_cndmask_b32_e32 v3, v7, v3, vcc
	v_mov_b32_e32 v7, 0x3b800000
	v_lshlrev_b32_e32 v3, 20, v3
	v_and_b32_e32 v5, 0x80000000, v5
	v_lshl_add_u32 v7, v9, 23, v7
	v_or3_b32 v5, v5, v7, v3
.LBB48_1800:
	s_or_b64 exec, exec, s[20:21]
	v_bfe_u32 v3, v5, 16, 1
	s_movk_i32 s18, 0x7fff
	v_add3_u32 v3, v5, v3, s18
	v_lshrrev_b32_e32 v3, 16, v3
	v_mov_b32_e32 v7, 0x7fc0
	v_cmp_o_f32_e32 vcc, v5, v5
	v_cndmask_b32_e32 v3, v7, v3, vcc
.LBB48_1801:
	s_mov_b64 s[18:19], -1
.LBB48_1802:
	s_branch .LBB48_1835
.LBB48_1803:
	v_cmp_gt_i16_e64 s[16:17], s26, 22
	s_and_b64 vcc, exec, s[16:17]
	s_cbranch_vccz .LBB48_1813
; %bb.1804:
	v_cmp_lt_i16_e64 s[16:17], s26, 24
	s_and_b64 vcc, exec, s[16:17]
	s_cbranch_vccnz .LBB48_1816
; %bb.1805:
	v_cmp_gt_i16_e64 s[16:17], s26, 24
	s_and_b64 vcc, exec, s[16:17]
	s_cbranch_vccz .LBB48_1817
; %bb.1806:
	global_load_ubyte v3, v[20:21], off
	s_movk_i32 s16, 0x7f
                                        ; implicit-def: $sgpr22
	s_waitcnt vmcnt(0)
	v_cmp_lt_i16_e32 vcc, s16, v3
	s_mov_b64 s[16:17], 0
	s_and_saveexec_b64 s[18:19], vcc
	s_xor_b64 s[18:19], exec, s[18:19]
	s_cbranch_execz .LBB48_1829
; %bb.1807:
	s_movk_i32 s16, 0x80
	v_cmp_eq_u16_e32 vcc, s16, v3
	s_mov_b64 s[16:17], -1
                                        ; implicit-def: $sgpr22
	s_and_saveexec_b64 s[20:21], vcc
; %bb.1808:
	s_mov_b32 s22, 0x7f800001
	s_xor_b64 s[16:17], exec, -1
; %bb.1809:
	s_or_b64 exec, exec, s[20:21]
	s_and_b64 s[16:17], s[16:17], exec
	s_or_saveexec_b64 s[18:19], s[18:19]
	v_mov_b32_e32 v5, s22
	s_xor_b64 exec, exec, s[18:19]
	s_cbranch_execnz .LBB48_1830
.LBB48_1810:
	s_or_b64 exec, exec, s[18:19]
	s_and_saveexec_b64 s[18:19], s[16:17]
	s_cbranch_execz .LBB48_1812
.LBB48_1811:
	v_lshlrev_b32_e32 v5, 24, v3
	v_and_b32_e32 v3, 0xffff, v3
	v_and_b32_e32 v7, 3, v3
	v_ffbh_u32_e32 v11, v7
	v_min_u32_e32 v11, 32, v11
	v_subrev_u32_e32 v13, 29, v11
	v_bfe_u32 v9, v3, 2, 5
	v_lshlrev_b32_e32 v3, v13, v3
	v_sub_u32_e32 v11, 30, v11
	v_and_b32_e32 v3, 3, v3
	v_cmp_eq_u32_e32 vcc, 0, v9
	v_cndmask_b32_e32 v9, v9, v11, vcc
	v_cndmask_b32_e32 v3, v7, v3, vcc
	v_mov_b32_e32 v7, 0x37800000
	v_lshlrev_b32_e32 v3, 21, v3
	v_and_b32_e32 v5, 0x80000000, v5
	v_lshl_add_u32 v7, v9, 23, v7
	v_or3_b32 v5, v5, v7, v3
.LBB48_1812:
	s_or_b64 exec, exec, s[18:19]
	v_bfe_u32 v3, v5, 16, 1
	s_movk_i32 s16, 0x7fff
	v_add3_u32 v3, v5, v3, s16
	v_lshrrev_b32_e32 v3, 16, v3
	v_mov_b32_e32 v7, 0x7fc0
	v_cmp_o_f32_e32 vcc, v5, v5
	v_cndmask_b32_e32 v3, v7, v3, vcc
	s_mov_b64 s[16:17], 0
	s_branch .LBB48_1818
.LBB48_1813:
	s_mov_b64 s[16:17], -1
                                        ; implicit-def: $vgpr3
	s_branch .LBB48_1824
.LBB48_1814:
	s_or_saveexec_b64 s[20:21], s[20:21]
	v_mov_b32_e32 v5, s27
	s_xor_b64 exec, exec, s[20:21]
	s_cbranch_execz .LBB48_1798
.LBB48_1815:
	v_cmp_ne_u16_e32 vcc, 0, v3
	s_andn2_b64 s[18:19], s[18:19], exec
	s_and_b64 s[22:23], vcc, exec
	v_mov_b32_e32 v5, 0
	s_or_b64 s[18:19], s[18:19], s[22:23]
	s_or_b64 exec, exec, s[20:21]
	s_and_saveexec_b64 s[20:21], s[18:19]
	s_cbranch_execnz .LBB48_1799
	s_branch .LBB48_1800
.LBB48_1816:
	s_mov_b64 s[16:17], -1
                                        ; implicit-def: $vgpr3
	s_branch .LBB48_1821
.LBB48_1817:
	s_mov_b64 s[16:17], -1
                                        ; implicit-def: $vgpr3
.LBB48_1818:
	s_and_b64 vcc, exec, s[16:17]
	s_cbranch_vccz .LBB48_1820
; %bb.1819:
	global_load_ubyte v3, v[20:21], off
	s_mov_b32 s16, 0x7f800000
	s_brev_b32 s17, 1
	s_movk_i32 s18, 0x7fff
	v_mov_b32_e32 v5, 0x7fc0
	s_waitcnt vmcnt(0)
	v_lshlrev_b32_e32 v3, 24, v3
	v_and_b32_e32 v7, 0x7f000000, v3
	v_ffbh_u32_e32 v9, v7
	v_min_u32_e32 v9, 32, v9
	v_sub_u32_e64 v9, v9, 4 clamp
	v_lshlrev_b32_e32 v13, v9, v7
	v_lshlrev_b32_e32 v9, 23, v9
	v_lshrrev_b32_e32 v13, 4, v13
	v_add_u32_e32 v11, 0x1000000, v7
	v_sub_u32_e32 v9, v13, v9
	v_ashrrev_i32_e32 v11, 8, v11
	v_add_u32_e32 v9, 0x3c000000, v9
	v_and_or_b32 v9, v11, s16, v9
	v_cmp_ne_u32_e32 vcc, 0, v7
	v_cndmask_b32_e32 v7, 0, v9, vcc
	v_and_or_b32 v3, v3, s17, v7
	v_bfe_u32 v7, v7, 16, 1
	v_add3_u32 v7, v3, v7, s18
	v_lshrrev_b32_e32 v7, 16, v7
	v_cmp_o_f32_e32 vcc, v3, v3
	v_cndmask_b32_e32 v3, v5, v7, vcc
.LBB48_1820:
	s_mov_b64 s[16:17], 0
.LBB48_1821:
	s_andn2_b64 vcc, exec, s[16:17]
	s_cbranch_vccnz .LBB48_1823
; %bb.1822:
	global_load_ubyte v3, v[20:21], off
	s_movk_i32 s16, 0x7f00
	s_brev_b32 s17, 16
	s_brev_b32 s18, 1
	s_movk_i32 s19, 0x7fff
	v_mov_b32_e32 v5, 0x7fc0
	s_waitcnt vmcnt(0)
	v_lshlrev_b16_e32 v7, 8, v3
	v_lshlrev_b32_e32 v3, 25, v3
	v_lshrrev_b32_e32 v9, 4, v3
	v_and_or_b32 v11, v7, s16, 0.5
	v_or_b32_e32 v9, 0x70000000, v9
	v_add_f32_e32 v11, -0.5, v11
	v_mul_f32_e32 v9, 0x7800000, v9
	v_cmp_gt_u32_e32 vcc, s17, v3
	v_bfe_i32 v7, v7, 0, 16
	v_cndmask_b32_e32 v3, v9, v11, vcc
	v_and_or_b32 v7, v7, s18, v3
	v_bfe_u32 v3, v3, 16, 1
	v_add3_u32 v3, v7, v3, s19
	v_lshrrev_b32_e32 v3, 16, v3
	v_cmp_o_f32_e32 vcc, v7, v7
	v_cndmask_b32_e32 v3, v5, v3, vcc
.LBB48_1823:
	s_mov_b64 s[16:17], 0
	s_mov_b64 s[18:19], -1
.LBB48_1824:
	s_andn2_b64 vcc, exec, s[16:17]
	s_mov_b64 s[16:17], 0
	s_cbranch_vccnz .LBB48_1835
; %bb.1825:
	v_cmp_gt_i16_e64 s[16:17], s26, 14
	s_and_b64 vcc, exec, s[16:17]
	s_cbranch_vccz .LBB48_1828
; %bb.1826:
	v_cmp_eq_u16_e64 s[6:7], s26, 15
	s_and_b64 vcc, exec, s[6:7]
	s_cbranch_vccz .LBB48_1831
; %bb.1827:
	global_load_ushort v3, v[20:21], off
	s_mov_b64 s[6:7], 0
	s_mov_b64 s[18:19], -1
	s_branch .LBB48_1832
.LBB48_1828:
	s_mov_b64 s[20:21], -1
                                        ; implicit-def: $vgpr3
	s_branch .LBB48_1833
.LBB48_1829:
	s_or_saveexec_b64 s[18:19], s[18:19]
	v_mov_b32_e32 v5, s22
	s_xor_b64 exec, exec, s[18:19]
	s_cbranch_execz .LBB48_1810
.LBB48_1830:
	v_cmp_ne_u16_e32 vcc, 0, v3
	s_andn2_b64 s[16:17], s[16:17], exec
	s_and_b64 s[20:21], vcc, exec
	v_mov_b32_e32 v5, 0
	s_or_b64 s[16:17], s[16:17], s[20:21]
	s_or_b64 exec, exec, s[18:19]
	s_and_saveexec_b64 s[18:19], s[16:17]
	s_cbranch_execnz .LBB48_1811
	s_branch .LBB48_1812
.LBB48_1831:
	s_mov_b64 s[6:7], -1
                                        ; implicit-def: $vgpr3
.LBB48_1832:
	s_mov_b64 s[20:21], 0
.LBB48_1833:
	s_mov_b64 s[16:17], 0
	s_and_b64 vcc, exec, s[20:21]
	s_cbranch_vccz .LBB48_1835
; %bb.1834:
	v_cmp_ne_u16_e64 s[6:7], s26, 11
	s_mov_b64 s[16:17], -1
                                        ; implicit-def: $vgpr3
.LBB48_1835:
	s_and_b64 vcc, exec, s[6:7]
	s_cbranch_vccnz .LBB48_1900
; %bb.1836:
	s_andn2_b64 vcc, exec, s[16:17]
	s_cbranch_vccnz .LBB48_1838
.LBB48_1837:
	global_load_ubyte v3, v[20:21], off
	s_mov_b64 s[18:19], -1
	s_waitcnt vmcnt(0)
	v_cmp_ne_u16_e32 vcc, 0, v3
	v_cndmask_b32_e64 v3, 0, 1.0, vcc
	v_lshrrev_b32_e32 v3, 16, v3
.LBB48_1838:
	s_branch .LBB48_1765
.LBB48_1839:
	v_cmp_lt_i16_e64 s[6:7], s26, 5
	s_and_b64 vcc, exec, s[6:7]
	s_cbranch_vccnz .LBB48_1844
; %bb.1840:
	v_cmp_lt_i16_e64 s[6:7], s26, 8
	s_and_b64 vcc, exec, s[6:7]
	s_cbranch_vccnz .LBB48_1845
; %bb.1841:
	;; [unrolled: 4-line block ×3, first 2 shown]
	v_cmp_gt_i16_e64 s[6:7], s26, 9
	s_and_b64 vcc, exec, s[6:7]
	s_cbranch_vccz .LBB48_1847
; %bb.1843:
	global_load_dwordx2 v[22:23], v[20:21], off
	s_movk_i32 s6, 0x7fff
	s_waitcnt vmcnt(1)
	v_mov_b32_e32 v3, 0x7fc0
	s_waitcnt vmcnt(0)
	v_cvt_f32_f64_e32 v5, v[22:23]
	v_bfe_u32 v7, v5, 16, 1
	v_add3_u32 v7, v5, v7, s6
	v_lshrrev_b32_e32 v7, 16, v7
	v_cmp_o_f32_e32 vcc, v5, v5
	v_cndmask_b32_e32 v3, v3, v7, vcc
	s_mov_b64 s[6:7], 0
	s_branch .LBB48_1848
.LBB48_1844:
                                        ; implicit-def: $vgpr3
	s_branch .LBB48_1866
.LBB48_1845:
	s_mov_b64 s[6:7], -1
                                        ; implicit-def: $vgpr3
	s_branch .LBB48_1854
.LBB48_1846:
	s_mov_b64 s[6:7], -1
                                        ; implicit-def: $vgpr3
	s_branch .LBB48_1851
.LBB48_1847:
	s_mov_b64 s[6:7], -1
                                        ; implicit-def: $vgpr3
.LBB48_1848:
	s_andn2_b64 vcc, exec, s[6:7]
	s_cbranch_vccnz .LBB48_1850
; %bb.1849:
	global_load_dword v3, v[20:21], off
	s_movk_i32 s6, 0x7fff
	v_mov_b32_e32 v5, 0x7fc0
	s_waitcnt vmcnt(0)
	v_bfe_u32 v7, v3, 16, 1
	v_add3_u32 v7, v3, v7, s6
	v_lshrrev_b32_e32 v7, 16, v7
	v_cmp_o_f32_e32 vcc, v3, v3
	v_cndmask_b32_e32 v3, v5, v7, vcc
.LBB48_1850:
	s_mov_b64 s[6:7], 0
.LBB48_1851:
	s_andn2_b64 vcc, exec, s[6:7]
	s_cbranch_vccnz .LBB48_1853
; %bb.1852:
	global_load_dword v3, v[20:21], off
	s_movk_i32 s6, 0x7fff
	v_mov_b32_e32 v7, 0x7fc0
	s_waitcnt vmcnt(0)
	v_cvt_f32_f16_e32 v5, v3
	v_cmp_o_f16_e32 vcc, v3, v3
	v_bfe_u32 v9, v5, 16, 1
	v_add3_u32 v5, v5, v9, s6
	v_lshrrev_b32_e32 v5, 16, v5
	v_cndmask_b32_e32 v3, v7, v5, vcc
.LBB48_1853:
	s_mov_b64 s[6:7], 0
.LBB48_1854:
	s_andn2_b64 vcc, exec, s[6:7]
	s_cbranch_vccnz .LBB48_1865
; %bb.1855:
	v_cmp_lt_i16_e64 s[6:7], s26, 6
	s_and_b64 vcc, exec, s[6:7]
	s_cbranch_vccnz .LBB48_1858
; %bb.1856:
	v_cmp_gt_i16_e64 s[6:7], s26, 6
	s_and_b64 vcc, exec, s[6:7]
	s_cbranch_vccz .LBB48_1859
; %bb.1857:
	global_load_dwordx2 v[22:23], v[20:21], off
	s_movk_i32 s6, 0x7fff
	s_waitcnt vmcnt(1)
	v_mov_b32_e32 v3, 0x7fc0
	s_waitcnt vmcnt(0)
	v_cvt_f32_f64_e32 v5, v[22:23]
	v_bfe_u32 v7, v5, 16, 1
	v_add3_u32 v7, v5, v7, s6
	v_lshrrev_b32_e32 v7, 16, v7
	v_cmp_o_f32_e32 vcc, v5, v5
	v_cndmask_b32_e32 v3, v3, v7, vcc
	s_mov_b64 s[6:7], 0
	s_branch .LBB48_1860
.LBB48_1858:
	s_mov_b64 s[6:7], -1
                                        ; implicit-def: $vgpr3
	s_branch .LBB48_1863
.LBB48_1859:
	s_mov_b64 s[6:7], -1
                                        ; implicit-def: $vgpr3
.LBB48_1860:
	s_andn2_b64 vcc, exec, s[6:7]
	s_cbranch_vccnz .LBB48_1862
; %bb.1861:
	global_load_dword v3, v[20:21], off
	s_movk_i32 s6, 0x7fff
	v_mov_b32_e32 v5, 0x7fc0
	s_waitcnt vmcnt(0)
	v_bfe_u32 v7, v3, 16, 1
	v_add3_u32 v7, v3, v7, s6
	v_lshrrev_b32_e32 v7, 16, v7
	v_cmp_o_f32_e32 vcc, v3, v3
	v_cndmask_b32_e32 v3, v5, v7, vcc
.LBB48_1862:
	s_mov_b64 s[6:7], 0
.LBB48_1863:
	s_andn2_b64 vcc, exec, s[6:7]
	s_cbranch_vccnz .LBB48_1865
; %bb.1864:
	global_load_ushort v3, v[20:21], off
	s_movk_i32 s6, 0x7fff
	v_mov_b32_e32 v7, 0x7fc0
	s_waitcnt vmcnt(0)
	v_cvt_f32_f16_e32 v5, v3
	v_cmp_o_f16_e32 vcc, v3, v3
	v_bfe_u32 v9, v5, 16, 1
	v_add3_u32 v5, v5, v9, s6
	v_lshrrev_b32_e32 v5, 16, v5
	v_cndmask_b32_e32 v3, v7, v5, vcc
.LBB48_1865:
	s_cbranch_execnz .LBB48_1885
.LBB48_1866:
	v_cmp_lt_i16_e64 s[6:7], s26, 2
	s_and_b64 vcc, exec, s[6:7]
	s_cbranch_vccnz .LBB48_1870
; %bb.1867:
	v_cmp_lt_i16_e64 s[6:7], s26, 3
	s_and_b64 vcc, exec, s[6:7]
	s_cbranch_vccnz .LBB48_1871
; %bb.1868:
	v_cmp_gt_i16_e64 s[6:7], s26, 3
	s_and_b64 vcc, exec, s[6:7]
	s_cbranch_vccz .LBB48_1872
; %bb.1869:
	global_load_dwordx2 v[22:23], v[20:21], off
	s_movk_i32 s6, 0x7fff
	s_waitcnt vmcnt(0)
	v_xor_b32_e32 v5, v22, v23
	v_ffbh_i32_e32 v3, v23
	v_ashrrev_i32_e32 v5, 31, v5
	v_add_u32_e32 v3, -1, v3
	v_add_u32_e32 v5, 32, v5
	v_min_u32_e32 v3, v3, v5
	v_lshlrev_b64 v[22:23], v3, v[22:23]
	v_min_u32_e32 v5, 1, v22
	v_or_b32_e32 v5, v23, v5
	v_cvt_f32_i32_e32 v5, v5
	v_sub_u32_e32 v3, 32, v3
	v_ldexp_f32 v3, v5, v3
	v_bfe_u32 v5, v3, 16, 1
	v_add3_u32 v3, v3, v5, s6
	v_lshrrev_b32_e32 v3, 16, v3
	s_mov_b64 s[6:7], 0
	s_branch .LBB48_1873
.LBB48_1870:
	s_mov_b64 s[6:7], -1
                                        ; implicit-def: $vgpr3
	s_branch .LBB48_1879
.LBB48_1871:
	s_mov_b64 s[6:7], -1
                                        ; implicit-def: $vgpr3
	s_branch .LBB48_1876
.LBB48_1872:
	s_mov_b64 s[6:7], -1
                                        ; implicit-def: $vgpr3
.LBB48_1873:
	s_andn2_b64 vcc, exec, s[6:7]
	s_cbranch_vccnz .LBB48_1875
; %bb.1874:
	global_load_dword v3, v[20:21], off
	s_movk_i32 s6, 0x7fff
	s_waitcnt vmcnt(0)
	v_cvt_f32_i32_e32 v3, v3
	v_bfe_u32 v5, v3, 16, 1
	v_add3_u32 v3, v3, v5, s6
	v_lshrrev_b32_e32 v3, 16, v3
.LBB48_1875:
	s_mov_b64 s[6:7], 0
.LBB48_1876:
	s_andn2_b64 vcc, exec, s[6:7]
	s_cbranch_vccnz .LBB48_1878
; %bb.1877:
	global_load_sshort v3, v[20:21], off
	s_movk_i32 s6, 0x7fff
	s_waitcnt vmcnt(0)
	v_cvt_f32_i32_e32 v3, v3
	v_bfe_u32 v5, v3, 16, 1
	v_add3_u32 v3, v3, v5, s6
	v_lshrrev_b32_e32 v3, 16, v3
.LBB48_1878:
	s_mov_b64 s[6:7], 0
.LBB48_1879:
	s_andn2_b64 vcc, exec, s[6:7]
	s_cbranch_vccnz .LBB48_1885
; %bb.1880:
	v_cmp_gt_i16_e64 s[6:7], s26, 0
	s_and_b64 vcc, exec, s[6:7]
	s_cbranch_vccz .LBB48_1882
; %bb.1881:
	global_load_sbyte v3, v[20:21], off
	s_movk_i32 s6, 0x7fff
	s_waitcnt vmcnt(0)
	v_cvt_f32_i32_e32 v3, v3
	v_bfe_u32 v5, v3, 16, 1
	v_add3_u32 v3, v3, v5, s6
	v_lshrrev_b32_e32 v3, 16, v3
	s_mov_b64 s[6:7], 0
	s_branch .LBB48_1883
.LBB48_1882:
	s_mov_b64 s[6:7], -1
                                        ; implicit-def: $vgpr3
.LBB48_1883:
	s_andn2_b64 vcc, exec, s[6:7]
	s_cbranch_vccnz .LBB48_1885
; %bb.1884:
	global_load_ubyte v3, v[20:21], off
	s_movk_i32 s6, 0x7fff
	s_waitcnt vmcnt(0)
	v_cvt_f32_ubyte0_e32 v3, v3
	v_bfe_u32 v5, v3, 16, 1
	v_add3_u32 v3, v3, v5, s6
	v_lshrrev_b32_e32 v3, 16, v3
.LBB48_1885:
.LBB48_1886:
	s_waitcnt vmcnt(0)
	v_lshlrev_b32_e32 v5, 16, v1
	v_cmp_nlt_f32_e32 vcc, 0, v5
	s_and_saveexec_b64 s[6:7], vcc
; %bb.1887:
	v_lshlrev_b32_e32 v1, 16, v3
	v_mul_f32_e32 v1, v5, v1
	v_bfe_u32 v3, v1, 16, 1
	s_movk_i32 s16, 0x7fff
	v_add3_u32 v3, v1, v3, s16
	v_lshrrev_b32_e32 v3, 16, v3
	v_mov_b32_e32 v5, 0x7fc0
	v_cmp_o_f32_e32 vcc, v1, v1
	v_cndmask_b32_e32 v1, v5, v3, vcc
; %bb.1888:
	s_or_b64 exec, exec, s[6:7]
	v_mov_b32_e32 v3, s11
	v_add_co_u32_e32 v18, vcc, s10, v18
	v_addc_co_u32_e32 v19, vcc, 0, v3, vcc
	v_mov_b32_e32 v3, 11
	v_cmp_lt_i16_sdwa s[6:7], s25, v3 src0_sel:BYTE_0 src1_sel:DWORD
	s_and_b64 vcc, exec, s[6:7]
	s_cbranch_vccnz .LBB48_1895
; %bb.1889:
	v_mov_b32_e32 v3, 25
	v_cmp_gt_i16_sdwa s[6:7], s25, v3 src0_sel:BYTE_0 src1_sel:DWORD
	s_mov_b64 s[16:17], 0
	s_and_b64 vcc, exec, s[6:7]
	s_cbranch_vccz .LBB48_1897
; %bb.1890:
	v_mov_b32_e32 v3, 28
	v_cmp_gt_i16_sdwa s[6:7], s25, v3 src0_sel:BYTE_0 src1_sel:DWORD
	s_and_b64 vcc, exec, s[6:7]
	s_cbranch_vccz .LBB48_1898
; %bb.1891:
	v_mov_b32_e32 v3, 43
	v_cmp_gt_i16_sdwa s[6:7], s25, v3 src0_sel:BYTE_0 src1_sel:DWORD
	;; [unrolled: 5-line block ×3, first 2 shown]
	s_and_b64 vcc, exec, s[6:7]
	s_cbranch_vccz .LBB48_1901
; %bb.1893:
	v_mov_b32_e32 v3, 46
	v_cmp_eq_u16_sdwa s[6:7], s25, v3 src0_sel:BYTE_0 src1_sel:DWORD
	s_mov_b64 s[20:21], 0
	s_and_b64 vcc, exec, s[6:7]
	s_cbranch_vccz .LBB48_1902
; %bb.1894:
	global_load_dword v3, v[18:19], off
	s_mov_b64 s[6:7], 0
	s_mov_b64 s[18:19], -1
	s_branch .LBB48_1903
.LBB48_1895:
	s_mov_b64 s[18:19], 0
                                        ; implicit-def: $vgpr3
	s_cbranch_execnz .LBB48_1969
.LBB48_1896:
	s_andn2_b64 vcc, exec, s[18:19]
	s_cbranch_vccnz .LBB48_2682
	s_branch .LBB48_2017
.LBB48_1897:
	s_mov_b64 s[20:21], -1
	s_mov_b64 s[18:19], 0
	s_mov_b64 s[6:7], 0
                                        ; implicit-def: $vgpr3
	s_branch .LBB48_1932
.LBB48_1898:
	s_mov_b64 s[20:21], -1
	s_mov_b64 s[18:19], 0
	s_mov_b64 s[6:7], 0
                                        ; implicit-def: $vgpr3
	s_branch .LBB48_1913
.LBB48_1899:
	s_mov_b64 s[20:21], -1
	s_mov_b64 s[18:19], 0
	s_mov_b64 s[6:7], 0
                                        ; implicit-def: $vgpr3
	s_branch .LBB48_1908
.LBB48_1900:
	s_trap 2
	s_or_b64 s[4:5], s[4:5], exec
                                        ; implicit-def: $vgpr3
	s_cbranch_execz .LBB48_1837
	s_branch .LBB48_1838
.LBB48_1901:
	s_mov_b64 s[20:21], -1
	s_mov_b64 s[18:19], 0
	s_mov_b64 s[6:7], 0
                                        ; implicit-def: $vgpr3
	s_branch .LBB48_1903
.LBB48_1902:
	s_mov_b64 s[6:7], -1
                                        ; implicit-def: $vgpr3
	s_mov_b64 s[18:19], 0
.LBB48_1903:
	s_and_b64 vcc, exec, s[20:21]
	s_cbranch_vccz .LBB48_1907
; %bb.1904:
	s_waitcnt vmcnt(0)
	v_mov_b32_e32 v3, 44
	v_cmp_eq_u16_sdwa s[6:7], s25, v3 src0_sel:BYTE_0 src1_sel:DWORD
	s_and_b64 vcc, exec, s[6:7]
	s_cbranch_vccz .LBB48_1906
; %bb.1905:
	global_load_ubyte v3, v[18:19], off
	s_movk_i32 s18, 0xff
	v_mov_b32_e32 v5, 0x7f800001
	v_mov_b32_e32 v7, 0x400000
	;; [unrolled: 1-line block ×3, first 2 shown]
	s_mov_b64 s[6:7], 0
	s_waitcnt vmcnt(0)
	v_lshlrev_b32_e32 v11, 23, v3
	v_cmp_ne_u32_e32 vcc, s18, v3
	v_cndmask_b32_e32 v5, v5, v11, vcc
	v_cmp_ne_u32_e32 vcc, 0, v3
	v_cndmask_b32_e32 v3, v7, v5, vcc
	v_add_u32_e32 v5, 0x7fff, v3
	v_lshrrev_b32_e32 v5, 16, v5
	v_cmp_o_f32_e32 vcc, v3, v3
	v_cndmask_b32_e32 v3, v9, v5, vcc
	s_mov_b64 s[18:19], -1
	s_branch .LBB48_1907
.LBB48_1906:
	s_mov_b64 s[6:7], -1
                                        ; implicit-def: $vgpr3
.LBB48_1907:
	s_mov_b64 s[20:21], 0
.LBB48_1908:
	s_and_b64 vcc, exec, s[20:21]
	s_cbranch_vccz .LBB48_1912
; %bb.1909:
	s_waitcnt vmcnt(0)
	v_mov_b32_e32 v3, 29
	v_cmp_eq_u16_sdwa s[6:7], s25, v3 src0_sel:BYTE_0 src1_sel:DWORD
	s_and_b64 vcc, exec, s[6:7]
	s_cbranch_vccz .LBB48_1911
; %bb.1910:
	global_load_dwordx2 v[20:21], v[18:19], off
	s_movk_i32 s18, 0x7fff
	s_mov_b64 s[6:7], 0
	s_mov_b64 s[20:21], 0
	s_waitcnt vmcnt(0)
	v_ffbh_u32_e32 v3, v21
	v_min_u32_e32 v3, 32, v3
	v_lshlrev_b64 v[20:21], v3, v[20:21]
	v_min_u32_e32 v5, 1, v20
	v_or_b32_e32 v5, v21, v5
	v_cvt_f32_u32_e32 v5, v5
	v_sub_u32_e32 v3, 32, v3
	v_ldexp_f32 v3, v5, v3
	v_bfe_u32 v5, v3, 16, 1
	v_add3_u32 v3, v3, v5, s18
	v_lshrrev_b32_e32 v3, 16, v3
	s_mov_b64 s[18:19], -1
	s_branch .LBB48_1913
.LBB48_1911:
	s_mov_b64 s[6:7], -1
                                        ; implicit-def: $vgpr3
.LBB48_1912:
	s_mov_b64 s[20:21], 0
.LBB48_1913:
	s_and_b64 vcc, exec, s[20:21]
	s_cbranch_vccz .LBB48_1931
; %bb.1914:
	s_waitcnt vmcnt(0)
	v_mov_b32_e32 v3, 27
	v_cmp_lt_i16_sdwa s[18:19], s25, v3 src0_sel:BYTE_0 src1_sel:DWORD
	s_and_b64 vcc, exec, s[18:19]
	s_cbranch_vccnz .LBB48_1917
; %bb.1915:
	v_cmp_gt_i16_sdwa s[18:19], s25, v3 src0_sel:BYTE_0 src1_sel:DWORD
	s_and_b64 vcc, exec, s[18:19]
	s_cbranch_vccz .LBB48_1918
; %bb.1916:
	global_load_dword v3, v[18:19], off
	s_movk_i32 s18, 0x7fff
	s_waitcnt vmcnt(0)
	v_cvt_f32_u32_e32 v3, v3
	v_bfe_u32 v5, v3, 16, 1
	v_add3_u32 v3, v3, v5, s18
	v_lshrrev_b32_e32 v3, 16, v3
	s_mov_b64 s[18:19], 0
	s_branch .LBB48_1919
.LBB48_1917:
	s_mov_b64 s[18:19], -1
                                        ; implicit-def: $vgpr3
	s_branch .LBB48_1922
.LBB48_1918:
	s_mov_b64 s[18:19], -1
                                        ; implicit-def: $vgpr3
.LBB48_1919:
	s_andn2_b64 vcc, exec, s[18:19]
	s_cbranch_vccnz .LBB48_1921
; %bb.1920:
	global_load_ushort v3, v[18:19], off
	s_movk_i32 s18, 0x7fff
	s_waitcnt vmcnt(0)
	v_cvt_f32_u32_e32 v3, v3
	v_bfe_u32 v5, v3, 16, 1
	v_add3_u32 v3, v3, v5, s18
	v_lshrrev_b32_e32 v3, 16, v3
.LBB48_1921:
	s_mov_b64 s[18:19], 0
.LBB48_1922:
	s_andn2_b64 vcc, exec, s[18:19]
	s_cbranch_vccnz .LBB48_1930
; %bb.1923:
	global_load_ubyte v3, v[18:19], off
	s_movk_i32 s18, 0x7f
                                        ; implicit-def: $sgpr27
	s_waitcnt vmcnt(0)
	v_cmp_lt_i16_e32 vcc, s18, v3
	s_mov_b64 s[18:19], 0
	s_and_saveexec_b64 s[20:21], vcc
	s_xor_b64 s[20:21], exec, s[20:21]
	s_cbranch_execz .LBB48_1944
; %bb.1924:
	s_movk_i32 s18, 0x80
	v_cmp_eq_u16_e32 vcc, s18, v3
	s_mov_b64 s[18:19], -1
                                        ; implicit-def: $sgpr27
	s_and_saveexec_b64 s[22:23], vcc
; %bb.1925:
	s_mov_b32 s27, 0x7f800001
	s_xor_b64 s[18:19], exec, -1
; %bb.1926:
	s_or_b64 exec, exec, s[22:23]
	s_and_b64 s[18:19], s[18:19], exec
	s_or_saveexec_b64 s[20:21], s[20:21]
	v_mov_b32_e32 v5, s27
	s_xor_b64 exec, exec, s[20:21]
	s_cbranch_execnz .LBB48_1945
.LBB48_1927:
	s_or_b64 exec, exec, s[20:21]
	s_and_saveexec_b64 s[20:21], s[18:19]
	s_cbranch_execz .LBB48_1929
.LBB48_1928:
	v_lshlrev_b32_e32 v5, 24, v3
	v_and_b32_e32 v3, 0xffff, v3
	v_and_b32_e32 v7, 7, v3
	v_ffbh_u32_e32 v11, v7
	v_min_u32_e32 v11, 32, v11
	v_subrev_u32_e32 v13, 28, v11
	v_bfe_u32 v9, v3, 3, 4
	v_lshlrev_b32_e32 v3, v13, v3
	v_sub_u32_e32 v11, 29, v11
	v_and_b32_e32 v3, 7, v3
	v_cmp_eq_u32_e32 vcc, 0, v9
	v_cndmask_b32_e32 v9, v9, v11, vcc
	v_cndmask_b32_e32 v3, v7, v3, vcc
	v_mov_b32_e32 v7, 0x3b800000
	v_lshlrev_b32_e32 v3, 20, v3
	v_and_b32_e32 v5, 0x80000000, v5
	v_lshl_add_u32 v7, v9, 23, v7
	v_or3_b32 v5, v5, v7, v3
.LBB48_1929:
	s_or_b64 exec, exec, s[20:21]
	v_bfe_u32 v3, v5, 16, 1
	s_movk_i32 s18, 0x7fff
	v_add3_u32 v3, v5, v3, s18
	v_lshrrev_b32_e32 v3, 16, v3
	v_mov_b32_e32 v7, 0x7fc0
	v_cmp_o_f32_e32 vcc, v5, v5
	v_cndmask_b32_e32 v3, v7, v3, vcc
.LBB48_1930:
	s_mov_b64 s[18:19], -1
.LBB48_1931:
	s_mov_b64 s[20:21], 0
.LBB48_1932:
	s_and_b64 vcc, exec, s[20:21]
	s_cbranch_vccz .LBB48_1965
; %bb.1933:
	s_waitcnt vmcnt(0)
	v_mov_b32_e32 v3, 22
	v_cmp_gt_i16_sdwa s[16:17], s25, v3 src0_sel:BYTE_0 src1_sel:DWORD
	s_and_b64 vcc, exec, s[16:17]
	s_cbranch_vccz .LBB48_1943
; %bb.1934:
	v_mov_b32_e32 v3, 24
	v_cmp_lt_i16_sdwa s[16:17], s25, v3 src0_sel:BYTE_0 src1_sel:DWORD
	s_and_b64 vcc, exec, s[16:17]
	s_cbranch_vccnz .LBB48_1946
; %bb.1935:
	v_cmp_gt_i16_sdwa s[16:17], s25, v3 src0_sel:BYTE_0 src1_sel:DWORD
	s_and_b64 vcc, exec, s[16:17]
	s_cbranch_vccz .LBB48_1947
; %bb.1936:
	global_load_ubyte v3, v[18:19], off
	s_movk_i32 s16, 0x7f
                                        ; implicit-def: $sgpr22
	s_waitcnt vmcnt(0)
	v_cmp_lt_i16_e32 vcc, s16, v3
	s_mov_b64 s[16:17], 0
	s_and_saveexec_b64 s[18:19], vcc
	s_xor_b64 s[18:19], exec, s[18:19]
	s_cbranch_execz .LBB48_1959
; %bb.1937:
	s_movk_i32 s16, 0x80
	v_cmp_eq_u16_e32 vcc, s16, v3
	s_mov_b64 s[16:17], -1
                                        ; implicit-def: $sgpr22
	s_and_saveexec_b64 s[20:21], vcc
; %bb.1938:
	s_mov_b32 s22, 0x7f800001
	s_xor_b64 s[16:17], exec, -1
; %bb.1939:
	s_or_b64 exec, exec, s[20:21]
	s_and_b64 s[16:17], s[16:17], exec
	s_or_saveexec_b64 s[18:19], s[18:19]
	v_mov_b32_e32 v5, s22
	s_xor_b64 exec, exec, s[18:19]
	s_cbranch_execnz .LBB48_1960
.LBB48_1940:
	s_or_b64 exec, exec, s[18:19]
	s_and_saveexec_b64 s[18:19], s[16:17]
	s_cbranch_execz .LBB48_1942
.LBB48_1941:
	v_lshlrev_b32_e32 v5, 24, v3
	v_and_b32_e32 v3, 0xffff, v3
	v_and_b32_e32 v7, 3, v3
	v_ffbh_u32_e32 v11, v7
	v_min_u32_e32 v11, 32, v11
	v_subrev_u32_e32 v13, 29, v11
	v_bfe_u32 v9, v3, 2, 5
	v_lshlrev_b32_e32 v3, v13, v3
	v_sub_u32_e32 v11, 30, v11
	v_and_b32_e32 v3, 3, v3
	v_cmp_eq_u32_e32 vcc, 0, v9
	v_cndmask_b32_e32 v9, v9, v11, vcc
	v_cndmask_b32_e32 v3, v7, v3, vcc
	v_mov_b32_e32 v7, 0x37800000
	v_lshlrev_b32_e32 v3, 21, v3
	v_and_b32_e32 v5, 0x80000000, v5
	v_lshl_add_u32 v7, v9, 23, v7
	v_or3_b32 v5, v5, v7, v3
.LBB48_1942:
	s_or_b64 exec, exec, s[18:19]
	v_bfe_u32 v3, v5, 16, 1
	s_movk_i32 s16, 0x7fff
	v_add3_u32 v3, v5, v3, s16
	v_lshrrev_b32_e32 v3, 16, v3
	v_mov_b32_e32 v7, 0x7fc0
	v_cmp_o_f32_e32 vcc, v5, v5
	v_cndmask_b32_e32 v3, v7, v3, vcc
	s_mov_b64 s[16:17], 0
	s_branch .LBB48_1948
.LBB48_1943:
	s_mov_b64 s[16:17], -1
                                        ; implicit-def: $vgpr3
	s_branch .LBB48_1954
.LBB48_1944:
	s_or_saveexec_b64 s[20:21], s[20:21]
	v_mov_b32_e32 v5, s27
	s_xor_b64 exec, exec, s[20:21]
	s_cbranch_execz .LBB48_1927
.LBB48_1945:
	v_cmp_ne_u16_e32 vcc, 0, v3
	s_andn2_b64 s[18:19], s[18:19], exec
	s_and_b64 s[22:23], vcc, exec
	v_mov_b32_e32 v5, 0
	s_or_b64 s[18:19], s[18:19], s[22:23]
	s_or_b64 exec, exec, s[20:21]
	s_and_saveexec_b64 s[20:21], s[18:19]
	s_cbranch_execnz .LBB48_1928
	s_branch .LBB48_1929
.LBB48_1946:
	s_mov_b64 s[16:17], -1
                                        ; implicit-def: $vgpr3
	s_branch .LBB48_1951
.LBB48_1947:
	s_mov_b64 s[16:17], -1
                                        ; implicit-def: $vgpr3
.LBB48_1948:
	s_and_b64 vcc, exec, s[16:17]
	s_cbranch_vccz .LBB48_1950
; %bb.1949:
	global_load_ubyte v3, v[18:19], off
	s_mov_b32 s16, 0x7f800000
	s_brev_b32 s17, 1
	s_movk_i32 s18, 0x7fff
	v_mov_b32_e32 v5, 0x7fc0
	s_waitcnt vmcnt(0)
	v_lshlrev_b32_e32 v3, 24, v3
	v_and_b32_e32 v7, 0x7f000000, v3
	v_ffbh_u32_e32 v9, v7
	v_min_u32_e32 v9, 32, v9
	v_sub_u32_e64 v9, v9, 4 clamp
	v_lshlrev_b32_e32 v13, v9, v7
	v_lshlrev_b32_e32 v9, 23, v9
	v_lshrrev_b32_e32 v13, 4, v13
	v_add_u32_e32 v11, 0x1000000, v7
	v_sub_u32_e32 v9, v13, v9
	v_ashrrev_i32_e32 v11, 8, v11
	v_add_u32_e32 v9, 0x3c000000, v9
	v_and_or_b32 v9, v11, s16, v9
	v_cmp_ne_u32_e32 vcc, 0, v7
	v_cndmask_b32_e32 v7, 0, v9, vcc
	v_and_or_b32 v3, v3, s17, v7
	v_bfe_u32 v7, v7, 16, 1
	v_add3_u32 v7, v3, v7, s18
	v_lshrrev_b32_e32 v7, 16, v7
	v_cmp_o_f32_e32 vcc, v3, v3
	v_cndmask_b32_e32 v3, v5, v7, vcc
.LBB48_1950:
	s_mov_b64 s[16:17], 0
.LBB48_1951:
	s_andn2_b64 vcc, exec, s[16:17]
	s_cbranch_vccnz .LBB48_1953
; %bb.1952:
	global_load_ubyte v3, v[18:19], off
	s_movk_i32 s16, 0x7f00
	s_brev_b32 s17, 16
	s_brev_b32 s18, 1
	s_movk_i32 s19, 0x7fff
	v_mov_b32_e32 v5, 0x7fc0
	s_waitcnt vmcnt(0)
	v_lshlrev_b16_e32 v7, 8, v3
	v_lshlrev_b32_e32 v3, 25, v3
	v_lshrrev_b32_e32 v9, 4, v3
	v_and_or_b32 v11, v7, s16, 0.5
	v_or_b32_e32 v9, 0x70000000, v9
	v_add_f32_e32 v11, -0.5, v11
	v_mul_f32_e32 v9, 0x7800000, v9
	v_cmp_gt_u32_e32 vcc, s17, v3
	v_bfe_i32 v7, v7, 0, 16
	v_cndmask_b32_e32 v3, v9, v11, vcc
	v_and_or_b32 v7, v7, s18, v3
	v_bfe_u32 v3, v3, 16, 1
	v_add3_u32 v3, v7, v3, s19
	v_lshrrev_b32_e32 v3, 16, v3
	v_cmp_o_f32_e32 vcc, v7, v7
	v_cndmask_b32_e32 v3, v5, v3, vcc
.LBB48_1953:
	s_mov_b64 s[16:17], 0
	s_mov_b64 s[18:19], -1
.LBB48_1954:
	s_andn2_b64 vcc, exec, s[16:17]
	s_mov_b64 s[16:17], 0
	s_cbranch_vccnz .LBB48_1965
; %bb.1955:
	v_mov_b32_e32 v3, 14
	v_cmp_gt_i16_sdwa s[16:17], s25, v3 src0_sel:BYTE_0 src1_sel:DWORD
	s_and_b64 vcc, exec, s[16:17]
	s_cbranch_vccz .LBB48_1958
; %bb.1956:
	v_mov_b32_e32 v3, 15
	v_cmp_eq_u16_sdwa s[6:7], s25, v3 src0_sel:BYTE_0 src1_sel:DWORD
	s_and_b64 vcc, exec, s[6:7]
	s_cbranch_vccz .LBB48_1961
; %bb.1957:
	global_load_ushort v3, v[18:19], off
	s_mov_b64 s[6:7], 0
	s_mov_b64 s[18:19], -1
	s_branch .LBB48_1962
.LBB48_1958:
	s_mov_b64 s[20:21], -1
                                        ; implicit-def: $vgpr3
	s_branch .LBB48_1963
.LBB48_1959:
	s_or_saveexec_b64 s[18:19], s[18:19]
	v_mov_b32_e32 v5, s22
	s_xor_b64 exec, exec, s[18:19]
	s_cbranch_execz .LBB48_1940
.LBB48_1960:
	v_cmp_ne_u16_e32 vcc, 0, v3
	s_andn2_b64 s[16:17], s[16:17], exec
	s_and_b64 s[20:21], vcc, exec
	v_mov_b32_e32 v5, 0
	s_or_b64 s[16:17], s[16:17], s[20:21]
	s_or_b64 exec, exec, s[18:19]
	s_and_saveexec_b64 s[18:19], s[16:17]
	s_cbranch_execnz .LBB48_1941
	s_branch .LBB48_1942
.LBB48_1961:
	s_mov_b64 s[6:7], -1
                                        ; implicit-def: $vgpr3
.LBB48_1962:
	s_mov_b64 s[20:21], 0
.LBB48_1963:
	s_mov_b64 s[16:17], 0
	s_and_b64 vcc, exec, s[20:21]
	s_cbranch_vccz .LBB48_1965
; %bb.1964:
	s_waitcnt vmcnt(0)
	v_mov_b32_e32 v3, 11
	v_cmp_ne_u16_sdwa s[6:7], s25, v3 src0_sel:BYTE_0 src1_sel:DWORD
	s_mov_b64 s[16:17], -1
                                        ; implicit-def: $vgpr3
.LBB48_1965:
	s_and_b64 vcc, exec, s[6:7]
	s_cbranch_vccnz .LBB48_2028
; %bb.1966:
	s_andn2_b64 vcc, exec, s[16:17]
	s_cbranch_vccnz .LBB48_1968
.LBB48_1967:
	global_load_ubyte v3, v[18:19], off
	s_mov_b64 s[18:19], -1
	s_waitcnt vmcnt(0)
	v_cmp_ne_u16_e32 vcc, 0, v3
	v_cndmask_b32_e64 v3, 0, 1.0, vcc
	v_lshrrev_b32_e32 v3, 16, v3
.LBB48_1968:
	s_branch .LBB48_1896
.LBB48_1969:
	s_waitcnt vmcnt(0)
	v_mov_b32_e32 v3, 5
	v_cmp_lt_i16_sdwa s[6:7], s25, v3 src0_sel:BYTE_0 src1_sel:DWORD
	s_and_b64 vcc, exec, s[6:7]
	s_cbranch_vccnz .LBB48_1974
; %bb.1970:
	v_mov_b32_e32 v3, 8
	v_cmp_lt_i16_sdwa s[6:7], s25, v3 src0_sel:BYTE_0 src1_sel:DWORD
	s_and_b64 vcc, exec, s[6:7]
	s_cbranch_vccnz .LBB48_1975
; %bb.1971:
	;; [unrolled: 5-line block ×3, first 2 shown]
	v_cmp_gt_i16_sdwa s[6:7], s25, v3 src0_sel:BYTE_0 src1_sel:DWORD
	s_and_b64 vcc, exec, s[6:7]
	s_cbranch_vccz .LBB48_1977
; %bb.1973:
	global_load_dwordx2 v[20:21], v[18:19], off
	s_movk_i32 s6, 0x7fff
	v_mov_b32_e32 v3, 0x7fc0
	s_waitcnt vmcnt(0)
	v_cvt_f32_f64_e32 v5, v[20:21]
	v_bfe_u32 v7, v5, 16, 1
	v_add3_u32 v7, v5, v7, s6
	v_lshrrev_b32_e32 v7, 16, v7
	v_cmp_o_f32_e32 vcc, v5, v5
	v_cndmask_b32_e32 v3, v3, v7, vcc
	s_mov_b64 s[6:7], 0
	s_branch .LBB48_1978
.LBB48_1974:
	s_mov_b64 s[6:7], -1
                                        ; implicit-def: $vgpr3
	s_branch .LBB48_1996
.LBB48_1975:
	s_mov_b64 s[6:7], -1
                                        ; implicit-def: $vgpr3
	s_branch .LBB48_1984
.LBB48_1976:
	s_mov_b64 s[6:7], -1
                                        ; implicit-def: $vgpr3
	s_branch .LBB48_1981
.LBB48_1977:
	s_mov_b64 s[6:7], -1
                                        ; implicit-def: $vgpr3
.LBB48_1978:
	s_andn2_b64 vcc, exec, s[6:7]
	s_cbranch_vccnz .LBB48_1980
; %bb.1979:
	global_load_dword v3, v[18:19], off
	s_movk_i32 s6, 0x7fff
	v_mov_b32_e32 v5, 0x7fc0
	s_waitcnt vmcnt(0)
	v_bfe_u32 v7, v3, 16, 1
	v_add3_u32 v7, v3, v7, s6
	v_lshrrev_b32_e32 v7, 16, v7
	v_cmp_o_f32_e32 vcc, v3, v3
	v_cndmask_b32_e32 v3, v5, v7, vcc
.LBB48_1980:
	s_mov_b64 s[6:7], 0
.LBB48_1981:
	s_andn2_b64 vcc, exec, s[6:7]
	s_cbranch_vccnz .LBB48_1983
; %bb.1982:
	global_load_dword v3, v[18:19], off
	s_movk_i32 s6, 0x7fff
	v_mov_b32_e32 v7, 0x7fc0
	s_waitcnt vmcnt(0)
	v_cvt_f32_f16_e32 v5, v3
	v_cmp_o_f16_e32 vcc, v3, v3
	v_bfe_u32 v9, v5, 16, 1
	v_add3_u32 v5, v5, v9, s6
	v_lshrrev_b32_e32 v5, 16, v5
	v_cndmask_b32_e32 v3, v7, v5, vcc
.LBB48_1983:
	s_mov_b64 s[6:7], 0
.LBB48_1984:
	s_andn2_b64 vcc, exec, s[6:7]
	s_cbranch_vccnz .LBB48_1995
; %bb.1985:
	v_mov_b32_e32 v3, 6
	v_cmp_lt_i16_sdwa s[6:7], s25, v3 src0_sel:BYTE_0 src1_sel:DWORD
	s_and_b64 vcc, exec, s[6:7]
	s_cbranch_vccnz .LBB48_1988
; %bb.1986:
	v_cmp_gt_i16_sdwa s[6:7], s25, v3 src0_sel:BYTE_0 src1_sel:DWORD
	s_and_b64 vcc, exec, s[6:7]
	s_cbranch_vccz .LBB48_1989
; %bb.1987:
	global_load_dwordx2 v[20:21], v[18:19], off
	s_movk_i32 s6, 0x7fff
	v_mov_b32_e32 v3, 0x7fc0
	s_waitcnt vmcnt(0)
	v_cvt_f32_f64_e32 v5, v[20:21]
	v_bfe_u32 v7, v5, 16, 1
	v_add3_u32 v7, v5, v7, s6
	v_lshrrev_b32_e32 v7, 16, v7
	v_cmp_o_f32_e32 vcc, v5, v5
	v_cndmask_b32_e32 v3, v3, v7, vcc
	s_mov_b64 s[6:7], 0
	s_branch .LBB48_1990
.LBB48_1988:
	s_mov_b64 s[6:7], -1
                                        ; implicit-def: $vgpr3
	s_branch .LBB48_1993
.LBB48_1989:
	s_mov_b64 s[6:7], -1
                                        ; implicit-def: $vgpr3
.LBB48_1990:
	s_andn2_b64 vcc, exec, s[6:7]
	s_cbranch_vccnz .LBB48_1992
; %bb.1991:
	global_load_dword v3, v[18:19], off
	s_movk_i32 s6, 0x7fff
	v_mov_b32_e32 v5, 0x7fc0
	s_waitcnt vmcnt(0)
	v_bfe_u32 v7, v3, 16, 1
	v_add3_u32 v7, v3, v7, s6
	v_lshrrev_b32_e32 v7, 16, v7
	v_cmp_o_f32_e32 vcc, v3, v3
	v_cndmask_b32_e32 v3, v5, v7, vcc
.LBB48_1992:
	s_mov_b64 s[6:7], 0
.LBB48_1993:
	s_andn2_b64 vcc, exec, s[6:7]
	s_cbranch_vccnz .LBB48_1995
; %bb.1994:
	global_load_ushort v3, v[18:19], off
	s_movk_i32 s6, 0x7fff
	v_mov_b32_e32 v7, 0x7fc0
	s_waitcnt vmcnt(0)
	v_cvt_f32_f16_e32 v5, v3
	v_cmp_o_f16_e32 vcc, v3, v3
	v_bfe_u32 v9, v5, 16, 1
	v_add3_u32 v5, v5, v9, s6
	v_lshrrev_b32_e32 v5, 16, v5
	v_cndmask_b32_e32 v3, v7, v5, vcc
.LBB48_1995:
	s_mov_b64 s[6:7], 0
.LBB48_1996:
	s_andn2_b64 vcc, exec, s[6:7]
	s_cbranch_vccnz .LBB48_2016
; %bb.1997:
	v_mov_b32_e32 v3, 2
	v_cmp_lt_i16_sdwa s[6:7], s25, v3 src0_sel:BYTE_0 src1_sel:DWORD
	s_and_b64 vcc, exec, s[6:7]
	s_cbranch_vccnz .LBB48_2001
; %bb.1998:
	v_mov_b32_e32 v3, 3
	v_cmp_lt_i16_sdwa s[6:7], s25, v3 src0_sel:BYTE_0 src1_sel:DWORD
	s_and_b64 vcc, exec, s[6:7]
	s_cbranch_vccnz .LBB48_2002
; %bb.1999:
	v_cmp_gt_i16_sdwa s[6:7], s25, v3 src0_sel:BYTE_0 src1_sel:DWORD
	s_and_b64 vcc, exec, s[6:7]
	s_cbranch_vccz .LBB48_2003
; %bb.2000:
	global_load_dwordx2 v[20:21], v[18:19], off
	s_movk_i32 s6, 0x7fff
	s_waitcnt vmcnt(0)
	v_xor_b32_e32 v5, v20, v21
	v_ffbh_i32_e32 v3, v21
	v_ashrrev_i32_e32 v5, 31, v5
	v_add_u32_e32 v3, -1, v3
	v_add_u32_e32 v5, 32, v5
	v_min_u32_e32 v3, v3, v5
	v_lshlrev_b64 v[20:21], v3, v[20:21]
	v_min_u32_e32 v5, 1, v20
	v_or_b32_e32 v5, v21, v5
	v_cvt_f32_i32_e32 v5, v5
	v_sub_u32_e32 v3, 32, v3
	v_ldexp_f32 v3, v5, v3
	v_bfe_u32 v5, v3, 16, 1
	v_add3_u32 v3, v3, v5, s6
	v_lshrrev_b32_e32 v3, 16, v3
	s_mov_b64 s[6:7], 0
	s_branch .LBB48_2004
.LBB48_2001:
	s_mov_b64 s[6:7], -1
                                        ; implicit-def: $vgpr3
	s_branch .LBB48_2010
.LBB48_2002:
	s_mov_b64 s[6:7], -1
                                        ; implicit-def: $vgpr3
	s_branch .LBB48_2007
.LBB48_2003:
	s_mov_b64 s[6:7], -1
                                        ; implicit-def: $vgpr3
.LBB48_2004:
	s_andn2_b64 vcc, exec, s[6:7]
	s_cbranch_vccnz .LBB48_2006
; %bb.2005:
	global_load_dword v3, v[18:19], off
	s_movk_i32 s6, 0x7fff
	s_waitcnt vmcnt(0)
	v_cvt_f32_i32_e32 v3, v3
	v_bfe_u32 v5, v3, 16, 1
	v_add3_u32 v3, v3, v5, s6
	v_lshrrev_b32_e32 v3, 16, v3
.LBB48_2006:
	s_mov_b64 s[6:7], 0
.LBB48_2007:
	s_andn2_b64 vcc, exec, s[6:7]
	s_cbranch_vccnz .LBB48_2009
; %bb.2008:
	global_load_sshort v3, v[18:19], off
	s_movk_i32 s6, 0x7fff
	s_waitcnt vmcnt(0)
	v_cvt_f32_i32_e32 v3, v3
	v_bfe_u32 v5, v3, 16, 1
	v_add3_u32 v3, v3, v5, s6
	v_lshrrev_b32_e32 v3, 16, v3
.LBB48_2009:
	s_mov_b64 s[6:7], 0
.LBB48_2010:
	s_andn2_b64 vcc, exec, s[6:7]
	s_cbranch_vccnz .LBB48_2016
; %bb.2011:
	v_mov_b32_e32 v3, 0
	v_cmp_gt_i16_sdwa s[6:7], s25, v3 src0_sel:BYTE_0 src1_sel:DWORD
	s_and_b64 vcc, exec, s[6:7]
	s_cbranch_vccz .LBB48_2013
; %bb.2012:
	global_load_sbyte v3, v[18:19], off
	s_movk_i32 s6, 0x7fff
	s_waitcnt vmcnt(0)
	v_cvt_f32_i32_e32 v3, v3
	v_bfe_u32 v5, v3, 16, 1
	v_add3_u32 v3, v3, v5, s6
	v_lshrrev_b32_e32 v3, 16, v3
	s_mov_b64 s[6:7], 0
	s_branch .LBB48_2014
.LBB48_2013:
	s_mov_b64 s[6:7], -1
                                        ; implicit-def: $vgpr3
.LBB48_2014:
	s_andn2_b64 vcc, exec, s[6:7]
	s_cbranch_vccnz .LBB48_2016
; %bb.2015:
	global_load_ubyte v3, v[18:19], off
	s_movk_i32 s6, 0x7fff
	s_waitcnt vmcnt(0)
	v_cvt_f32_ubyte0_e32 v3, v3
	v_bfe_u32 v5, v3, 16, 1
	v_add3_u32 v3, v3, v5, s6
	v_lshrrev_b32_e32 v3, 16, v3
.LBB48_2016:
.LBB48_2017:
	v_mov_b32_e32 v5, s1
	v_add_co_u32_e32 v16, vcc, s0, v16
	v_addc_co_u32_e32 v17, vcc, 0, v5, vcc
	s_and_b64 vcc, exec, s[2:3]
	s_cbranch_vccnz .LBB48_2024
; %bb.2018:
	v_cmp_gt_i16_e64 s[6:7], s26, 25
	s_mov_b64 s[16:17], 0
	s_and_b64 vcc, exec, s[6:7]
	s_cbranch_vccz .LBB48_2025
; %bb.2019:
	v_cmp_gt_i16_e64 s[6:7], s26, 28
	s_and_b64 vcc, exec, s[6:7]
	s_cbranch_vccz .LBB48_2026
; %bb.2020:
	v_cmp_gt_i16_e64 s[6:7], s26, 43
	;; [unrolled: 4-line block ×3, first 2 shown]
	s_and_b64 vcc, exec, s[6:7]
	s_cbranch_vccz .LBB48_2029
; %bb.2022:
	v_cmp_eq_u16_e64 s[6:7], s26, 46
	s_mov_b64 s[20:21], 0
	s_and_b64 vcc, exec, s[6:7]
	s_cbranch_vccz .LBB48_2030
; %bb.2023:
	global_load_dword v5, v[16:17], off
	s_mov_b64 s[6:7], 0
	s_mov_b64 s[18:19], -1
	s_branch .LBB48_2031
.LBB48_2024:
	s_mov_b64 s[6:7], -1
	s_mov_b64 s[18:19], 0
                                        ; implicit-def: $vgpr5
	s_branch .LBB48_2097
.LBB48_2025:
	s_mov_b64 s[20:21], -1
	s_mov_b64 s[18:19], 0
	s_mov_b64 s[6:7], 0
                                        ; implicit-def: $vgpr5
	s_branch .LBB48_2060
.LBB48_2026:
	s_mov_b64 s[20:21], -1
	s_mov_b64 s[18:19], 0
	s_mov_b64 s[6:7], 0
                                        ; implicit-def: $vgpr5
	s_branch .LBB48_2041
.LBB48_2027:
	s_mov_b64 s[20:21], -1
	s_mov_b64 s[18:19], 0
	s_mov_b64 s[6:7], 0
                                        ; implicit-def: $vgpr5
	s_branch .LBB48_2036
.LBB48_2028:
	s_trap 2
	s_or_b64 s[4:5], s[4:5], exec
                                        ; implicit-def: $vgpr3
	s_cbranch_execz .LBB48_1967
	s_branch .LBB48_1968
.LBB48_2029:
	s_mov_b64 s[20:21], -1
	s_mov_b64 s[18:19], 0
	s_mov_b64 s[6:7], 0
                                        ; implicit-def: $vgpr5
	s_branch .LBB48_2031
.LBB48_2030:
	s_mov_b64 s[6:7], -1
                                        ; implicit-def: $vgpr5
	s_mov_b64 s[18:19], 0
.LBB48_2031:
	s_and_b64 vcc, exec, s[20:21]
	s_cbranch_vccz .LBB48_2035
; %bb.2032:
	v_cmp_eq_u16_e64 s[6:7], s26, 44
	s_and_b64 vcc, exec, s[6:7]
	s_cbranch_vccz .LBB48_2034
; %bb.2033:
	global_load_ubyte v5, v[16:17], off
	s_movk_i32 s18, 0xff
	v_mov_b32_e32 v7, 0x7f800001
	v_mov_b32_e32 v9, 0x400000
	;; [unrolled: 1-line block ×3, first 2 shown]
	s_mov_b64 s[6:7], 0
	s_waitcnt vmcnt(0)
	v_lshlrev_b32_e32 v13, 23, v5
	v_cmp_ne_u32_e32 vcc, s18, v5
	v_cndmask_b32_e32 v7, v7, v13, vcc
	v_cmp_ne_u32_e32 vcc, 0, v5
	v_cndmask_b32_e32 v5, v9, v7, vcc
	v_add_u32_e32 v7, 0x7fff, v5
	v_lshrrev_b32_e32 v7, 16, v7
	v_cmp_o_f32_e32 vcc, v5, v5
	v_cndmask_b32_e32 v5, v11, v7, vcc
	s_mov_b64 s[18:19], -1
	s_branch .LBB48_2035
.LBB48_2034:
	s_mov_b64 s[6:7], -1
                                        ; implicit-def: $vgpr5
.LBB48_2035:
	s_mov_b64 s[20:21], 0
.LBB48_2036:
	s_and_b64 vcc, exec, s[20:21]
	s_cbranch_vccz .LBB48_2040
; %bb.2037:
	v_cmp_eq_u16_e64 s[6:7], s26, 29
	s_and_b64 vcc, exec, s[6:7]
	s_cbranch_vccz .LBB48_2039
; %bb.2038:
	global_load_dwordx2 v[18:19], v[16:17], off
	s_movk_i32 s18, 0x7fff
	s_mov_b64 s[6:7], 0
	s_mov_b64 s[20:21], 0
	s_waitcnt vmcnt(0)
	v_ffbh_u32_e32 v5, v19
	v_min_u32_e32 v5, 32, v5
	v_lshlrev_b64 v[18:19], v5, v[18:19]
	v_min_u32_e32 v7, 1, v18
	v_or_b32_e32 v7, v19, v7
	v_cvt_f32_u32_e32 v7, v7
	v_sub_u32_e32 v5, 32, v5
	v_ldexp_f32 v5, v7, v5
	v_bfe_u32 v7, v5, 16, 1
	v_add3_u32 v5, v5, v7, s18
	v_lshrrev_b32_e32 v5, 16, v5
	s_mov_b64 s[18:19], -1
	s_branch .LBB48_2041
.LBB48_2039:
	s_mov_b64 s[6:7], -1
                                        ; implicit-def: $vgpr5
.LBB48_2040:
	s_mov_b64 s[20:21], 0
.LBB48_2041:
	s_and_b64 vcc, exec, s[20:21]
	s_cbranch_vccz .LBB48_2059
; %bb.2042:
	v_cmp_lt_i16_e64 s[18:19], s26, 27
	s_and_b64 vcc, exec, s[18:19]
	s_cbranch_vccnz .LBB48_2045
; %bb.2043:
	v_cmp_gt_i16_e64 s[18:19], s26, 27
	s_and_b64 vcc, exec, s[18:19]
	s_cbranch_vccz .LBB48_2046
; %bb.2044:
	global_load_dword v5, v[16:17], off
	s_movk_i32 s18, 0x7fff
	s_waitcnt vmcnt(0)
	v_cvt_f32_u32_e32 v5, v5
	v_bfe_u32 v7, v5, 16, 1
	v_add3_u32 v5, v5, v7, s18
	v_lshrrev_b32_e32 v5, 16, v5
	s_mov_b64 s[18:19], 0
	s_branch .LBB48_2047
.LBB48_2045:
	s_mov_b64 s[18:19], -1
                                        ; implicit-def: $vgpr5
	s_branch .LBB48_2050
.LBB48_2046:
	s_mov_b64 s[18:19], -1
                                        ; implicit-def: $vgpr5
.LBB48_2047:
	s_andn2_b64 vcc, exec, s[18:19]
	s_cbranch_vccnz .LBB48_2049
; %bb.2048:
	global_load_ushort v5, v[16:17], off
	s_movk_i32 s18, 0x7fff
	s_waitcnt vmcnt(0)
	v_cvt_f32_u32_e32 v5, v5
	v_bfe_u32 v7, v5, 16, 1
	v_add3_u32 v5, v5, v7, s18
	v_lshrrev_b32_e32 v5, 16, v5
.LBB48_2049:
	s_mov_b64 s[18:19], 0
.LBB48_2050:
	s_andn2_b64 vcc, exec, s[18:19]
	s_cbranch_vccnz .LBB48_2058
; %bb.2051:
	global_load_ubyte v5, v[16:17], off
	s_movk_i32 s18, 0x7f
                                        ; implicit-def: $sgpr27
	s_waitcnt vmcnt(0)
	v_cmp_lt_i16_e32 vcc, s18, v5
	s_mov_b64 s[18:19], 0
	s_and_saveexec_b64 s[20:21], vcc
	s_xor_b64 s[20:21], exec, s[20:21]
	s_cbranch_execz .LBB48_2072
; %bb.2052:
	s_movk_i32 s18, 0x80
	v_cmp_eq_u16_e32 vcc, s18, v5
	s_mov_b64 s[18:19], -1
                                        ; implicit-def: $sgpr27
	s_and_saveexec_b64 s[22:23], vcc
; %bb.2053:
	s_mov_b32 s27, 0x7f800001
	s_xor_b64 s[18:19], exec, -1
; %bb.2054:
	s_or_b64 exec, exec, s[22:23]
	s_and_b64 s[18:19], s[18:19], exec
	s_or_saveexec_b64 s[20:21], s[20:21]
	v_mov_b32_e32 v7, s27
	s_xor_b64 exec, exec, s[20:21]
	s_cbranch_execnz .LBB48_2073
.LBB48_2055:
	s_or_b64 exec, exec, s[20:21]
	s_and_saveexec_b64 s[20:21], s[18:19]
	s_cbranch_execz .LBB48_2057
.LBB48_2056:
	v_lshlrev_b32_e32 v7, 24, v5
	v_and_b32_e32 v5, 0xffff, v5
	v_and_b32_e32 v9, 7, v5
	v_ffbh_u32_e32 v13, v9
	v_min_u32_e32 v13, 32, v13
	v_subrev_u32_e32 v15, 28, v13
	v_bfe_u32 v11, v5, 3, 4
	v_lshlrev_b32_e32 v5, v15, v5
	v_sub_u32_e32 v13, 29, v13
	v_and_b32_e32 v5, 7, v5
	v_cmp_eq_u32_e32 vcc, 0, v11
	v_cndmask_b32_e32 v11, v11, v13, vcc
	v_cndmask_b32_e32 v5, v9, v5, vcc
	v_mov_b32_e32 v9, 0x3b800000
	v_lshlrev_b32_e32 v5, 20, v5
	v_and_b32_e32 v7, 0x80000000, v7
	v_lshl_add_u32 v9, v11, 23, v9
	v_or3_b32 v7, v7, v9, v5
.LBB48_2057:
	s_or_b64 exec, exec, s[20:21]
	v_bfe_u32 v5, v7, 16, 1
	s_movk_i32 s18, 0x7fff
	v_add3_u32 v5, v7, v5, s18
	v_lshrrev_b32_e32 v5, 16, v5
	v_mov_b32_e32 v9, 0x7fc0
	v_cmp_o_f32_e32 vcc, v7, v7
	v_cndmask_b32_e32 v5, v9, v5, vcc
.LBB48_2058:
	s_mov_b64 s[18:19], -1
.LBB48_2059:
	s_mov_b64 s[20:21], 0
.LBB48_2060:
	s_and_b64 vcc, exec, s[20:21]
	s_cbranch_vccz .LBB48_2093
; %bb.2061:
	v_cmp_gt_i16_e64 s[16:17], s26, 22
	s_and_b64 vcc, exec, s[16:17]
	s_cbranch_vccz .LBB48_2071
; %bb.2062:
	v_cmp_lt_i16_e64 s[16:17], s26, 24
	s_and_b64 vcc, exec, s[16:17]
	s_cbranch_vccnz .LBB48_2074
; %bb.2063:
	v_cmp_gt_i16_e64 s[16:17], s26, 24
	s_and_b64 vcc, exec, s[16:17]
	s_cbranch_vccz .LBB48_2075
; %bb.2064:
	global_load_ubyte v5, v[16:17], off
	s_movk_i32 s16, 0x7f
                                        ; implicit-def: $sgpr22
	s_waitcnt vmcnt(0)
	v_cmp_lt_i16_e32 vcc, s16, v5
	s_mov_b64 s[16:17], 0
	s_and_saveexec_b64 s[18:19], vcc
	s_xor_b64 s[18:19], exec, s[18:19]
	s_cbranch_execz .LBB48_2087
; %bb.2065:
	s_movk_i32 s16, 0x80
	v_cmp_eq_u16_e32 vcc, s16, v5
	s_mov_b64 s[16:17], -1
                                        ; implicit-def: $sgpr22
	s_and_saveexec_b64 s[20:21], vcc
; %bb.2066:
	s_mov_b32 s22, 0x7f800001
	s_xor_b64 s[16:17], exec, -1
; %bb.2067:
	s_or_b64 exec, exec, s[20:21]
	s_and_b64 s[16:17], s[16:17], exec
	s_or_saveexec_b64 s[18:19], s[18:19]
	v_mov_b32_e32 v7, s22
	s_xor_b64 exec, exec, s[18:19]
	s_cbranch_execnz .LBB48_2088
.LBB48_2068:
	s_or_b64 exec, exec, s[18:19]
	s_and_saveexec_b64 s[18:19], s[16:17]
	s_cbranch_execz .LBB48_2070
.LBB48_2069:
	v_lshlrev_b32_e32 v7, 24, v5
	v_and_b32_e32 v5, 0xffff, v5
	v_and_b32_e32 v9, 3, v5
	v_ffbh_u32_e32 v13, v9
	v_min_u32_e32 v13, 32, v13
	v_subrev_u32_e32 v15, 29, v13
	v_bfe_u32 v11, v5, 2, 5
	v_lshlrev_b32_e32 v5, v15, v5
	v_sub_u32_e32 v13, 30, v13
	v_and_b32_e32 v5, 3, v5
	v_cmp_eq_u32_e32 vcc, 0, v11
	v_cndmask_b32_e32 v11, v11, v13, vcc
	v_cndmask_b32_e32 v5, v9, v5, vcc
	v_mov_b32_e32 v9, 0x37800000
	v_lshlrev_b32_e32 v5, 21, v5
	v_and_b32_e32 v7, 0x80000000, v7
	v_lshl_add_u32 v9, v11, 23, v9
	v_or3_b32 v7, v7, v9, v5
.LBB48_2070:
	s_or_b64 exec, exec, s[18:19]
	v_bfe_u32 v5, v7, 16, 1
	s_movk_i32 s16, 0x7fff
	v_add3_u32 v5, v7, v5, s16
	v_lshrrev_b32_e32 v5, 16, v5
	v_mov_b32_e32 v9, 0x7fc0
	v_cmp_o_f32_e32 vcc, v7, v7
	v_cndmask_b32_e32 v5, v9, v5, vcc
	s_mov_b64 s[16:17], 0
	s_branch .LBB48_2076
.LBB48_2071:
	s_mov_b64 s[16:17], -1
                                        ; implicit-def: $vgpr5
	s_branch .LBB48_2082
.LBB48_2072:
	s_or_saveexec_b64 s[20:21], s[20:21]
	v_mov_b32_e32 v7, s27
	s_xor_b64 exec, exec, s[20:21]
	s_cbranch_execz .LBB48_2055
.LBB48_2073:
	v_cmp_ne_u16_e32 vcc, 0, v5
	s_andn2_b64 s[18:19], s[18:19], exec
	s_and_b64 s[22:23], vcc, exec
	v_mov_b32_e32 v7, 0
	s_or_b64 s[18:19], s[18:19], s[22:23]
	s_or_b64 exec, exec, s[20:21]
	s_and_saveexec_b64 s[20:21], s[18:19]
	s_cbranch_execnz .LBB48_2056
	s_branch .LBB48_2057
.LBB48_2074:
	s_mov_b64 s[16:17], -1
                                        ; implicit-def: $vgpr5
	s_branch .LBB48_2079
.LBB48_2075:
	s_mov_b64 s[16:17], -1
                                        ; implicit-def: $vgpr5
.LBB48_2076:
	s_and_b64 vcc, exec, s[16:17]
	s_cbranch_vccz .LBB48_2078
; %bb.2077:
	global_load_ubyte v5, v[16:17], off
	s_mov_b32 s16, 0x7f800000
	s_brev_b32 s17, 1
	s_movk_i32 s18, 0x7fff
	v_mov_b32_e32 v7, 0x7fc0
	s_waitcnt vmcnt(0)
	v_lshlrev_b32_e32 v5, 24, v5
	v_and_b32_e32 v9, 0x7f000000, v5
	v_ffbh_u32_e32 v11, v9
	v_min_u32_e32 v11, 32, v11
	v_sub_u32_e64 v11, v11, 4 clamp
	v_lshlrev_b32_e32 v15, v11, v9
	v_lshlrev_b32_e32 v11, 23, v11
	v_lshrrev_b32_e32 v15, 4, v15
	v_add_u32_e32 v13, 0x1000000, v9
	v_sub_u32_e32 v11, v15, v11
	v_ashrrev_i32_e32 v13, 8, v13
	v_add_u32_e32 v11, 0x3c000000, v11
	v_and_or_b32 v11, v13, s16, v11
	v_cmp_ne_u32_e32 vcc, 0, v9
	v_cndmask_b32_e32 v9, 0, v11, vcc
	v_and_or_b32 v5, v5, s17, v9
	v_bfe_u32 v9, v9, 16, 1
	v_add3_u32 v9, v5, v9, s18
	v_lshrrev_b32_e32 v9, 16, v9
	v_cmp_o_f32_e32 vcc, v5, v5
	v_cndmask_b32_e32 v5, v7, v9, vcc
.LBB48_2078:
	s_mov_b64 s[16:17], 0
.LBB48_2079:
	s_andn2_b64 vcc, exec, s[16:17]
	s_cbranch_vccnz .LBB48_2081
; %bb.2080:
	global_load_ubyte v5, v[16:17], off
	s_movk_i32 s16, 0x7f00
	s_brev_b32 s17, 16
	s_brev_b32 s18, 1
	s_movk_i32 s19, 0x7fff
	v_mov_b32_e32 v7, 0x7fc0
	s_waitcnt vmcnt(0)
	v_lshlrev_b16_e32 v9, 8, v5
	v_lshlrev_b32_e32 v5, 25, v5
	v_lshrrev_b32_e32 v11, 4, v5
	v_and_or_b32 v13, v9, s16, 0.5
	v_or_b32_e32 v11, 0x70000000, v11
	v_add_f32_e32 v13, -0.5, v13
	v_mul_f32_e32 v11, 0x7800000, v11
	v_cmp_gt_u32_e32 vcc, s17, v5
	v_bfe_i32 v9, v9, 0, 16
	v_cndmask_b32_e32 v5, v11, v13, vcc
	v_and_or_b32 v9, v9, s18, v5
	v_bfe_u32 v5, v5, 16, 1
	v_add3_u32 v5, v9, v5, s19
	v_lshrrev_b32_e32 v5, 16, v5
	v_cmp_o_f32_e32 vcc, v9, v9
	v_cndmask_b32_e32 v5, v7, v5, vcc
.LBB48_2081:
	s_mov_b64 s[16:17], 0
	s_mov_b64 s[18:19], -1
.LBB48_2082:
	s_andn2_b64 vcc, exec, s[16:17]
	s_mov_b64 s[16:17], 0
	s_cbranch_vccnz .LBB48_2093
; %bb.2083:
	v_cmp_gt_i16_e64 s[16:17], s26, 14
	s_and_b64 vcc, exec, s[16:17]
	s_cbranch_vccz .LBB48_2086
; %bb.2084:
	v_cmp_eq_u16_e64 s[6:7], s26, 15
	s_and_b64 vcc, exec, s[6:7]
	s_cbranch_vccz .LBB48_2089
; %bb.2085:
	global_load_ushort v5, v[16:17], off
	s_mov_b64 s[6:7], 0
	s_mov_b64 s[18:19], -1
	s_branch .LBB48_2090
.LBB48_2086:
	s_mov_b64 s[20:21], -1
                                        ; implicit-def: $vgpr5
	s_branch .LBB48_2091
.LBB48_2087:
	s_or_saveexec_b64 s[18:19], s[18:19]
	v_mov_b32_e32 v7, s22
	s_xor_b64 exec, exec, s[18:19]
	s_cbranch_execz .LBB48_2068
.LBB48_2088:
	v_cmp_ne_u16_e32 vcc, 0, v5
	s_andn2_b64 s[16:17], s[16:17], exec
	s_and_b64 s[20:21], vcc, exec
	v_mov_b32_e32 v7, 0
	s_or_b64 s[16:17], s[16:17], s[20:21]
	s_or_b64 exec, exec, s[18:19]
	s_and_saveexec_b64 s[18:19], s[16:17]
	s_cbranch_execnz .LBB48_2069
	s_branch .LBB48_2070
.LBB48_2089:
	s_mov_b64 s[6:7], -1
                                        ; implicit-def: $vgpr5
.LBB48_2090:
	s_mov_b64 s[20:21], 0
.LBB48_2091:
	s_mov_b64 s[16:17], 0
	s_and_b64 vcc, exec, s[20:21]
	s_cbranch_vccz .LBB48_2093
; %bb.2092:
	v_cmp_ne_u16_e64 s[6:7], s26, 11
	s_mov_b64 s[16:17], -1
                                        ; implicit-def: $vgpr5
.LBB48_2093:
	s_and_b64 vcc, exec, s[6:7]
	s_cbranch_vccnz .LBB48_2160
; %bb.2094:
	s_andn2_b64 vcc, exec, s[16:17]
	s_cbranch_vccnz .LBB48_2096
.LBB48_2095:
	global_load_ubyte v5, v[16:17], off
	s_mov_b64 s[18:19], -1
	s_waitcnt vmcnt(0)
	v_cmp_ne_u16_e32 vcc, 0, v5
	v_cndmask_b32_e64 v5, 0, 1.0, vcc
	v_lshrrev_b32_e32 v5, 16, v5
.LBB48_2096:
	s_mov_b64 s[6:7], 0
.LBB48_2097:
	s_and_b64 vcc, exec, s[6:7]
	s_cbranch_vccz .LBB48_2146
; %bb.2098:
	v_cmp_lt_i16_e64 s[6:7], s26, 5
	s_and_b64 vcc, exec, s[6:7]
	s_cbranch_vccnz .LBB48_2103
; %bb.2099:
	v_cmp_lt_i16_e64 s[6:7], s26, 8
	s_and_b64 vcc, exec, s[6:7]
	s_cbranch_vccnz .LBB48_2104
	;; [unrolled: 4-line block ×3, first 2 shown]
; %bb.2101:
	v_cmp_gt_i16_e64 s[6:7], s26, 9
	s_and_b64 vcc, exec, s[6:7]
	s_cbranch_vccz .LBB48_2106
; %bb.2102:
	global_load_dwordx2 v[18:19], v[16:17], off
	s_movk_i32 s6, 0x7fff
	s_waitcnt vmcnt(1)
	v_mov_b32_e32 v5, 0x7fc0
	s_waitcnt vmcnt(0)
	v_cvt_f32_f64_e32 v7, v[18:19]
	v_bfe_u32 v9, v7, 16, 1
	v_add3_u32 v9, v7, v9, s6
	v_lshrrev_b32_e32 v9, 16, v9
	v_cmp_o_f32_e32 vcc, v7, v7
	v_cndmask_b32_e32 v5, v5, v9, vcc
	s_mov_b64 s[6:7], 0
	s_branch .LBB48_2107
.LBB48_2103:
	s_mov_b64 s[6:7], -1
                                        ; implicit-def: $vgpr5
	s_branch .LBB48_2125
.LBB48_2104:
	s_mov_b64 s[6:7], -1
                                        ; implicit-def: $vgpr5
	s_branch .LBB48_2113
.LBB48_2105:
	s_mov_b64 s[6:7], -1
                                        ; implicit-def: $vgpr5
	s_branch .LBB48_2110
.LBB48_2106:
	s_mov_b64 s[6:7], -1
                                        ; implicit-def: $vgpr5
.LBB48_2107:
	s_andn2_b64 vcc, exec, s[6:7]
	s_cbranch_vccnz .LBB48_2109
; %bb.2108:
	global_load_dword v5, v[16:17], off
	s_movk_i32 s6, 0x7fff
	v_mov_b32_e32 v7, 0x7fc0
	s_waitcnt vmcnt(0)
	v_bfe_u32 v9, v5, 16, 1
	v_add3_u32 v9, v5, v9, s6
	v_lshrrev_b32_e32 v9, 16, v9
	v_cmp_o_f32_e32 vcc, v5, v5
	v_cndmask_b32_e32 v5, v7, v9, vcc
.LBB48_2109:
	s_mov_b64 s[6:7], 0
.LBB48_2110:
	s_andn2_b64 vcc, exec, s[6:7]
	s_cbranch_vccnz .LBB48_2112
; %bb.2111:
	global_load_dword v5, v[16:17], off
	s_movk_i32 s6, 0x7fff
	v_mov_b32_e32 v9, 0x7fc0
	s_waitcnt vmcnt(0)
	v_cvt_f32_f16_e32 v7, v5
	v_cmp_o_f16_e32 vcc, v5, v5
	v_bfe_u32 v11, v7, 16, 1
	v_add3_u32 v7, v7, v11, s6
	v_lshrrev_b32_e32 v7, 16, v7
	v_cndmask_b32_e32 v5, v9, v7, vcc
.LBB48_2112:
	s_mov_b64 s[6:7], 0
.LBB48_2113:
	s_andn2_b64 vcc, exec, s[6:7]
	s_cbranch_vccnz .LBB48_2124
; %bb.2114:
	v_cmp_lt_i16_e64 s[6:7], s26, 6
	s_and_b64 vcc, exec, s[6:7]
	s_cbranch_vccnz .LBB48_2117
; %bb.2115:
	v_cmp_gt_i16_e64 s[6:7], s26, 6
	s_and_b64 vcc, exec, s[6:7]
	s_cbranch_vccz .LBB48_2118
; %bb.2116:
	global_load_dwordx2 v[18:19], v[16:17], off
	s_movk_i32 s6, 0x7fff
	s_waitcnt vmcnt(1)
	v_mov_b32_e32 v5, 0x7fc0
	s_waitcnt vmcnt(0)
	v_cvt_f32_f64_e32 v7, v[18:19]
	v_bfe_u32 v9, v7, 16, 1
	v_add3_u32 v9, v7, v9, s6
	v_lshrrev_b32_e32 v9, 16, v9
	v_cmp_o_f32_e32 vcc, v7, v7
	v_cndmask_b32_e32 v5, v5, v9, vcc
	s_mov_b64 s[6:7], 0
	s_branch .LBB48_2119
.LBB48_2117:
	s_mov_b64 s[6:7], -1
                                        ; implicit-def: $vgpr5
	s_branch .LBB48_2122
.LBB48_2118:
	s_mov_b64 s[6:7], -1
                                        ; implicit-def: $vgpr5
.LBB48_2119:
	s_andn2_b64 vcc, exec, s[6:7]
	s_cbranch_vccnz .LBB48_2121
; %bb.2120:
	global_load_dword v5, v[16:17], off
	s_movk_i32 s6, 0x7fff
	v_mov_b32_e32 v7, 0x7fc0
	s_waitcnt vmcnt(0)
	v_bfe_u32 v9, v5, 16, 1
	v_add3_u32 v9, v5, v9, s6
	v_lshrrev_b32_e32 v9, 16, v9
	v_cmp_o_f32_e32 vcc, v5, v5
	v_cndmask_b32_e32 v5, v7, v9, vcc
.LBB48_2121:
	s_mov_b64 s[6:7], 0
.LBB48_2122:
	s_andn2_b64 vcc, exec, s[6:7]
	s_cbranch_vccnz .LBB48_2124
; %bb.2123:
	global_load_ushort v5, v[16:17], off
	s_movk_i32 s6, 0x7fff
	v_mov_b32_e32 v9, 0x7fc0
	s_waitcnt vmcnt(0)
	v_cvt_f32_f16_e32 v7, v5
	v_cmp_o_f16_e32 vcc, v5, v5
	v_bfe_u32 v11, v7, 16, 1
	v_add3_u32 v7, v7, v11, s6
	v_lshrrev_b32_e32 v7, 16, v7
	v_cndmask_b32_e32 v5, v9, v7, vcc
.LBB48_2124:
	s_mov_b64 s[6:7], 0
.LBB48_2125:
	s_andn2_b64 vcc, exec, s[6:7]
	s_cbranch_vccnz .LBB48_2145
; %bb.2126:
	v_cmp_lt_i16_e64 s[6:7], s26, 2
	s_and_b64 vcc, exec, s[6:7]
	s_cbranch_vccnz .LBB48_2130
; %bb.2127:
	v_cmp_lt_i16_e64 s[6:7], s26, 3
	s_and_b64 vcc, exec, s[6:7]
	s_cbranch_vccnz .LBB48_2131
; %bb.2128:
	v_cmp_gt_i16_e64 s[6:7], s26, 3
	s_and_b64 vcc, exec, s[6:7]
	s_cbranch_vccz .LBB48_2132
; %bb.2129:
	global_load_dwordx2 v[18:19], v[16:17], off
	s_movk_i32 s6, 0x7fff
	s_waitcnt vmcnt(0)
	v_xor_b32_e32 v7, v18, v19
	v_ffbh_i32_e32 v5, v19
	v_ashrrev_i32_e32 v7, 31, v7
	v_add_u32_e32 v5, -1, v5
	v_add_u32_e32 v7, 32, v7
	v_min_u32_e32 v5, v5, v7
	v_lshlrev_b64 v[18:19], v5, v[18:19]
	v_min_u32_e32 v7, 1, v18
	v_or_b32_e32 v7, v19, v7
	v_cvt_f32_i32_e32 v7, v7
	v_sub_u32_e32 v5, 32, v5
	v_ldexp_f32 v5, v7, v5
	v_bfe_u32 v7, v5, 16, 1
	v_add3_u32 v5, v5, v7, s6
	v_lshrrev_b32_e32 v5, 16, v5
	s_mov_b64 s[6:7], 0
	s_branch .LBB48_2133
.LBB48_2130:
	s_mov_b64 s[6:7], -1
                                        ; implicit-def: $vgpr5
	s_branch .LBB48_2139
.LBB48_2131:
	s_mov_b64 s[6:7], -1
                                        ; implicit-def: $vgpr5
	s_branch .LBB48_2136
.LBB48_2132:
	s_mov_b64 s[6:7], -1
                                        ; implicit-def: $vgpr5
.LBB48_2133:
	s_andn2_b64 vcc, exec, s[6:7]
	s_cbranch_vccnz .LBB48_2135
; %bb.2134:
	global_load_dword v5, v[16:17], off
	s_movk_i32 s6, 0x7fff
	s_waitcnt vmcnt(0)
	v_cvt_f32_i32_e32 v5, v5
	v_bfe_u32 v7, v5, 16, 1
	v_add3_u32 v5, v5, v7, s6
	v_lshrrev_b32_e32 v5, 16, v5
.LBB48_2135:
	s_mov_b64 s[6:7], 0
.LBB48_2136:
	s_andn2_b64 vcc, exec, s[6:7]
	s_cbranch_vccnz .LBB48_2138
; %bb.2137:
	global_load_sshort v5, v[16:17], off
	s_movk_i32 s6, 0x7fff
	s_waitcnt vmcnt(0)
	v_cvt_f32_i32_e32 v5, v5
	v_bfe_u32 v7, v5, 16, 1
	v_add3_u32 v5, v5, v7, s6
	v_lshrrev_b32_e32 v5, 16, v5
.LBB48_2138:
	s_mov_b64 s[6:7], 0
.LBB48_2139:
	s_andn2_b64 vcc, exec, s[6:7]
	s_cbranch_vccnz .LBB48_2145
; %bb.2140:
	v_cmp_gt_i16_e64 s[6:7], s26, 0
	s_and_b64 vcc, exec, s[6:7]
	s_cbranch_vccz .LBB48_2142
; %bb.2141:
	global_load_sbyte v5, v[16:17], off
	s_movk_i32 s6, 0x7fff
	s_waitcnt vmcnt(0)
	v_cvt_f32_i32_e32 v5, v5
	v_bfe_u32 v7, v5, 16, 1
	v_add3_u32 v5, v5, v7, s6
	v_lshrrev_b32_e32 v5, 16, v5
	s_mov_b64 s[6:7], 0
	s_branch .LBB48_2143
.LBB48_2142:
	s_mov_b64 s[6:7], -1
                                        ; implicit-def: $vgpr5
.LBB48_2143:
	s_andn2_b64 vcc, exec, s[6:7]
	s_cbranch_vccnz .LBB48_2145
; %bb.2144:
	global_load_ubyte v5, v[16:17], off
	s_movk_i32 s6, 0x7fff
	s_waitcnt vmcnt(0)
	v_cvt_f32_ubyte0_e32 v5, v5
	v_bfe_u32 v7, v5, 16, 1
	v_add3_u32 v5, v5, v7, s6
	v_lshrrev_b32_e32 v5, 16, v5
.LBB48_2145:
	s_mov_b64 s[18:19], -1
.LBB48_2146:
	s_andn2_b64 vcc, exec, s[18:19]
	s_cbranch_vccnz .LBB48_2682
; %bb.2147:
	s_waitcnt vmcnt(0)
	v_lshlrev_b32_e32 v7, 16, v3
	v_cmp_nlt_f32_e32 vcc, 0, v7
	s_and_saveexec_b64 s[6:7], vcc
; %bb.2148:
	v_lshlrev_b32_e32 v3, 16, v5
	v_mul_f32_e32 v3, v7, v3
	v_bfe_u32 v5, v3, 16, 1
	s_movk_i32 s16, 0x7fff
	v_add3_u32 v5, v3, v5, s16
	v_lshrrev_b32_e32 v5, 16, v5
	v_mov_b32_e32 v7, 0x7fc0
	v_cmp_o_f32_e32 vcc, v3, v3
	v_cndmask_b32_e32 v3, v7, v5, vcc
; %bb.2149:
	s_or_b64 exec, exec, s[6:7]
	v_mov_b32_e32 v5, s11
	v_add_co_u32_e32 v14, vcc, s10, v14
	v_addc_co_u32_e32 v15, vcc, 0, v5, vcc
	v_mov_b32_e32 v5, 11
	v_cmp_lt_i16_sdwa s[6:7], s25, v5 src0_sel:BYTE_0 src1_sel:DWORD
	s_and_b64 vcc, exec, s[6:7]
	s_cbranch_vccnz .LBB48_2156
; %bb.2150:
	v_mov_b32_e32 v5, 25
	v_cmp_gt_i16_sdwa s[6:7], s25, v5 src0_sel:BYTE_0 src1_sel:DWORD
	s_mov_b64 s[16:17], 0
	s_and_b64 vcc, exec, s[6:7]
	s_cbranch_vccz .LBB48_2157
; %bb.2151:
	v_mov_b32_e32 v5, 28
	v_cmp_gt_i16_sdwa s[6:7], s25, v5 src0_sel:BYTE_0 src1_sel:DWORD
	s_and_b64 vcc, exec, s[6:7]
	s_cbranch_vccz .LBB48_2158
; %bb.2152:
	v_mov_b32_e32 v5, 43
	v_cmp_gt_i16_sdwa s[6:7], s25, v5 src0_sel:BYTE_0 src1_sel:DWORD
	;; [unrolled: 5-line block ×3, first 2 shown]
	s_and_b64 vcc, exec, s[6:7]
	s_cbranch_vccz .LBB48_2161
; %bb.2154:
	v_mov_b32_e32 v5, 46
	v_cmp_eq_u16_sdwa s[6:7], s25, v5 src0_sel:BYTE_0 src1_sel:DWORD
	s_mov_b64 s[20:21], 0
	s_and_b64 vcc, exec, s[6:7]
	s_cbranch_vccz .LBB48_2162
; %bb.2155:
	global_load_dword v16, v[14:15], off
	s_mov_b64 s[6:7], 0
	s_mov_b64 s[18:19], -1
	s_branch .LBB48_2163
.LBB48_2156:
	s_mov_b64 s[6:7], -1
	s_mov_b64 s[18:19], 0
                                        ; implicit-def: $vgpr16
	s_branch .LBB48_2229
.LBB48_2157:
	s_mov_b64 s[20:21], -1
	s_mov_b64 s[18:19], 0
	s_mov_b64 s[6:7], 0
                                        ; implicit-def: $vgpr16
	s_branch .LBB48_2192
.LBB48_2158:
	s_mov_b64 s[20:21], -1
	s_mov_b64 s[18:19], 0
	s_mov_b64 s[6:7], 0
                                        ; implicit-def: $vgpr16
	s_branch .LBB48_2173
.LBB48_2159:
	s_mov_b64 s[20:21], -1
	s_mov_b64 s[18:19], 0
	s_mov_b64 s[6:7], 0
                                        ; implicit-def: $vgpr16
	s_branch .LBB48_2168
.LBB48_2160:
	s_trap 2
	s_or_b64 s[4:5], s[4:5], exec
                                        ; implicit-def: $vgpr5
	s_cbranch_execz .LBB48_2095
	s_branch .LBB48_2096
.LBB48_2161:
	s_mov_b64 s[20:21], -1
	s_mov_b64 s[18:19], 0
	s_mov_b64 s[6:7], 0
                                        ; implicit-def: $vgpr16
	s_branch .LBB48_2163
.LBB48_2162:
	s_mov_b64 s[6:7], -1
                                        ; implicit-def: $vgpr16
	s_mov_b64 s[18:19], 0
.LBB48_2163:
	s_and_b64 vcc, exec, s[20:21]
	s_cbranch_vccz .LBB48_2167
; %bb.2164:
	v_mov_b32_e32 v5, 44
	v_cmp_eq_u16_sdwa s[6:7], s25, v5 src0_sel:BYTE_0 src1_sel:DWORD
	s_and_b64 vcc, exec, s[6:7]
	s_cbranch_vccz .LBB48_2166
; %bb.2165:
	global_load_ubyte v5, v[14:15], off
	s_movk_i32 s18, 0xff
	v_mov_b32_e32 v7, 0x7f800001
	v_mov_b32_e32 v9, 0x400000
	;; [unrolled: 1-line block ×3, first 2 shown]
	s_mov_b64 s[6:7], 0
	s_waitcnt vmcnt(0)
	v_lshlrev_b32_e32 v13, 23, v5
	v_cmp_ne_u32_e32 vcc, s18, v5
	v_cndmask_b32_e32 v7, v7, v13, vcc
	v_cmp_ne_u32_e32 vcc, 0, v5
	v_cndmask_b32_e32 v5, v9, v7, vcc
	v_add_u32_e32 v7, 0x7fff, v5
	v_lshrrev_b32_e32 v7, 16, v7
	v_cmp_o_f32_e32 vcc, v5, v5
	v_cndmask_b32_e32 v16, v11, v7, vcc
	s_mov_b64 s[18:19], -1
	s_branch .LBB48_2167
.LBB48_2166:
	s_mov_b64 s[6:7], -1
                                        ; implicit-def: $vgpr16
.LBB48_2167:
	s_mov_b64 s[20:21], 0
.LBB48_2168:
	s_and_b64 vcc, exec, s[20:21]
	s_cbranch_vccz .LBB48_2172
; %bb.2169:
	v_mov_b32_e32 v5, 29
	v_cmp_eq_u16_sdwa s[6:7], s25, v5 src0_sel:BYTE_0 src1_sel:DWORD
	s_and_b64 vcc, exec, s[6:7]
	s_cbranch_vccz .LBB48_2171
; %bb.2170:
	global_load_dwordx2 v[16:17], v[14:15], off
	s_movk_i32 s18, 0x7fff
	s_mov_b64 s[6:7], 0
	s_mov_b64 s[20:21], 0
	s_waitcnt vmcnt(0)
	v_ffbh_u32_e32 v5, v17
	v_min_u32_e32 v5, 32, v5
	v_lshlrev_b64 v[16:17], v5, v[16:17]
	v_min_u32_e32 v7, 1, v16
	v_or_b32_e32 v7, v17, v7
	v_cvt_f32_u32_e32 v7, v7
	v_sub_u32_e32 v5, 32, v5
	v_ldexp_f32 v5, v7, v5
	v_bfe_u32 v7, v5, 16, 1
	v_add3_u32 v5, v5, v7, s18
	v_lshrrev_b32_e32 v16, 16, v5
	s_mov_b64 s[18:19], -1
	s_branch .LBB48_2173
.LBB48_2171:
	s_mov_b64 s[6:7], -1
                                        ; implicit-def: $vgpr16
.LBB48_2172:
	s_mov_b64 s[20:21], 0
.LBB48_2173:
	s_and_b64 vcc, exec, s[20:21]
	s_cbranch_vccz .LBB48_2191
; %bb.2174:
	v_mov_b32_e32 v5, 27
	v_cmp_lt_i16_sdwa s[18:19], s25, v5 src0_sel:BYTE_0 src1_sel:DWORD
	s_and_b64 vcc, exec, s[18:19]
	s_cbranch_vccnz .LBB48_2177
; %bb.2175:
	v_cmp_gt_i16_sdwa s[18:19], s25, v5 src0_sel:BYTE_0 src1_sel:DWORD
	s_and_b64 vcc, exec, s[18:19]
	s_cbranch_vccz .LBB48_2178
; %bb.2176:
	global_load_dword v5, v[14:15], off
	s_movk_i32 s18, 0x7fff
	s_waitcnt vmcnt(0)
	v_cvt_f32_u32_e32 v5, v5
	v_bfe_u32 v7, v5, 16, 1
	v_add3_u32 v5, v5, v7, s18
	v_lshrrev_b32_e32 v16, 16, v5
	s_mov_b64 s[18:19], 0
	s_branch .LBB48_2179
.LBB48_2177:
	s_mov_b64 s[18:19], -1
                                        ; implicit-def: $vgpr16
	s_branch .LBB48_2182
.LBB48_2178:
	s_mov_b64 s[18:19], -1
                                        ; implicit-def: $vgpr16
.LBB48_2179:
	s_andn2_b64 vcc, exec, s[18:19]
	s_cbranch_vccnz .LBB48_2181
; %bb.2180:
	global_load_ushort v5, v[14:15], off
	s_movk_i32 s18, 0x7fff
	s_waitcnt vmcnt(0)
	v_cvt_f32_u32_e32 v5, v5
	v_bfe_u32 v7, v5, 16, 1
	v_add3_u32 v5, v5, v7, s18
	v_lshrrev_b32_e32 v16, 16, v5
.LBB48_2181:
	s_mov_b64 s[18:19], 0
.LBB48_2182:
	s_andn2_b64 vcc, exec, s[18:19]
	s_cbranch_vccnz .LBB48_2190
; %bb.2183:
	global_load_ubyte v5, v[14:15], off
	s_movk_i32 s18, 0x7f
                                        ; implicit-def: $sgpr27
	s_waitcnt vmcnt(0)
	v_cmp_lt_i16_e32 vcc, s18, v5
	s_mov_b64 s[18:19], 0
	s_and_saveexec_b64 s[20:21], vcc
	s_xor_b64 s[20:21], exec, s[20:21]
	s_cbranch_execz .LBB48_2204
; %bb.2184:
	s_movk_i32 s18, 0x80
	v_cmp_eq_u16_e32 vcc, s18, v5
	s_mov_b64 s[18:19], -1
                                        ; implicit-def: $sgpr27
	s_and_saveexec_b64 s[22:23], vcc
; %bb.2185:
	s_mov_b32 s27, 0x7f800001
	s_xor_b64 s[18:19], exec, -1
; %bb.2186:
	s_or_b64 exec, exec, s[22:23]
	s_and_b64 s[18:19], s[18:19], exec
	s_or_saveexec_b64 s[20:21], s[20:21]
	v_mov_b32_e32 v7, s27
	s_xor_b64 exec, exec, s[20:21]
	s_cbranch_execnz .LBB48_2205
.LBB48_2187:
	s_or_b64 exec, exec, s[20:21]
	s_and_saveexec_b64 s[20:21], s[18:19]
	s_cbranch_execz .LBB48_2189
.LBB48_2188:
	v_lshlrev_b32_e32 v7, 24, v5
	v_and_b32_e32 v5, 0xffff, v5
	v_and_b32_e32 v9, 7, v5
	v_ffbh_u32_e32 v13, v9
	v_min_u32_e32 v13, 32, v13
	v_subrev_u32_e32 v16, 28, v13
	v_bfe_u32 v11, v5, 3, 4
	v_lshlrev_b32_e32 v5, v16, v5
	v_sub_u32_e32 v13, 29, v13
	v_and_b32_e32 v5, 7, v5
	v_cmp_eq_u32_e32 vcc, 0, v11
	v_cndmask_b32_e32 v11, v11, v13, vcc
	v_cndmask_b32_e32 v5, v9, v5, vcc
	v_mov_b32_e32 v9, 0x3b800000
	v_lshlrev_b32_e32 v5, 20, v5
	v_and_b32_e32 v7, 0x80000000, v7
	v_lshl_add_u32 v9, v11, 23, v9
	v_or3_b32 v7, v7, v9, v5
.LBB48_2189:
	s_or_b64 exec, exec, s[20:21]
	v_bfe_u32 v5, v7, 16, 1
	s_movk_i32 s18, 0x7fff
	v_add3_u32 v5, v7, v5, s18
	v_lshrrev_b32_e32 v5, 16, v5
	v_mov_b32_e32 v9, 0x7fc0
	v_cmp_o_f32_e32 vcc, v7, v7
	v_cndmask_b32_e32 v16, v9, v5, vcc
.LBB48_2190:
	s_mov_b64 s[18:19], -1
.LBB48_2191:
	s_mov_b64 s[20:21], 0
.LBB48_2192:
	s_and_b64 vcc, exec, s[20:21]
	s_cbranch_vccz .LBB48_2225
; %bb.2193:
	v_mov_b32_e32 v5, 22
	v_cmp_gt_i16_sdwa s[16:17], s25, v5 src0_sel:BYTE_0 src1_sel:DWORD
	s_and_b64 vcc, exec, s[16:17]
	s_cbranch_vccz .LBB48_2203
; %bb.2194:
	v_mov_b32_e32 v5, 24
	v_cmp_lt_i16_sdwa s[16:17], s25, v5 src0_sel:BYTE_0 src1_sel:DWORD
	s_and_b64 vcc, exec, s[16:17]
	s_cbranch_vccnz .LBB48_2206
; %bb.2195:
	v_cmp_gt_i16_sdwa s[16:17], s25, v5 src0_sel:BYTE_0 src1_sel:DWORD
	s_and_b64 vcc, exec, s[16:17]
	s_cbranch_vccz .LBB48_2207
; %bb.2196:
	global_load_ubyte v5, v[14:15], off
	s_movk_i32 s16, 0x7f
                                        ; implicit-def: $sgpr22
	s_waitcnt vmcnt(0)
	v_cmp_lt_i16_e32 vcc, s16, v5
	s_mov_b64 s[16:17], 0
	s_and_saveexec_b64 s[18:19], vcc
	s_xor_b64 s[18:19], exec, s[18:19]
	s_cbranch_execz .LBB48_2219
; %bb.2197:
	s_movk_i32 s16, 0x80
	v_cmp_eq_u16_e32 vcc, s16, v5
	s_mov_b64 s[16:17], -1
                                        ; implicit-def: $sgpr22
	s_and_saveexec_b64 s[20:21], vcc
; %bb.2198:
	s_mov_b32 s22, 0x7f800001
	s_xor_b64 s[16:17], exec, -1
; %bb.2199:
	s_or_b64 exec, exec, s[20:21]
	s_and_b64 s[16:17], s[16:17], exec
	s_or_saveexec_b64 s[18:19], s[18:19]
	v_mov_b32_e32 v7, s22
	s_xor_b64 exec, exec, s[18:19]
	s_cbranch_execnz .LBB48_2220
.LBB48_2200:
	s_or_b64 exec, exec, s[18:19]
	s_and_saveexec_b64 s[18:19], s[16:17]
	s_cbranch_execz .LBB48_2202
.LBB48_2201:
	v_lshlrev_b32_e32 v7, 24, v5
	v_and_b32_e32 v5, 0xffff, v5
	v_and_b32_e32 v9, 3, v5
	v_ffbh_u32_e32 v13, v9
	v_min_u32_e32 v13, 32, v13
	v_subrev_u32_e32 v16, 29, v13
	v_bfe_u32 v11, v5, 2, 5
	v_lshlrev_b32_e32 v5, v16, v5
	v_sub_u32_e32 v13, 30, v13
	v_and_b32_e32 v5, 3, v5
	v_cmp_eq_u32_e32 vcc, 0, v11
	v_cndmask_b32_e32 v11, v11, v13, vcc
	v_cndmask_b32_e32 v5, v9, v5, vcc
	v_mov_b32_e32 v9, 0x37800000
	v_lshlrev_b32_e32 v5, 21, v5
	v_and_b32_e32 v7, 0x80000000, v7
	v_lshl_add_u32 v9, v11, 23, v9
	v_or3_b32 v7, v7, v9, v5
.LBB48_2202:
	s_or_b64 exec, exec, s[18:19]
	v_bfe_u32 v5, v7, 16, 1
	s_movk_i32 s16, 0x7fff
	v_add3_u32 v5, v7, v5, s16
	v_lshrrev_b32_e32 v5, 16, v5
	v_mov_b32_e32 v9, 0x7fc0
	v_cmp_o_f32_e32 vcc, v7, v7
	v_cndmask_b32_e32 v16, v9, v5, vcc
	s_mov_b64 s[16:17], 0
	s_branch .LBB48_2208
.LBB48_2203:
	s_mov_b64 s[16:17], -1
                                        ; implicit-def: $vgpr16
	s_branch .LBB48_2214
.LBB48_2204:
	s_or_saveexec_b64 s[20:21], s[20:21]
	v_mov_b32_e32 v7, s27
	s_xor_b64 exec, exec, s[20:21]
	s_cbranch_execz .LBB48_2187
.LBB48_2205:
	v_cmp_ne_u16_e32 vcc, 0, v5
	s_andn2_b64 s[18:19], s[18:19], exec
	s_and_b64 s[22:23], vcc, exec
	v_mov_b32_e32 v7, 0
	s_or_b64 s[18:19], s[18:19], s[22:23]
	s_or_b64 exec, exec, s[20:21]
	s_and_saveexec_b64 s[20:21], s[18:19]
	s_cbranch_execnz .LBB48_2188
	s_branch .LBB48_2189
.LBB48_2206:
	s_mov_b64 s[16:17], -1
                                        ; implicit-def: $vgpr16
	s_branch .LBB48_2211
.LBB48_2207:
	s_mov_b64 s[16:17], -1
                                        ; implicit-def: $vgpr16
.LBB48_2208:
	s_and_b64 vcc, exec, s[16:17]
	s_cbranch_vccz .LBB48_2210
; %bb.2209:
	global_load_ubyte v5, v[14:15], off
	s_mov_b32 s16, 0x7f800000
	s_brev_b32 s17, 1
	s_movk_i32 s18, 0x7fff
	v_mov_b32_e32 v7, 0x7fc0
	s_waitcnt vmcnt(0)
	v_lshlrev_b32_e32 v5, 24, v5
	v_and_b32_e32 v9, 0x7f000000, v5
	v_ffbh_u32_e32 v11, v9
	v_min_u32_e32 v11, 32, v11
	v_sub_u32_e64 v11, v11, 4 clamp
	v_lshlrev_b32_e32 v16, v11, v9
	v_lshlrev_b32_e32 v11, 23, v11
	v_lshrrev_b32_e32 v16, 4, v16
	v_add_u32_e32 v13, 0x1000000, v9
	v_sub_u32_e32 v11, v16, v11
	v_ashrrev_i32_e32 v13, 8, v13
	v_add_u32_e32 v11, 0x3c000000, v11
	v_and_or_b32 v11, v13, s16, v11
	v_cmp_ne_u32_e32 vcc, 0, v9
	v_cndmask_b32_e32 v9, 0, v11, vcc
	v_and_or_b32 v5, v5, s17, v9
	v_bfe_u32 v9, v9, 16, 1
	v_add3_u32 v9, v5, v9, s18
	v_lshrrev_b32_e32 v9, 16, v9
	v_cmp_o_f32_e32 vcc, v5, v5
	v_cndmask_b32_e32 v16, v7, v9, vcc
.LBB48_2210:
	s_mov_b64 s[16:17], 0
.LBB48_2211:
	s_andn2_b64 vcc, exec, s[16:17]
	s_cbranch_vccnz .LBB48_2213
; %bb.2212:
	global_load_ubyte v5, v[14:15], off
	s_movk_i32 s16, 0x7f00
	s_brev_b32 s17, 16
	s_brev_b32 s18, 1
	s_movk_i32 s19, 0x7fff
	v_mov_b32_e32 v7, 0x7fc0
	s_waitcnt vmcnt(0)
	v_lshlrev_b16_e32 v9, 8, v5
	v_lshlrev_b32_e32 v5, 25, v5
	v_lshrrev_b32_e32 v11, 4, v5
	v_and_or_b32 v13, v9, s16, 0.5
	v_or_b32_e32 v11, 0x70000000, v11
	v_add_f32_e32 v13, -0.5, v13
	v_mul_f32_e32 v11, 0x7800000, v11
	v_cmp_gt_u32_e32 vcc, s17, v5
	v_bfe_i32 v9, v9, 0, 16
	v_cndmask_b32_e32 v5, v11, v13, vcc
	v_and_or_b32 v9, v9, s18, v5
	v_bfe_u32 v5, v5, 16, 1
	v_add3_u32 v5, v9, v5, s19
	v_lshrrev_b32_e32 v5, 16, v5
	v_cmp_o_f32_e32 vcc, v9, v9
	v_cndmask_b32_e32 v16, v7, v5, vcc
.LBB48_2213:
	s_mov_b64 s[16:17], 0
	s_mov_b64 s[18:19], -1
.LBB48_2214:
	s_andn2_b64 vcc, exec, s[16:17]
	s_mov_b64 s[16:17], 0
	s_cbranch_vccnz .LBB48_2225
; %bb.2215:
	v_mov_b32_e32 v5, 14
	v_cmp_gt_i16_sdwa s[16:17], s25, v5 src0_sel:BYTE_0 src1_sel:DWORD
	s_and_b64 vcc, exec, s[16:17]
	s_cbranch_vccz .LBB48_2218
; %bb.2216:
	v_mov_b32_e32 v5, 15
	v_cmp_eq_u16_sdwa s[6:7], s25, v5 src0_sel:BYTE_0 src1_sel:DWORD
	s_and_b64 vcc, exec, s[6:7]
	s_cbranch_vccz .LBB48_2221
; %bb.2217:
	global_load_ushort v16, v[14:15], off
	s_mov_b64 s[6:7], 0
	s_mov_b64 s[18:19], -1
	s_branch .LBB48_2222
.LBB48_2218:
	s_mov_b64 s[20:21], -1
                                        ; implicit-def: $vgpr16
	s_branch .LBB48_2223
.LBB48_2219:
	s_or_saveexec_b64 s[18:19], s[18:19]
	v_mov_b32_e32 v7, s22
	s_xor_b64 exec, exec, s[18:19]
	s_cbranch_execz .LBB48_2200
.LBB48_2220:
	v_cmp_ne_u16_e32 vcc, 0, v5
	s_andn2_b64 s[16:17], s[16:17], exec
	s_and_b64 s[20:21], vcc, exec
	v_mov_b32_e32 v7, 0
	s_or_b64 s[16:17], s[16:17], s[20:21]
	s_or_b64 exec, exec, s[18:19]
	s_and_saveexec_b64 s[18:19], s[16:17]
	s_cbranch_execnz .LBB48_2201
	s_branch .LBB48_2202
.LBB48_2221:
	s_mov_b64 s[6:7], -1
                                        ; implicit-def: $vgpr16
.LBB48_2222:
	s_mov_b64 s[20:21], 0
.LBB48_2223:
	s_mov_b64 s[16:17], 0
	s_and_b64 vcc, exec, s[20:21]
	s_cbranch_vccz .LBB48_2225
; %bb.2224:
	v_mov_b32_e32 v5, 11
	v_cmp_ne_u16_sdwa s[6:7], s25, v5 src0_sel:BYTE_0 src1_sel:DWORD
	s_mov_b64 s[16:17], -1
                                        ; implicit-def: $vgpr16
.LBB48_2225:
	s_and_b64 vcc, exec, s[6:7]
	s_cbranch_vccnz .LBB48_2290
; %bb.2226:
	s_andn2_b64 vcc, exec, s[16:17]
	s_cbranch_vccnz .LBB48_2228
.LBB48_2227:
	global_load_ubyte v5, v[14:15], off
	s_mov_b64 s[18:19], -1
	s_waitcnt vmcnt(0)
	v_cmp_ne_u16_e32 vcc, 0, v5
	v_cndmask_b32_e64 v5, 0, 1.0, vcc
	v_lshrrev_b32_e32 v16, 16, v5
.LBB48_2228:
	s_mov_b64 s[6:7], 0
.LBB48_2229:
	s_and_b64 vcc, exec, s[6:7]
	s_cbranch_vccz .LBB48_2278
; %bb.2230:
	v_mov_b32_e32 v5, 5
	v_cmp_lt_i16_sdwa s[6:7], s25, v5 src0_sel:BYTE_0 src1_sel:DWORD
	s_and_b64 vcc, exec, s[6:7]
	s_cbranch_vccnz .LBB48_2235
; %bb.2231:
	v_mov_b32_e32 v5, 8
	v_cmp_lt_i16_sdwa s[6:7], s25, v5 src0_sel:BYTE_0 src1_sel:DWORD
	s_and_b64 vcc, exec, s[6:7]
	s_cbranch_vccnz .LBB48_2236
	;; [unrolled: 5-line block ×3, first 2 shown]
; %bb.2233:
	v_cmp_gt_i16_sdwa s[6:7], s25, v5 src0_sel:BYTE_0 src1_sel:DWORD
	s_and_b64 vcc, exec, s[6:7]
	s_cbranch_vccz .LBB48_2238
; %bb.2234:
	global_load_dwordx2 v[16:17], v[14:15], off
	s_movk_i32 s6, 0x7fff
	v_mov_b32_e32 v5, 0x7fc0
	s_waitcnt vmcnt(0)
	v_cvt_f32_f64_e32 v7, v[16:17]
	v_bfe_u32 v9, v7, 16, 1
	v_add3_u32 v9, v7, v9, s6
	v_lshrrev_b32_e32 v9, 16, v9
	v_cmp_o_f32_e32 vcc, v7, v7
	v_cndmask_b32_e32 v16, v5, v9, vcc
	s_mov_b64 s[6:7], 0
	s_branch .LBB48_2239
.LBB48_2235:
	s_mov_b64 s[6:7], -1
                                        ; implicit-def: $vgpr16
	s_branch .LBB48_2257
.LBB48_2236:
	s_mov_b64 s[6:7], -1
                                        ; implicit-def: $vgpr16
	s_branch .LBB48_2245
.LBB48_2237:
	s_mov_b64 s[6:7], -1
                                        ; implicit-def: $vgpr16
	s_branch .LBB48_2242
.LBB48_2238:
	s_mov_b64 s[6:7], -1
                                        ; implicit-def: $vgpr16
.LBB48_2239:
	s_andn2_b64 vcc, exec, s[6:7]
	s_cbranch_vccnz .LBB48_2241
; %bb.2240:
	global_load_dword v5, v[14:15], off
	s_movk_i32 s6, 0x7fff
	v_mov_b32_e32 v7, 0x7fc0
	s_waitcnt vmcnt(0)
	v_bfe_u32 v9, v5, 16, 1
	v_add3_u32 v9, v5, v9, s6
	v_lshrrev_b32_e32 v9, 16, v9
	v_cmp_o_f32_e32 vcc, v5, v5
	v_cndmask_b32_e32 v16, v7, v9, vcc
.LBB48_2241:
	s_mov_b64 s[6:7], 0
.LBB48_2242:
	s_andn2_b64 vcc, exec, s[6:7]
	s_cbranch_vccnz .LBB48_2244
; %bb.2243:
	global_load_dword v5, v[14:15], off
	s_movk_i32 s6, 0x7fff
	v_mov_b32_e32 v9, 0x7fc0
	s_waitcnt vmcnt(0)
	v_cvt_f32_f16_e32 v7, v5
	v_cmp_o_f16_e32 vcc, v5, v5
	v_bfe_u32 v11, v7, 16, 1
	v_add3_u32 v7, v7, v11, s6
	v_lshrrev_b32_e32 v7, 16, v7
	v_cndmask_b32_e32 v16, v9, v7, vcc
.LBB48_2244:
	s_mov_b64 s[6:7], 0
.LBB48_2245:
	s_andn2_b64 vcc, exec, s[6:7]
	s_cbranch_vccnz .LBB48_2256
; %bb.2246:
	v_mov_b32_e32 v5, 6
	v_cmp_lt_i16_sdwa s[6:7], s25, v5 src0_sel:BYTE_0 src1_sel:DWORD
	s_and_b64 vcc, exec, s[6:7]
	s_cbranch_vccnz .LBB48_2249
; %bb.2247:
	v_cmp_gt_i16_sdwa s[6:7], s25, v5 src0_sel:BYTE_0 src1_sel:DWORD
	s_and_b64 vcc, exec, s[6:7]
	s_cbranch_vccz .LBB48_2250
; %bb.2248:
	global_load_dwordx2 v[16:17], v[14:15], off
	s_movk_i32 s6, 0x7fff
	v_mov_b32_e32 v5, 0x7fc0
	s_waitcnt vmcnt(0)
	v_cvt_f32_f64_e32 v7, v[16:17]
	v_bfe_u32 v9, v7, 16, 1
	v_add3_u32 v9, v7, v9, s6
	v_lshrrev_b32_e32 v9, 16, v9
	v_cmp_o_f32_e32 vcc, v7, v7
	v_cndmask_b32_e32 v16, v5, v9, vcc
	s_mov_b64 s[6:7], 0
	s_branch .LBB48_2251
.LBB48_2249:
	s_mov_b64 s[6:7], -1
                                        ; implicit-def: $vgpr16
	s_branch .LBB48_2254
.LBB48_2250:
	s_mov_b64 s[6:7], -1
                                        ; implicit-def: $vgpr16
.LBB48_2251:
	s_andn2_b64 vcc, exec, s[6:7]
	s_cbranch_vccnz .LBB48_2253
; %bb.2252:
	global_load_dword v5, v[14:15], off
	s_movk_i32 s6, 0x7fff
	v_mov_b32_e32 v7, 0x7fc0
	s_waitcnt vmcnt(0)
	v_bfe_u32 v9, v5, 16, 1
	v_add3_u32 v9, v5, v9, s6
	v_lshrrev_b32_e32 v9, 16, v9
	v_cmp_o_f32_e32 vcc, v5, v5
	v_cndmask_b32_e32 v16, v7, v9, vcc
.LBB48_2253:
	s_mov_b64 s[6:7], 0
.LBB48_2254:
	s_andn2_b64 vcc, exec, s[6:7]
	s_cbranch_vccnz .LBB48_2256
; %bb.2255:
	global_load_ushort v5, v[14:15], off
	s_movk_i32 s6, 0x7fff
	v_mov_b32_e32 v9, 0x7fc0
	s_waitcnt vmcnt(0)
	v_cvt_f32_f16_e32 v7, v5
	v_cmp_o_f16_e32 vcc, v5, v5
	v_bfe_u32 v11, v7, 16, 1
	v_add3_u32 v7, v7, v11, s6
	v_lshrrev_b32_e32 v7, 16, v7
	v_cndmask_b32_e32 v16, v9, v7, vcc
.LBB48_2256:
	s_mov_b64 s[6:7], 0
.LBB48_2257:
	s_andn2_b64 vcc, exec, s[6:7]
	s_cbranch_vccnz .LBB48_2277
; %bb.2258:
	v_mov_b32_e32 v5, 2
	v_cmp_lt_i16_sdwa s[6:7], s25, v5 src0_sel:BYTE_0 src1_sel:DWORD
	s_and_b64 vcc, exec, s[6:7]
	s_cbranch_vccnz .LBB48_2262
; %bb.2259:
	v_mov_b32_e32 v5, 3
	v_cmp_lt_i16_sdwa s[6:7], s25, v5 src0_sel:BYTE_0 src1_sel:DWORD
	s_and_b64 vcc, exec, s[6:7]
	s_cbranch_vccnz .LBB48_2263
; %bb.2260:
	v_cmp_gt_i16_sdwa s[6:7], s25, v5 src0_sel:BYTE_0 src1_sel:DWORD
	s_and_b64 vcc, exec, s[6:7]
	s_cbranch_vccz .LBB48_2264
; %bb.2261:
	global_load_dwordx2 v[16:17], v[14:15], off
	s_movk_i32 s6, 0x7fff
	s_waitcnt vmcnt(0)
	v_xor_b32_e32 v7, v16, v17
	v_ffbh_i32_e32 v5, v17
	v_ashrrev_i32_e32 v7, 31, v7
	v_add_u32_e32 v5, -1, v5
	v_add_u32_e32 v7, 32, v7
	v_min_u32_e32 v5, v5, v7
	v_lshlrev_b64 v[16:17], v5, v[16:17]
	v_min_u32_e32 v7, 1, v16
	v_or_b32_e32 v7, v17, v7
	v_cvt_f32_i32_e32 v7, v7
	v_sub_u32_e32 v5, 32, v5
	v_ldexp_f32 v5, v7, v5
	v_bfe_u32 v7, v5, 16, 1
	v_add3_u32 v5, v5, v7, s6
	v_lshrrev_b32_e32 v16, 16, v5
	s_mov_b64 s[6:7], 0
	s_branch .LBB48_2265
.LBB48_2262:
	s_mov_b64 s[6:7], -1
                                        ; implicit-def: $vgpr16
	s_branch .LBB48_2271
.LBB48_2263:
	s_mov_b64 s[6:7], -1
                                        ; implicit-def: $vgpr16
	s_branch .LBB48_2268
.LBB48_2264:
	s_mov_b64 s[6:7], -1
                                        ; implicit-def: $vgpr16
.LBB48_2265:
	s_andn2_b64 vcc, exec, s[6:7]
	s_cbranch_vccnz .LBB48_2267
; %bb.2266:
	global_load_dword v5, v[14:15], off
	s_movk_i32 s6, 0x7fff
	s_waitcnt vmcnt(0)
	v_cvt_f32_i32_e32 v5, v5
	v_bfe_u32 v7, v5, 16, 1
	v_add3_u32 v5, v5, v7, s6
	v_lshrrev_b32_e32 v16, 16, v5
.LBB48_2267:
	s_mov_b64 s[6:7], 0
.LBB48_2268:
	s_andn2_b64 vcc, exec, s[6:7]
	s_cbranch_vccnz .LBB48_2270
; %bb.2269:
	global_load_sshort v5, v[14:15], off
	s_movk_i32 s6, 0x7fff
	s_waitcnt vmcnt(0)
	v_cvt_f32_i32_e32 v5, v5
	v_bfe_u32 v7, v5, 16, 1
	v_add3_u32 v5, v5, v7, s6
	v_lshrrev_b32_e32 v16, 16, v5
.LBB48_2270:
	s_mov_b64 s[6:7], 0
.LBB48_2271:
	s_andn2_b64 vcc, exec, s[6:7]
	s_cbranch_vccnz .LBB48_2277
; %bb.2272:
	v_mov_b32_e32 v5, 0
	v_cmp_gt_i16_sdwa s[6:7], s25, v5 src0_sel:BYTE_0 src1_sel:DWORD
	s_and_b64 vcc, exec, s[6:7]
	s_cbranch_vccz .LBB48_2274
; %bb.2273:
	global_load_sbyte v5, v[14:15], off
	s_movk_i32 s6, 0x7fff
	s_waitcnt vmcnt(0)
	v_cvt_f32_i32_e32 v5, v5
	v_bfe_u32 v7, v5, 16, 1
	v_add3_u32 v5, v5, v7, s6
	v_lshrrev_b32_e32 v16, 16, v5
	s_mov_b64 s[6:7], 0
	s_branch .LBB48_2275
.LBB48_2274:
	s_mov_b64 s[6:7], -1
                                        ; implicit-def: $vgpr16
.LBB48_2275:
	s_andn2_b64 vcc, exec, s[6:7]
	s_cbranch_vccnz .LBB48_2277
; %bb.2276:
	global_load_ubyte v5, v[14:15], off
	s_movk_i32 s6, 0x7fff
	s_waitcnt vmcnt(0)
	v_cvt_f32_ubyte0_e32 v5, v5
	v_bfe_u32 v7, v5, 16, 1
	v_add3_u32 v5, v5, v7, s6
	v_lshrrev_b32_e32 v16, 16, v5
.LBB48_2277:
	s_mov_b64 s[18:19], -1
.LBB48_2278:
	s_andn2_b64 vcc, exec, s[18:19]
	s_cbranch_vccnz .LBB48_2682
; %bb.2279:
	v_mov_b32_e32 v5, s1
	v_add_co_u32_e32 v12, vcc, s0, v12
	v_addc_co_u32_e32 v13, vcc, 0, v5, vcc
	s_and_b64 vcc, exec, s[2:3]
	s_cbranch_vccnz .LBB48_2286
; %bb.2280:
	v_cmp_gt_i16_e64 s[6:7], s26, 25
	s_mov_b64 s[16:17], 0
	s_and_b64 vcc, exec, s[6:7]
	s_cbranch_vccz .LBB48_2287
; %bb.2281:
	v_cmp_gt_i16_e64 s[6:7], s26, 28
	s_and_b64 vcc, exec, s[6:7]
	s_cbranch_vccz .LBB48_2288
; %bb.2282:
	v_cmp_gt_i16_e64 s[6:7], s26, 43
	;; [unrolled: 4-line block ×3, first 2 shown]
	s_and_b64 vcc, exec, s[6:7]
	s_cbranch_vccz .LBB48_2291
; %bb.2284:
	v_cmp_eq_u16_e64 s[6:7], s26, 46
	s_mov_b64 s[20:21], 0
	s_and_b64 vcc, exec, s[6:7]
	s_cbranch_vccz .LBB48_2294
; %bb.2285:
	global_load_dword v5, v[12:13], off
	s_mov_b64 s[6:7], 0
	s_mov_b64 s[18:19], -1
	s_branch .LBB48_2295
.LBB48_2286:
	s_mov_b64 s[6:7], -1
	s_mov_b64 s[18:19], 0
                                        ; implicit-def: $vgpr5
	s_branch .LBB48_2361
.LBB48_2287:
	s_mov_b64 s[20:21], -1
	s_mov_b64 s[18:19], 0
	s_mov_b64 s[6:7], 0
                                        ; implicit-def: $vgpr5
	s_branch .LBB48_2324
.LBB48_2288:
	s_mov_b64 s[20:21], -1
	s_mov_b64 s[18:19], 0
	s_mov_b64 s[6:7], 0
                                        ; implicit-def: $vgpr5
	s_branch .LBB48_2305
.LBB48_2289:
	s_mov_b64 s[20:21], -1
	s_mov_b64 s[18:19], 0
	s_mov_b64 s[6:7], 0
                                        ; implicit-def: $vgpr5
	s_branch .LBB48_2300
.LBB48_2290:
	s_trap 2
	s_or_b64 s[4:5], s[4:5], exec
                                        ; implicit-def: $vgpr16
	s_cbranch_execz .LBB48_2227
	s_branch .LBB48_2228
.LBB48_2291:
	s_mov_b64 s[20:21], -1
	s_mov_b64 s[18:19], 0
	s_mov_b64 s[6:7], 0
                                        ; implicit-def: $vgpr5
	s_branch .LBB48_2295
.LBB48_2292:
	s_or_saveexec_b64 s[62:63], s[62:63]
                                        ; implicit-def: $sgpr64
	s_xor_b64 exec, exec, s[62:63]
	s_cbranch_execz .LBB48_1122
.LBB48_2293:
	s_mov_b32 s64, 0x42800000
	v_add_f32_e64 v3, |v4|, s64
	v_and_b32_e32 v3, 0xff, v3
	v_cmp_ne_u32_e32 vcc, 0, v3
	s_andn2_b64 s[60:61], s[60:61], exec
	s_and_b64 s[70:71], vcc, exec
	s_mov_b32 s64, 0
	s_or_b64 s[60:61], s[60:61], s[70:71]
	s_or_b64 exec, exec, s[62:63]
	v_mov_b32_e32 v5, s64
	s_and_saveexec_b64 s[62:63], s[60:61]
	s_cbranch_execnz .LBB48_1123
	s_branch .LBB48_1124
.LBB48_2294:
	s_mov_b64 s[6:7], -1
                                        ; implicit-def: $vgpr5
	s_mov_b64 s[18:19], 0
.LBB48_2295:
	s_and_b64 vcc, exec, s[20:21]
	s_cbranch_vccz .LBB48_2299
; %bb.2296:
	v_cmp_eq_u16_e64 s[6:7], s26, 44
	s_and_b64 vcc, exec, s[6:7]
	s_cbranch_vccz .LBB48_2298
; %bb.2297:
	global_load_ubyte v5, v[12:13], off
	s_movk_i32 s18, 0xff
	v_mov_b32_e32 v7, 0x7f800001
	v_mov_b32_e32 v9, 0x400000
	;; [unrolled: 1-line block ×3, first 2 shown]
	s_mov_b64 s[6:7], 0
	s_waitcnt vmcnt(0)
	v_lshlrev_b32_e32 v14, 23, v5
	v_cmp_ne_u32_e32 vcc, s18, v5
	v_cndmask_b32_e32 v7, v7, v14, vcc
	v_cmp_ne_u32_e32 vcc, 0, v5
	v_cndmask_b32_e32 v5, v9, v7, vcc
	v_add_u32_e32 v7, 0x7fff, v5
	v_lshrrev_b32_e32 v7, 16, v7
	v_cmp_o_f32_e32 vcc, v5, v5
	v_cndmask_b32_e32 v5, v11, v7, vcc
	s_mov_b64 s[18:19], -1
	s_branch .LBB48_2299
.LBB48_2298:
	s_mov_b64 s[6:7], -1
                                        ; implicit-def: $vgpr5
.LBB48_2299:
	s_mov_b64 s[20:21], 0
.LBB48_2300:
	s_and_b64 vcc, exec, s[20:21]
	s_cbranch_vccz .LBB48_2304
; %bb.2301:
	v_cmp_eq_u16_e64 s[6:7], s26, 29
	s_and_b64 vcc, exec, s[6:7]
	s_cbranch_vccz .LBB48_2303
; %bb.2302:
	global_load_dwordx2 v[14:15], v[12:13], off
	s_movk_i32 s18, 0x7fff
	s_mov_b64 s[6:7], 0
	s_mov_b64 s[20:21], 0
	s_waitcnt vmcnt(0)
	v_ffbh_u32_e32 v5, v15
	v_min_u32_e32 v5, 32, v5
	v_lshlrev_b64 v[14:15], v5, v[14:15]
	v_min_u32_e32 v7, 1, v14
	v_or_b32_e32 v7, v15, v7
	v_cvt_f32_u32_e32 v7, v7
	v_sub_u32_e32 v5, 32, v5
	v_ldexp_f32 v5, v7, v5
	v_bfe_u32 v7, v5, 16, 1
	v_add3_u32 v5, v5, v7, s18
	v_lshrrev_b32_e32 v5, 16, v5
	s_mov_b64 s[18:19], -1
	s_branch .LBB48_2305
.LBB48_2303:
	s_mov_b64 s[6:7], -1
                                        ; implicit-def: $vgpr5
.LBB48_2304:
	s_mov_b64 s[20:21], 0
.LBB48_2305:
	s_and_b64 vcc, exec, s[20:21]
	s_cbranch_vccz .LBB48_2323
; %bb.2306:
	v_cmp_lt_i16_e64 s[18:19], s26, 27
	s_and_b64 vcc, exec, s[18:19]
	s_cbranch_vccnz .LBB48_2309
; %bb.2307:
	v_cmp_gt_i16_e64 s[18:19], s26, 27
	s_and_b64 vcc, exec, s[18:19]
	s_cbranch_vccz .LBB48_2310
; %bb.2308:
	global_load_dword v5, v[12:13], off
	s_movk_i32 s18, 0x7fff
	s_waitcnt vmcnt(0)
	v_cvt_f32_u32_e32 v5, v5
	v_bfe_u32 v7, v5, 16, 1
	v_add3_u32 v5, v5, v7, s18
	v_lshrrev_b32_e32 v5, 16, v5
	s_mov_b64 s[18:19], 0
	s_branch .LBB48_2311
.LBB48_2309:
	s_mov_b64 s[18:19], -1
                                        ; implicit-def: $vgpr5
	s_branch .LBB48_2314
.LBB48_2310:
	s_mov_b64 s[18:19], -1
                                        ; implicit-def: $vgpr5
.LBB48_2311:
	s_andn2_b64 vcc, exec, s[18:19]
	s_cbranch_vccnz .LBB48_2313
; %bb.2312:
	global_load_ushort v5, v[12:13], off
	s_movk_i32 s18, 0x7fff
	s_waitcnt vmcnt(0)
	v_cvt_f32_u32_e32 v5, v5
	v_bfe_u32 v7, v5, 16, 1
	v_add3_u32 v5, v5, v7, s18
	v_lshrrev_b32_e32 v5, 16, v5
.LBB48_2313:
	s_mov_b64 s[18:19], 0
.LBB48_2314:
	s_andn2_b64 vcc, exec, s[18:19]
	s_cbranch_vccnz .LBB48_2322
; %bb.2315:
	global_load_ubyte v5, v[12:13], off
	s_movk_i32 s18, 0x7f
                                        ; implicit-def: $sgpr27
	s_waitcnt vmcnt(0)
	v_cmp_lt_i16_e32 vcc, s18, v5
	s_mov_b64 s[18:19], 0
	s_and_saveexec_b64 s[20:21], vcc
	s_xor_b64 s[20:21], exec, s[20:21]
	s_cbranch_execz .LBB48_2336
; %bb.2316:
	s_movk_i32 s18, 0x80
	v_cmp_eq_u16_e32 vcc, s18, v5
	s_mov_b64 s[18:19], -1
                                        ; implicit-def: $sgpr27
	s_and_saveexec_b64 s[22:23], vcc
; %bb.2317:
	s_mov_b32 s27, 0x7f800001
	s_xor_b64 s[18:19], exec, -1
; %bb.2318:
	s_or_b64 exec, exec, s[22:23]
	s_and_b64 s[18:19], s[18:19], exec
	s_or_saveexec_b64 s[20:21], s[20:21]
	v_mov_b32_e32 v7, s27
	s_xor_b64 exec, exec, s[20:21]
	s_cbranch_execnz .LBB48_2337
.LBB48_2319:
	s_or_b64 exec, exec, s[20:21]
	s_and_saveexec_b64 s[20:21], s[18:19]
	s_cbranch_execz .LBB48_2321
.LBB48_2320:
	v_lshlrev_b32_e32 v7, 24, v5
	v_and_b32_e32 v5, 0xffff, v5
	v_and_b32_e32 v9, 7, v5
	v_ffbh_u32_e32 v14, v9
	v_min_u32_e32 v14, 32, v14
	v_subrev_u32_e32 v15, 28, v14
	v_bfe_u32 v11, v5, 3, 4
	v_lshlrev_b32_e32 v5, v15, v5
	v_sub_u32_e32 v14, 29, v14
	v_and_b32_e32 v5, 7, v5
	v_cmp_eq_u32_e32 vcc, 0, v11
	v_cndmask_b32_e32 v11, v11, v14, vcc
	v_cndmask_b32_e32 v5, v9, v5, vcc
	v_mov_b32_e32 v9, 0x3b800000
	v_lshlrev_b32_e32 v5, 20, v5
	v_and_b32_e32 v7, 0x80000000, v7
	v_lshl_add_u32 v9, v11, 23, v9
	v_or3_b32 v7, v7, v9, v5
.LBB48_2321:
	s_or_b64 exec, exec, s[20:21]
	v_bfe_u32 v5, v7, 16, 1
	s_movk_i32 s18, 0x7fff
	v_add3_u32 v5, v7, v5, s18
	v_lshrrev_b32_e32 v5, 16, v5
	v_mov_b32_e32 v9, 0x7fc0
	v_cmp_o_f32_e32 vcc, v7, v7
	v_cndmask_b32_e32 v5, v9, v5, vcc
.LBB48_2322:
	s_mov_b64 s[18:19], -1
.LBB48_2323:
	s_mov_b64 s[20:21], 0
.LBB48_2324:
	s_and_b64 vcc, exec, s[20:21]
	s_cbranch_vccz .LBB48_2357
; %bb.2325:
	v_cmp_gt_i16_e64 s[16:17], s26, 22
	s_and_b64 vcc, exec, s[16:17]
	s_cbranch_vccz .LBB48_2335
; %bb.2326:
	v_cmp_lt_i16_e64 s[16:17], s26, 24
	s_and_b64 vcc, exec, s[16:17]
	s_cbranch_vccnz .LBB48_2338
; %bb.2327:
	v_cmp_gt_i16_e64 s[16:17], s26, 24
	s_and_b64 vcc, exec, s[16:17]
	s_cbranch_vccz .LBB48_2339
; %bb.2328:
	global_load_ubyte v5, v[12:13], off
	s_movk_i32 s16, 0x7f
                                        ; implicit-def: $sgpr22
	s_waitcnt vmcnt(0)
	v_cmp_lt_i16_e32 vcc, s16, v5
	s_mov_b64 s[16:17], 0
	s_and_saveexec_b64 s[18:19], vcc
	s_xor_b64 s[18:19], exec, s[18:19]
	s_cbranch_execz .LBB48_2351
; %bb.2329:
	s_movk_i32 s16, 0x80
	v_cmp_eq_u16_e32 vcc, s16, v5
	s_mov_b64 s[16:17], -1
                                        ; implicit-def: $sgpr22
	s_and_saveexec_b64 s[20:21], vcc
; %bb.2330:
	s_mov_b32 s22, 0x7f800001
	s_xor_b64 s[16:17], exec, -1
; %bb.2331:
	s_or_b64 exec, exec, s[20:21]
	s_and_b64 s[16:17], s[16:17], exec
	s_or_saveexec_b64 s[18:19], s[18:19]
	v_mov_b32_e32 v7, s22
	s_xor_b64 exec, exec, s[18:19]
	s_cbranch_execnz .LBB48_2352
.LBB48_2332:
	s_or_b64 exec, exec, s[18:19]
	s_and_saveexec_b64 s[18:19], s[16:17]
	s_cbranch_execz .LBB48_2334
.LBB48_2333:
	v_lshlrev_b32_e32 v7, 24, v5
	v_and_b32_e32 v5, 0xffff, v5
	v_and_b32_e32 v9, 3, v5
	v_ffbh_u32_e32 v14, v9
	v_min_u32_e32 v14, 32, v14
	v_subrev_u32_e32 v15, 29, v14
	v_bfe_u32 v11, v5, 2, 5
	v_lshlrev_b32_e32 v5, v15, v5
	v_sub_u32_e32 v14, 30, v14
	v_and_b32_e32 v5, 3, v5
	v_cmp_eq_u32_e32 vcc, 0, v11
	v_cndmask_b32_e32 v11, v11, v14, vcc
	v_cndmask_b32_e32 v5, v9, v5, vcc
	v_mov_b32_e32 v9, 0x37800000
	v_lshlrev_b32_e32 v5, 21, v5
	v_and_b32_e32 v7, 0x80000000, v7
	v_lshl_add_u32 v9, v11, 23, v9
	v_or3_b32 v7, v7, v9, v5
.LBB48_2334:
	s_or_b64 exec, exec, s[18:19]
	v_bfe_u32 v5, v7, 16, 1
	s_movk_i32 s16, 0x7fff
	v_add3_u32 v5, v7, v5, s16
	v_lshrrev_b32_e32 v5, 16, v5
	v_mov_b32_e32 v9, 0x7fc0
	v_cmp_o_f32_e32 vcc, v7, v7
	v_cndmask_b32_e32 v5, v9, v5, vcc
	s_mov_b64 s[16:17], 0
	s_branch .LBB48_2340
.LBB48_2335:
	s_mov_b64 s[16:17], -1
                                        ; implicit-def: $vgpr5
	s_branch .LBB48_2346
.LBB48_2336:
	s_or_saveexec_b64 s[20:21], s[20:21]
	v_mov_b32_e32 v7, s27
	s_xor_b64 exec, exec, s[20:21]
	s_cbranch_execz .LBB48_2319
.LBB48_2337:
	v_cmp_ne_u16_e32 vcc, 0, v5
	s_andn2_b64 s[18:19], s[18:19], exec
	s_and_b64 s[22:23], vcc, exec
	v_mov_b32_e32 v7, 0
	s_or_b64 s[18:19], s[18:19], s[22:23]
	s_or_b64 exec, exec, s[20:21]
	s_and_saveexec_b64 s[20:21], s[18:19]
	s_cbranch_execnz .LBB48_2320
	s_branch .LBB48_2321
.LBB48_2338:
	s_mov_b64 s[16:17], -1
                                        ; implicit-def: $vgpr5
	s_branch .LBB48_2343
.LBB48_2339:
	s_mov_b64 s[16:17], -1
                                        ; implicit-def: $vgpr5
.LBB48_2340:
	s_and_b64 vcc, exec, s[16:17]
	s_cbranch_vccz .LBB48_2342
; %bb.2341:
	global_load_ubyte v5, v[12:13], off
	s_mov_b32 s16, 0x7f800000
	s_brev_b32 s17, 1
	s_movk_i32 s18, 0x7fff
	v_mov_b32_e32 v7, 0x7fc0
	s_waitcnt vmcnt(0)
	v_lshlrev_b32_e32 v5, 24, v5
	v_and_b32_e32 v9, 0x7f000000, v5
	v_ffbh_u32_e32 v11, v9
	v_min_u32_e32 v11, 32, v11
	v_sub_u32_e64 v11, v11, 4 clamp
	v_lshlrev_b32_e32 v15, v11, v9
	v_lshlrev_b32_e32 v11, 23, v11
	v_lshrrev_b32_e32 v15, 4, v15
	v_add_u32_e32 v14, 0x1000000, v9
	v_sub_u32_e32 v11, v15, v11
	v_ashrrev_i32_e32 v14, 8, v14
	v_add_u32_e32 v11, 0x3c000000, v11
	v_and_or_b32 v11, v14, s16, v11
	v_cmp_ne_u32_e32 vcc, 0, v9
	v_cndmask_b32_e32 v9, 0, v11, vcc
	v_and_or_b32 v5, v5, s17, v9
	v_bfe_u32 v9, v9, 16, 1
	v_add3_u32 v9, v5, v9, s18
	v_lshrrev_b32_e32 v9, 16, v9
	v_cmp_o_f32_e32 vcc, v5, v5
	v_cndmask_b32_e32 v5, v7, v9, vcc
.LBB48_2342:
	s_mov_b64 s[16:17], 0
.LBB48_2343:
	s_andn2_b64 vcc, exec, s[16:17]
	s_cbranch_vccnz .LBB48_2345
; %bb.2344:
	global_load_ubyte v5, v[12:13], off
	s_movk_i32 s16, 0x7f00
	s_brev_b32 s17, 16
	s_brev_b32 s18, 1
	s_movk_i32 s19, 0x7fff
	v_mov_b32_e32 v7, 0x7fc0
	s_waitcnt vmcnt(0)
	v_lshlrev_b16_e32 v9, 8, v5
	v_lshlrev_b32_e32 v5, 25, v5
	v_lshrrev_b32_e32 v11, 4, v5
	v_and_or_b32 v14, v9, s16, 0.5
	v_or_b32_e32 v11, 0x70000000, v11
	v_add_f32_e32 v14, -0.5, v14
	v_mul_f32_e32 v11, 0x7800000, v11
	v_cmp_gt_u32_e32 vcc, s17, v5
	v_bfe_i32 v9, v9, 0, 16
	v_cndmask_b32_e32 v5, v11, v14, vcc
	v_and_or_b32 v9, v9, s18, v5
	v_bfe_u32 v5, v5, 16, 1
	v_add3_u32 v5, v9, v5, s19
	v_lshrrev_b32_e32 v5, 16, v5
	v_cmp_o_f32_e32 vcc, v9, v9
	v_cndmask_b32_e32 v5, v7, v5, vcc
.LBB48_2345:
	s_mov_b64 s[16:17], 0
	s_mov_b64 s[18:19], -1
.LBB48_2346:
	s_andn2_b64 vcc, exec, s[16:17]
	s_mov_b64 s[16:17], 0
	s_cbranch_vccnz .LBB48_2357
; %bb.2347:
	v_cmp_gt_i16_e64 s[16:17], s26, 14
	s_and_b64 vcc, exec, s[16:17]
	s_cbranch_vccz .LBB48_2350
; %bb.2348:
	v_cmp_eq_u16_e64 s[6:7], s26, 15
	s_and_b64 vcc, exec, s[6:7]
	s_cbranch_vccz .LBB48_2353
; %bb.2349:
	global_load_ushort v5, v[12:13], off
	s_mov_b64 s[6:7], 0
	s_mov_b64 s[18:19], -1
	s_branch .LBB48_2354
.LBB48_2350:
	s_mov_b64 s[20:21], -1
                                        ; implicit-def: $vgpr5
	s_branch .LBB48_2355
.LBB48_2351:
	s_or_saveexec_b64 s[18:19], s[18:19]
	v_mov_b32_e32 v7, s22
	s_xor_b64 exec, exec, s[18:19]
	s_cbranch_execz .LBB48_2332
.LBB48_2352:
	v_cmp_ne_u16_e32 vcc, 0, v5
	s_andn2_b64 s[16:17], s[16:17], exec
	s_and_b64 s[20:21], vcc, exec
	v_mov_b32_e32 v7, 0
	s_or_b64 s[16:17], s[16:17], s[20:21]
	s_or_b64 exec, exec, s[18:19]
	s_and_saveexec_b64 s[18:19], s[16:17]
	s_cbranch_execnz .LBB48_2333
	s_branch .LBB48_2334
.LBB48_2353:
	s_mov_b64 s[6:7], -1
                                        ; implicit-def: $vgpr5
.LBB48_2354:
	s_mov_b64 s[20:21], 0
.LBB48_2355:
	s_mov_b64 s[16:17], 0
	s_and_b64 vcc, exec, s[20:21]
	s_cbranch_vccz .LBB48_2357
; %bb.2356:
	v_cmp_ne_u16_e64 s[6:7], s26, 11
	s_mov_b64 s[16:17], -1
                                        ; implicit-def: $vgpr5
.LBB48_2357:
	s_and_b64 vcc, exec, s[6:7]
	s_cbranch_vccnz .LBB48_2424
; %bb.2358:
	s_andn2_b64 vcc, exec, s[16:17]
	s_cbranch_vccnz .LBB48_2360
.LBB48_2359:
	global_load_ubyte v5, v[12:13], off
	s_mov_b64 s[18:19], -1
	s_waitcnt vmcnt(0)
	v_cmp_ne_u16_e32 vcc, 0, v5
	v_cndmask_b32_e64 v5, 0, 1.0, vcc
	v_lshrrev_b32_e32 v5, 16, v5
.LBB48_2360:
	s_mov_b64 s[6:7], 0
.LBB48_2361:
	s_and_b64 vcc, exec, s[6:7]
	s_cbranch_vccz .LBB48_2410
; %bb.2362:
	v_cmp_lt_i16_e64 s[6:7], s26, 5
	s_and_b64 vcc, exec, s[6:7]
	s_cbranch_vccnz .LBB48_2367
; %bb.2363:
	v_cmp_lt_i16_e64 s[6:7], s26, 8
	s_and_b64 vcc, exec, s[6:7]
	s_cbranch_vccnz .LBB48_2368
; %bb.2364:
	v_cmp_lt_i16_e64 s[6:7], s26, 9
	s_and_b64 vcc, exec, s[6:7]
	s_cbranch_vccnz .LBB48_2369
; %bb.2365:
	v_cmp_gt_i16_e64 s[6:7], s26, 9
	s_and_b64 vcc, exec, s[6:7]
	s_cbranch_vccz .LBB48_2370
; %bb.2366:
	global_load_dwordx2 v[14:15], v[12:13], off
	s_movk_i32 s6, 0x7fff
	s_waitcnt vmcnt(1)
	v_mov_b32_e32 v5, 0x7fc0
	s_waitcnt vmcnt(0)
	v_cvt_f32_f64_e32 v7, v[14:15]
	v_bfe_u32 v9, v7, 16, 1
	v_add3_u32 v9, v7, v9, s6
	v_lshrrev_b32_e32 v9, 16, v9
	v_cmp_o_f32_e32 vcc, v7, v7
	v_cndmask_b32_e32 v5, v5, v9, vcc
	s_mov_b64 s[6:7], 0
	s_branch .LBB48_2371
.LBB48_2367:
	s_mov_b64 s[6:7], -1
                                        ; implicit-def: $vgpr5
	s_branch .LBB48_2389
.LBB48_2368:
	s_mov_b64 s[6:7], -1
                                        ; implicit-def: $vgpr5
	s_branch .LBB48_2377
.LBB48_2369:
	s_mov_b64 s[6:7], -1
                                        ; implicit-def: $vgpr5
	s_branch .LBB48_2374
.LBB48_2370:
	s_mov_b64 s[6:7], -1
                                        ; implicit-def: $vgpr5
.LBB48_2371:
	s_andn2_b64 vcc, exec, s[6:7]
	s_cbranch_vccnz .LBB48_2373
; %bb.2372:
	global_load_dword v5, v[12:13], off
	s_movk_i32 s6, 0x7fff
	v_mov_b32_e32 v7, 0x7fc0
	s_waitcnt vmcnt(0)
	v_bfe_u32 v9, v5, 16, 1
	v_add3_u32 v9, v5, v9, s6
	v_lshrrev_b32_e32 v9, 16, v9
	v_cmp_o_f32_e32 vcc, v5, v5
	v_cndmask_b32_e32 v5, v7, v9, vcc
.LBB48_2373:
	s_mov_b64 s[6:7], 0
.LBB48_2374:
	s_andn2_b64 vcc, exec, s[6:7]
	s_cbranch_vccnz .LBB48_2376
; %bb.2375:
	global_load_dword v5, v[12:13], off
	s_movk_i32 s6, 0x7fff
	v_mov_b32_e32 v9, 0x7fc0
	s_waitcnt vmcnt(0)
	v_cvt_f32_f16_e32 v7, v5
	v_cmp_o_f16_e32 vcc, v5, v5
	v_bfe_u32 v11, v7, 16, 1
	v_add3_u32 v7, v7, v11, s6
	v_lshrrev_b32_e32 v7, 16, v7
	v_cndmask_b32_e32 v5, v9, v7, vcc
.LBB48_2376:
	s_mov_b64 s[6:7], 0
.LBB48_2377:
	s_andn2_b64 vcc, exec, s[6:7]
	s_cbranch_vccnz .LBB48_2388
; %bb.2378:
	v_cmp_lt_i16_e64 s[6:7], s26, 6
	s_and_b64 vcc, exec, s[6:7]
	s_cbranch_vccnz .LBB48_2381
; %bb.2379:
	v_cmp_gt_i16_e64 s[6:7], s26, 6
	s_and_b64 vcc, exec, s[6:7]
	s_cbranch_vccz .LBB48_2382
; %bb.2380:
	global_load_dwordx2 v[14:15], v[12:13], off
	s_movk_i32 s6, 0x7fff
	s_waitcnt vmcnt(1)
	v_mov_b32_e32 v5, 0x7fc0
	s_waitcnt vmcnt(0)
	v_cvt_f32_f64_e32 v7, v[14:15]
	v_bfe_u32 v9, v7, 16, 1
	v_add3_u32 v9, v7, v9, s6
	v_lshrrev_b32_e32 v9, 16, v9
	v_cmp_o_f32_e32 vcc, v7, v7
	v_cndmask_b32_e32 v5, v5, v9, vcc
	s_mov_b64 s[6:7], 0
	s_branch .LBB48_2383
.LBB48_2381:
	s_mov_b64 s[6:7], -1
                                        ; implicit-def: $vgpr5
	s_branch .LBB48_2386
.LBB48_2382:
	s_mov_b64 s[6:7], -1
                                        ; implicit-def: $vgpr5
.LBB48_2383:
	s_andn2_b64 vcc, exec, s[6:7]
	s_cbranch_vccnz .LBB48_2385
; %bb.2384:
	global_load_dword v5, v[12:13], off
	s_movk_i32 s6, 0x7fff
	v_mov_b32_e32 v7, 0x7fc0
	s_waitcnt vmcnt(0)
	v_bfe_u32 v9, v5, 16, 1
	v_add3_u32 v9, v5, v9, s6
	v_lshrrev_b32_e32 v9, 16, v9
	v_cmp_o_f32_e32 vcc, v5, v5
	v_cndmask_b32_e32 v5, v7, v9, vcc
.LBB48_2385:
	s_mov_b64 s[6:7], 0
.LBB48_2386:
	s_andn2_b64 vcc, exec, s[6:7]
	s_cbranch_vccnz .LBB48_2388
; %bb.2387:
	global_load_ushort v5, v[12:13], off
	s_movk_i32 s6, 0x7fff
	v_mov_b32_e32 v9, 0x7fc0
	s_waitcnt vmcnt(0)
	v_cvt_f32_f16_e32 v7, v5
	v_cmp_o_f16_e32 vcc, v5, v5
	v_bfe_u32 v11, v7, 16, 1
	v_add3_u32 v7, v7, v11, s6
	v_lshrrev_b32_e32 v7, 16, v7
	v_cndmask_b32_e32 v5, v9, v7, vcc
.LBB48_2388:
	s_mov_b64 s[6:7], 0
.LBB48_2389:
	s_andn2_b64 vcc, exec, s[6:7]
	s_cbranch_vccnz .LBB48_2409
; %bb.2390:
	v_cmp_lt_i16_e64 s[6:7], s26, 2
	s_and_b64 vcc, exec, s[6:7]
	s_cbranch_vccnz .LBB48_2394
; %bb.2391:
	v_cmp_lt_i16_e64 s[6:7], s26, 3
	s_and_b64 vcc, exec, s[6:7]
	s_cbranch_vccnz .LBB48_2395
; %bb.2392:
	v_cmp_gt_i16_e64 s[6:7], s26, 3
	s_and_b64 vcc, exec, s[6:7]
	s_cbranch_vccz .LBB48_2396
; %bb.2393:
	global_load_dwordx2 v[14:15], v[12:13], off
	s_movk_i32 s6, 0x7fff
	s_waitcnt vmcnt(0)
	v_xor_b32_e32 v7, v14, v15
	v_ffbh_i32_e32 v5, v15
	v_ashrrev_i32_e32 v7, 31, v7
	v_add_u32_e32 v5, -1, v5
	v_add_u32_e32 v7, 32, v7
	v_min_u32_e32 v5, v5, v7
	v_lshlrev_b64 v[14:15], v5, v[14:15]
	v_min_u32_e32 v7, 1, v14
	v_or_b32_e32 v7, v15, v7
	v_cvt_f32_i32_e32 v7, v7
	v_sub_u32_e32 v5, 32, v5
	v_ldexp_f32 v5, v7, v5
	v_bfe_u32 v7, v5, 16, 1
	v_add3_u32 v5, v5, v7, s6
	v_lshrrev_b32_e32 v5, 16, v5
	s_mov_b64 s[6:7], 0
	s_branch .LBB48_2397
.LBB48_2394:
	s_mov_b64 s[6:7], -1
                                        ; implicit-def: $vgpr5
	s_branch .LBB48_2403
.LBB48_2395:
	s_mov_b64 s[6:7], -1
                                        ; implicit-def: $vgpr5
	s_branch .LBB48_2400
.LBB48_2396:
	s_mov_b64 s[6:7], -1
                                        ; implicit-def: $vgpr5
.LBB48_2397:
	s_andn2_b64 vcc, exec, s[6:7]
	s_cbranch_vccnz .LBB48_2399
; %bb.2398:
	global_load_dword v5, v[12:13], off
	s_movk_i32 s6, 0x7fff
	s_waitcnt vmcnt(0)
	v_cvt_f32_i32_e32 v5, v5
	v_bfe_u32 v7, v5, 16, 1
	v_add3_u32 v5, v5, v7, s6
	v_lshrrev_b32_e32 v5, 16, v5
.LBB48_2399:
	s_mov_b64 s[6:7], 0
.LBB48_2400:
	s_andn2_b64 vcc, exec, s[6:7]
	s_cbranch_vccnz .LBB48_2402
; %bb.2401:
	global_load_sshort v5, v[12:13], off
	s_movk_i32 s6, 0x7fff
	s_waitcnt vmcnt(0)
	v_cvt_f32_i32_e32 v5, v5
	v_bfe_u32 v7, v5, 16, 1
	v_add3_u32 v5, v5, v7, s6
	v_lshrrev_b32_e32 v5, 16, v5
.LBB48_2402:
	s_mov_b64 s[6:7], 0
.LBB48_2403:
	s_andn2_b64 vcc, exec, s[6:7]
	s_cbranch_vccnz .LBB48_2409
; %bb.2404:
	v_cmp_gt_i16_e64 s[6:7], s26, 0
	s_and_b64 vcc, exec, s[6:7]
	s_cbranch_vccz .LBB48_2406
; %bb.2405:
	global_load_sbyte v5, v[12:13], off
	s_movk_i32 s6, 0x7fff
	s_waitcnt vmcnt(0)
	v_cvt_f32_i32_e32 v5, v5
	v_bfe_u32 v7, v5, 16, 1
	v_add3_u32 v5, v5, v7, s6
	v_lshrrev_b32_e32 v5, 16, v5
	s_mov_b64 s[6:7], 0
	s_branch .LBB48_2407
.LBB48_2406:
	s_mov_b64 s[6:7], -1
                                        ; implicit-def: $vgpr5
.LBB48_2407:
	s_andn2_b64 vcc, exec, s[6:7]
	s_cbranch_vccnz .LBB48_2409
; %bb.2408:
	global_load_ubyte v5, v[12:13], off
	s_movk_i32 s6, 0x7fff
	s_waitcnt vmcnt(0)
	v_cvt_f32_ubyte0_e32 v5, v5
	v_bfe_u32 v7, v5, 16, 1
	v_add3_u32 v5, v5, v7, s6
	v_lshrrev_b32_e32 v5, 16, v5
.LBB48_2409:
	s_mov_b64 s[18:19], -1
.LBB48_2410:
	s_andn2_b64 vcc, exec, s[18:19]
	s_cbranch_vccnz .LBB48_2682
; %bb.2411:
	s_waitcnt vmcnt(0)
	v_lshlrev_b32_e32 v7, 16, v16
	v_cmp_nlt_f32_e32 vcc, 0, v7
	s_and_saveexec_b64 s[6:7], vcc
; %bb.2412:
	v_lshlrev_b32_e32 v5, 16, v5
	v_mul_f32_e32 v5, v7, v5
	v_bfe_u32 v7, v5, 16, 1
	s_movk_i32 s16, 0x7fff
	v_add3_u32 v7, v5, v7, s16
	v_lshrrev_b32_e32 v7, 16, v7
	v_mov_b32_e32 v9, 0x7fc0
	v_cmp_o_f32_e32 vcc, v5, v5
	v_cndmask_b32_e32 v16, v9, v7, vcc
; %bb.2413:
	s_or_b64 exec, exec, s[6:7]
	v_mov_b32_e32 v5, s11
	v_add_co_u32_e32 v10, vcc, s10, v10
	v_addc_co_u32_e32 v11, vcc, 0, v5, vcc
	v_mov_b32_e32 v5, 11
	v_cmp_lt_i16_sdwa s[6:7], s25, v5 src0_sel:BYTE_0 src1_sel:DWORD
	s_and_b64 vcc, exec, s[6:7]
	s_cbranch_vccnz .LBB48_2420
; %bb.2414:
	v_mov_b32_e32 v5, 25
	v_cmp_gt_i16_sdwa s[6:7], s25, v5 src0_sel:BYTE_0 src1_sel:DWORD
	s_mov_b64 s[10:11], 0
	s_and_b64 vcc, exec, s[6:7]
	s_cbranch_vccz .LBB48_2421
; %bb.2415:
	v_mov_b32_e32 v5, 28
	v_cmp_gt_i16_sdwa s[6:7], s25, v5 src0_sel:BYTE_0 src1_sel:DWORD
	s_and_b64 vcc, exec, s[6:7]
	s_cbranch_vccz .LBB48_2422
; %bb.2416:
	v_mov_b32_e32 v5, 43
	v_cmp_gt_i16_sdwa s[6:7], s25, v5 src0_sel:BYTE_0 src1_sel:DWORD
	s_and_b64 vcc, exec, s[6:7]
	s_cbranch_vccz .LBB48_2423
; %bb.2417:
	v_mov_b32_e32 v5, 45
	v_cmp_gt_i16_sdwa s[6:7], s25, v5 src0_sel:BYTE_0 src1_sel:DWORD
	s_and_b64 vcc, exec, s[6:7]
	s_cbranch_vccz .LBB48_2425
; %bb.2418:
	v_mov_b32_e32 v5, 46
	v_cmp_eq_u16_sdwa s[6:7], s25, v5 src0_sel:BYTE_0 src1_sel:DWORD
	s_mov_b64 s[18:19], 0
	s_and_b64 vcc, exec, s[6:7]
	s_cbranch_vccz .LBB48_2426
; %bb.2419:
	global_load_dword v12, v[10:11], off
	s_mov_b64 s[6:7], 0
	s_mov_b64 s[16:17], -1
	s_branch .LBB48_2427
.LBB48_2420:
	s_mov_b64 s[6:7], -1
	s_mov_b64 s[16:17], 0
                                        ; implicit-def: $vgpr12
	s_branch .LBB48_2493
.LBB48_2421:
	s_mov_b64 s[18:19], -1
	s_mov_b64 s[16:17], 0
	s_mov_b64 s[6:7], 0
                                        ; implicit-def: $vgpr12
	s_branch .LBB48_2456
.LBB48_2422:
	s_mov_b64 s[18:19], -1
	s_mov_b64 s[16:17], 0
	s_mov_b64 s[6:7], 0
                                        ; implicit-def: $vgpr12
	s_branch .LBB48_2437
.LBB48_2423:
	s_mov_b64 s[18:19], -1
	s_mov_b64 s[16:17], 0
	s_mov_b64 s[6:7], 0
                                        ; implicit-def: $vgpr12
	s_branch .LBB48_2432
.LBB48_2424:
	s_trap 2
	s_or_b64 s[4:5], s[4:5], exec
                                        ; implicit-def: $vgpr5
	s_cbranch_execz .LBB48_2359
	s_branch .LBB48_2360
.LBB48_2425:
	s_mov_b64 s[18:19], -1
	s_mov_b64 s[16:17], 0
	s_mov_b64 s[6:7], 0
                                        ; implicit-def: $vgpr12
	s_branch .LBB48_2427
.LBB48_2426:
	s_mov_b64 s[6:7], -1
                                        ; implicit-def: $vgpr12
	s_mov_b64 s[16:17], 0
.LBB48_2427:
	s_and_b64 vcc, exec, s[18:19]
	s_cbranch_vccz .LBB48_2431
; %bb.2428:
	v_mov_b32_e32 v5, 44
	v_cmp_eq_u16_sdwa s[6:7], s25, v5 src0_sel:BYTE_0 src1_sel:DWORD
	s_and_b64 vcc, exec, s[6:7]
	s_cbranch_vccz .LBB48_2430
; %bb.2429:
	global_load_ubyte v5, v[10:11], off
	s_movk_i32 s16, 0xff
	v_mov_b32_e32 v7, 0x7f800001
	v_mov_b32_e32 v9, 0x400000
	s_waitcnt vmcnt(1)
	v_mov_b32_e32 v12, 0x7fc0
	s_mov_b64 s[6:7], 0
	s_waitcnt vmcnt(0)
	v_lshlrev_b32_e32 v13, 23, v5
	v_cmp_ne_u32_e32 vcc, s16, v5
	v_cndmask_b32_e32 v7, v7, v13, vcc
	v_cmp_ne_u32_e32 vcc, 0, v5
	v_cndmask_b32_e32 v5, v9, v7, vcc
	v_add_u32_e32 v7, 0x7fff, v5
	v_lshrrev_b32_e32 v7, 16, v7
	v_cmp_o_f32_e32 vcc, v5, v5
	v_cndmask_b32_e32 v12, v12, v7, vcc
	s_mov_b64 s[16:17], -1
	s_branch .LBB48_2431
.LBB48_2430:
	s_mov_b64 s[6:7], -1
                                        ; implicit-def: $vgpr12
.LBB48_2431:
	s_mov_b64 s[18:19], 0
.LBB48_2432:
	s_and_b64 vcc, exec, s[18:19]
	s_cbranch_vccz .LBB48_2436
; %bb.2433:
	v_mov_b32_e32 v5, 29
	v_cmp_eq_u16_sdwa s[6:7], s25, v5 src0_sel:BYTE_0 src1_sel:DWORD
	s_and_b64 vcc, exec, s[6:7]
	s_cbranch_vccz .LBB48_2435
; %bb.2434:
	global_load_dwordx2 v[12:13], v[10:11], off
	s_movk_i32 s16, 0x7fff
	s_mov_b64 s[6:7], 0
	s_mov_b64 s[18:19], 0
	s_waitcnt vmcnt(0)
	v_ffbh_u32_e32 v5, v13
	v_min_u32_e32 v5, 32, v5
	v_lshlrev_b64 v[12:13], v5, v[12:13]
	v_min_u32_e32 v7, 1, v12
	v_or_b32_e32 v7, v13, v7
	v_cvt_f32_u32_e32 v7, v7
	v_sub_u32_e32 v5, 32, v5
	v_ldexp_f32 v5, v7, v5
	v_bfe_u32 v7, v5, 16, 1
	v_add3_u32 v5, v5, v7, s16
	v_lshrrev_b32_e32 v12, 16, v5
	s_mov_b64 s[16:17], -1
	s_branch .LBB48_2437
.LBB48_2435:
	s_mov_b64 s[6:7], -1
                                        ; implicit-def: $vgpr12
.LBB48_2436:
	s_mov_b64 s[18:19], 0
.LBB48_2437:
	s_and_b64 vcc, exec, s[18:19]
	s_cbranch_vccz .LBB48_2455
; %bb.2438:
	v_mov_b32_e32 v5, 27
	v_cmp_lt_i16_sdwa s[16:17], s25, v5 src0_sel:BYTE_0 src1_sel:DWORD
	s_and_b64 vcc, exec, s[16:17]
	s_cbranch_vccnz .LBB48_2441
; %bb.2439:
	v_cmp_gt_i16_sdwa s[16:17], s25, v5 src0_sel:BYTE_0 src1_sel:DWORD
	s_and_b64 vcc, exec, s[16:17]
	s_cbranch_vccz .LBB48_2442
; %bb.2440:
	global_load_dword v5, v[10:11], off
	s_movk_i32 s16, 0x7fff
	s_waitcnt vmcnt(0)
	v_cvt_f32_u32_e32 v5, v5
	v_bfe_u32 v7, v5, 16, 1
	v_add3_u32 v5, v5, v7, s16
	v_lshrrev_b32_e32 v12, 16, v5
	s_mov_b64 s[16:17], 0
	s_branch .LBB48_2443
.LBB48_2441:
	s_mov_b64 s[16:17], -1
                                        ; implicit-def: $vgpr12
	s_branch .LBB48_2446
.LBB48_2442:
	s_mov_b64 s[16:17], -1
                                        ; implicit-def: $vgpr12
.LBB48_2443:
	s_andn2_b64 vcc, exec, s[16:17]
	s_cbranch_vccnz .LBB48_2445
; %bb.2444:
	global_load_ushort v5, v[10:11], off
	s_movk_i32 s16, 0x7fff
	s_waitcnt vmcnt(0)
	v_cvt_f32_u32_e32 v5, v5
	v_bfe_u32 v7, v5, 16, 1
	v_add3_u32 v5, v5, v7, s16
	v_lshrrev_b32_e32 v12, 16, v5
.LBB48_2445:
	s_mov_b64 s[16:17], 0
.LBB48_2446:
	s_andn2_b64 vcc, exec, s[16:17]
	s_cbranch_vccnz .LBB48_2454
; %bb.2447:
	global_load_ubyte v5, v[10:11], off
	s_movk_i32 s16, 0x7f
                                        ; implicit-def: $sgpr22
	s_waitcnt vmcnt(0)
	v_cmp_lt_i16_e32 vcc, s16, v5
	s_mov_b64 s[16:17], 0
	s_and_saveexec_b64 s[18:19], vcc
	s_xor_b64 s[18:19], exec, s[18:19]
	s_cbranch_execz .LBB48_2468
; %bb.2448:
	s_movk_i32 s16, 0x80
	v_cmp_eq_u16_e32 vcc, s16, v5
	s_mov_b64 s[16:17], -1
                                        ; implicit-def: $sgpr22
	s_and_saveexec_b64 s[20:21], vcc
; %bb.2449:
	s_mov_b32 s22, 0x7f800001
	s_xor_b64 s[16:17], exec, -1
; %bb.2450:
	s_or_b64 exec, exec, s[20:21]
	s_and_b64 s[16:17], s[16:17], exec
	s_or_saveexec_b64 s[18:19], s[18:19]
	v_mov_b32_e32 v7, s22
	s_xor_b64 exec, exec, s[18:19]
	s_cbranch_execnz .LBB48_2469
.LBB48_2451:
	s_or_b64 exec, exec, s[18:19]
	s_and_saveexec_b64 s[18:19], s[16:17]
	s_cbranch_execz .LBB48_2453
.LBB48_2452:
	v_lshlrev_b32_e32 v7, 24, v5
	v_and_b32_e32 v5, 0xffff, v5
	v_and_b32_e32 v9, 7, v5
	v_ffbh_u32_e32 v13, v9
	v_min_u32_e32 v13, 32, v13
	v_subrev_u32_e32 v14, 28, v13
	v_bfe_u32 v12, v5, 3, 4
	v_lshlrev_b32_e32 v5, v14, v5
	v_sub_u32_e32 v13, 29, v13
	v_and_b32_e32 v5, 7, v5
	v_cmp_eq_u32_e32 vcc, 0, v12
	v_cndmask_b32_e32 v12, v12, v13, vcc
	v_cndmask_b32_e32 v5, v9, v5, vcc
	v_mov_b32_e32 v9, 0x3b800000
	v_lshlrev_b32_e32 v5, 20, v5
	v_and_b32_e32 v7, 0x80000000, v7
	v_lshl_add_u32 v9, v12, 23, v9
	v_or3_b32 v7, v7, v9, v5
.LBB48_2453:
	s_or_b64 exec, exec, s[18:19]
	v_bfe_u32 v5, v7, 16, 1
	s_movk_i32 s16, 0x7fff
	v_add3_u32 v5, v7, v5, s16
	v_lshrrev_b32_e32 v5, 16, v5
	v_mov_b32_e32 v9, 0x7fc0
	v_cmp_o_f32_e32 vcc, v7, v7
	v_cndmask_b32_e32 v12, v9, v5, vcc
.LBB48_2454:
	s_mov_b64 s[16:17], -1
.LBB48_2455:
	s_mov_b64 s[18:19], 0
.LBB48_2456:
	s_and_b64 vcc, exec, s[18:19]
	s_cbranch_vccz .LBB48_2489
; %bb.2457:
	v_mov_b32_e32 v5, 22
	v_cmp_gt_i16_sdwa s[10:11], s25, v5 src0_sel:BYTE_0 src1_sel:DWORD
	s_and_b64 vcc, exec, s[10:11]
	s_cbranch_vccz .LBB48_2467
; %bb.2458:
	v_mov_b32_e32 v5, 24
	v_cmp_lt_i16_sdwa s[10:11], s25, v5 src0_sel:BYTE_0 src1_sel:DWORD
	s_and_b64 vcc, exec, s[10:11]
	s_cbranch_vccnz .LBB48_2470
; %bb.2459:
	v_cmp_gt_i16_sdwa s[10:11], s25, v5 src0_sel:BYTE_0 src1_sel:DWORD
	s_and_b64 vcc, exec, s[10:11]
	s_cbranch_vccz .LBB48_2471
; %bb.2460:
	global_load_ubyte v5, v[10:11], off
	s_movk_i32 s10, 0x7f
                                        ; implicit-def: $sgpr20
	s_waitcnt vmcnt(0)
	v_cmp_lt_i16_e32 vcc, s10, v5
	s_mov_b64 s[10:11], 0
	s_and_saveexec_b64 s[16:17], vcc
	s_xor_b64 s[16:17], exec, s[16:17]
	s_cbranch_execz .LBB48_2483
; %bb.2461:
	s_movk_i32 s10, 0x80
	v_cmp_eq_u16_e32 vcc, s10, v5
	s_mov_b64 s[10:11], -1
                                        ; implicit-def: $sgpr20
	s_and_saveexec_b64 s[18:19], vcc
; %bb.2462:
	s_mov_b32 s20, 0x7f800001
	s_xor_b64 s[10:11], exec, -1
; %bb.2463:
	s_or_b64 exec, exec, s[18:19]
	s_and_b64 s[10:11], s[10:11], exec
	s_or_saveexec_b64 s[16:17], s[16:17]
	v_mov_b32_e32 v7, s20
	s_xor_b64 exec, exec, s[16:17]
	s_cbranch_execnz .LBB48_2484
.LBB48_2464:
	s_or_b64 exec, exec, s[16:17]
	s_and_saveexec_b64 s[16:17], s[10:11]
	s_cbranch_execz .LBB48_2466
.LBB48_2465:
	v_lshlrev_b32_e32 v7, 24, v5
	v_and_b32_e32 v5, 0xffff, v5
	v_and_b32_e32 v9, 3, v5
	v_ffbh_u32_e32 v13, v9
	v_min_u32_e32 v13, 32, v13
	v_subrev_u32_e32 v14, 29, v13
	v_bfe_u32 v12, v5, 2, 5
	v_lshlrev_b32_e32 v5, v14, v5
	v_sub_u32_e32 v13, 30, v13
	v_and_b32_e32 v5, 3, v5
	v_cmp_eq_u32_e32 vcc, 0, v12
	v_cndmask_b32_e32 v12, v12, v13, vcc
	v_cndmask_b32_e32 v5, v9, v5, vcc
	v_mov_b32_e32 v9, 0x37800000
	v_lshlrev_b32_e32 v5, 21, v5
	v_and_b32_e32 v7, 0x80000000, v7
	v_lshl_add_u32 v9, v12, 23, v9
	v_or3_b32 v7, v7, v9, v5
.LBB48_2466:
	s_or_b64 exec, exec, s[16:17]
	v_bfe_u32 v5, v7, 16, 1
	s_movk_i32 s10, 0x7fff
	v_add3_u32 v5, v7, v5, s10
	v_lshrrev_b32_e32 v5, 16, v5
	v_mov_b32_e32 v9, 0x7fc0
	v_cmp_o_f32_e32 vcc, v7, v7
	v_cndmask_b32_e32 v12, v9, v5, vcc
	s_mov_b64 s[10:11], 0
	s_branch .LBB48_2472
.LBB48_2467:
	s_mov_b64 s[10:11], -1
                                        ; implicit-def: $vgpr12
	s_branch .LBB48_2478
.LBB48_2468:
	s_or_saveexec_b64 s[18:19], s[18:19]
	v_mov_b32_e32 v7, s22
	s_xor_b64 exec, exec, s[18:19]
	s_cbranch_execz .LBB48_2451
.LBB48_2469:
	v_cmp_ne_u16_e32 vcc, 0, v5
	s_andn2_b64 s[16:17], s[16:17], exec
	s_and_b64 s[20:21], vcc, exec
	v_mov_b32_e32 v7, 0
	s_or_b64 s[16:17], s[16:17], s[20:21]
	s_or_b64 exec, exec, s[18:19]
	s_and_saveexec_b64 s[18:19], s[16:17]
	s_cbranch_execnz .LBB48_2452
	s_branch .LBB48_2453
.LBB48_2470:
	s_mov_b64 s[10:11], -1
                                        ; implicit-def: $vgpr12
	s_branch .LBB48_2475
.LBB48_2471:
	s_mov_b64 s[10:11], -1
                                        ; implicit-def: $vgpr12
.LBB48_2472:
	s_and_b64 vcc, exec, s[10:11]
	s_cbranch_vccz .LBB48_2474
; %bb.2473:
	global_load_ubyte v5, v[10:11], off
	s_mov_b32 s10, 0x7f800000
	s_brev_b32 s11, 1
	s_movk_i32 s16, 0x7fff
	v_mov_b32_e32 v7, 0x7fc0
	s_waitcnt vmcnt(0)
	v_lshlrev_b32_e32 v5, 24, v5
	v_and_b32_e32 v9, 0x7f000000, v5
	v_ffbh_u32_e32 v12, v9
	v_min_u32_e32 v12, 32, v12
	v_sub_u32_e64 v12, v12, 4 clamp
	v_lshlrev_b32_e32 v14, v12, v9
	v_lshlrev_b32_e32 v12, 23, v12
	v_lshrrev_b32_e32 v14, 4, v14
	v_add_u32_e32 v13, 0x1000000, v9
	v_sub_u32_e32 v12, v14, v12
	v_ashrrev_i32_e32 v13, 8, v13
	v_add_u32_e32 v12, 0x3c000000, v12
	v_and_or_b32 v12, v13, s10, v12
	v_cmp_ne_u32_e32 vcc, 0, v9
	v_cndmask_b32_e32 v9, 0, v12, vcc
	v_and_or_b32 v5, v5, s11, v9
	v_bfe_u32 v9, v9, 16, 1
	v_add3_u32 v9, v5, v9, s16
	v_lshrrev_b32_e32 v9, 16, v9
	v_cmp_o_f32_e32 vcc, v5, v5
	v_cndmask_b32_e32 v12, v7, v9, vcc
.LBB48_2474:
	s_mov_b64 s[10:11], 0
.LBB48_2475:
	s_andn2_b64 vcc, exec, s[10:11]
	s_cbranch_vccnz .LBB48_2477
; %bb.2476:
	global_load_ubyte v5, v[10:11], off
	s_movk_i32 s10, 0x7f00
	s_brev_b32 s11, 16
	s_brev_b32 s16, 1
	s_movk_i32 s17, 0x7fff
	v_mov_b32_e32 v7, 0x7fc0
	s_waitcnt vmcnt(0)
	v_lshlrev_b16_e32 v9, 8, v5
	v_lshlrev_b32_e32 v5, 25, v5
	v_lshrrev_b32_e32 v12, 4, v5
	v_and_or_b32 v13, v9, s10, 0.5
	v_or_b32_e32 v12, 0x70000000, v12
	v_add_f32_e32 v13, -0.5, v13
	v_mul_f32_e32 v12, 0x7800000, v12
	v_cmp_gt_u32_e32 vcc, s11, v5
	v_bfe_i32 v9, v9, 0, 16
	v_cndmask_b32_e32 v5, v12, v13, vcc
	v_and_or_b32 v9, v9, s16, v5
	v_bfe_u32 v5, v5, 16, 1
	v_add3_u32 v5, v9, v5, s17
	v_lshrrev_b32_e32 v5, 16, v5
	v_cmp_o_f32_e32 vcc, v9, v9
	v_cndmask_b32_e32 v12, v7, v5, vcc
.LBB48_2477:
	s_mov_b64 s[10:11], 0
	s_mov_b64 s[16:17], -1
.LBB48_2478:
	s_andn2_b64 vcc, exec, s[10:11]
	s_mov_b64 s[10:11], 0
	s_cbranch_vccnz .LBB48_2489
; %bb.2479:
	v_mov_b32_e32 v5, 14
	v_cmp_gt_i16_sdwa s[10:11], s25, v5 src0_sel:BYTE_0 src1_sel:DWORD
	s_and_b64 vcc, exec, s[10:11]
	s_cbranch_vccz .LBB48_2482
; %bb.2480:
	v_mov_b32_e32 v5, 15
	v_cmp_eq_u16_sdwa s[6:7], s25, v5 src0_sel:BYTE_0 src1_sel:DWORD
	s_and_b64 vcc, exec, s[6:7]
	s_cbranch_vccz .LBB48_2485
; %bb.2481:
	global_load_ushort v12, v[10:11], off
	s_mov_b64 s[6:7], 0
	s_mov_b64 s[16:17], -1
	s_branch .LBB48_2486
.LBB48_2482:
	s_mov_b64 s[18:19], -1
                                        ; implicit-def: $vgpr12
	s_branch .LBB48_2487
.LBB48_2483:
	s_or_saveexec_b64 s[16:17], s[16:17]
	v_mov_b32_e32 v7, s20
	s_xor_b64 exec, exec, s[16:17]
	s_cbranch_execz .LBB48_2464
.LBB48_2484:
	v_cmp_ne_u16_e32 vcc, 0, v5
	s_andn2_b64 s[10:11], s[10:11], exec
	s_and_b64 s[18:19], vcc, exec
	v_mov_b32_e32 v7, 0
	s_or_b64 s[10:11], s[10:11], s[18:19]
	s_or_b64 exec, exec, s[16:17]
	s_and_saveexec_b64 s[16:17], s[10:11]
	s_cbranch_execnz .LBB48_2465
	s_branch .LBB48_2466
.LBB48_2485:
	s_mov_b64 s[6:7], -1
                                        ; implicit-def: $vgpr12
.LBB48_2486:
	s_mov_b64 s[18:19], 0
.LBB48_2487:
	s_mov_b64 s[10:11], 0
	s_and_b64 vcc, exec, s[18:19]
	s_cbranch_vccz .LBB48_2489
; %bb.2488:
	v_mov_b32_e32 v5, 11
	v_cmp_ne_u16_sdwa s[6:7], s25, v5 src0_sel:BYTE_0 src1_sel:DWORD
	s_mov_b64 s[10:11], -1
                                        ; implicit-def: $vgpr12
.LBB48_2489:
	s_and_b64 vcc, exec, s[6:7]
	s_cbranch_vccnz .LBB48_2554
; %bb.2490:
	s_andn2_b64 vcc, exec, s[10:11]
	s_cbranch_vccnz .LBB48_2492
.LBB48_2491:
	global_load_ubyte v5, v[10:11], off
	s_mov_b64 s[16:17], -1
	s_waitcnt vmcnt(0)
	v_cmp_ne_u16_e32 vcc, 0, v5
	v_cndmask_b32_e64 v5, 0, 1.0, vcc
	v_lshrrev_b32_e32 v12, 16, v5
.LBB48_2492:
	s_mov_b64 s[6:7], 0
.LBB48_2493:
	s_and_b64 vcc, exec, s[6:7]
	s_cbranch_vccz .LBB48_2542
; %bb.2494:
	v_mov_b32_e32 v5, 5
	v_cmp_lt_i16_sdwa s[6:7], s25, v5 src0_sel:BYTE_0 src1_sel:DWORD
	s_and_b64 vcc, exec, s[6:7]
	s_cbranch_vccnz .LBB48_2499
; %bb.2495:
	v_mov_b32_e32 v5, 8
	v_cmp_lt_i16_sdwa s[6:7], s25, v5 src0_sel:BYTE_0 src1_sel:DWORD
	s_and_b64 vcc, exec, s[6:7]
	s_cbranch_vccnz .LBB48_2500
	;; [unrolled: 5-line block ×3, first 2 shown]
; %bb.2497:
	v_cmp_gt_i16_sdwa s[6:7], s25, v5 src0_sel:BYTE_0 src1_sel:DWORD
	s_and_b64 vcc, exec, s[6:7]
	s_cbranch_vccz .LBB48_2502
; %bb.2498:
	global_load_dwordx2 v[12:13], v[10:11], off
	s_movk_i32 s6, 0x7fff
	v_mov_b32_e32 v5, 0x7fc0
	s_waitcnt vmcnt(0)
	v_cvt_f32_f64_e32 v7, v[12:13]
	v_bfe_u32 v9, v7, 16, 1
	v_add3_u32 v9, v7, v9, s6
	v_lshrrev_b32_e32 v9, 16, v9
	v_cmp_o_f32_e32 vcc, v7, v7
	v_cndmask_b32_e32 v12, v5, v9, vcc
	s_mov_b64 s[6:7], 0
	s_branch .LBB48_2503
.LBB48_2499:
	s_mov_b64 s[6:7], -1
                                        ; implicit-def: $vgpr12
	s_branch .LBB48_2521
.LBB48_2500:
	s_mov_b64 s[6:7], -1
                                        ; implicit-def: $vgpr12
	s_branch .LBB48_2509
.LBB48_2501:
	s_mov_b64 s[6:7], -1
                                        ; implicit-def: $vgpr12
	s_branch .LBB48_2506
.LBB48_2502:
	s_mov_b64 s[6:7], -1
                                        ; implicit-def: $vgpr12
.LBB48_2503:
	s_andn2_b64 vcc, exec, s[6:7]
	s_cbranch_vccnz .LBB48_2505
; %bb.2504:
	global_load_dword v5, v[10:11], off
	s_movk_i32 s6, 0x7fff
	v_mov_b32_e32 v7, 0x7fc0
	s_waitcnt vmcnt(0)
	v_bfe_u32 v9, v5, 16, 1
	v_add3_u32 v9, v5, v9, s6
	v_lshrrev_b32_e32 v9, 16, v9
	v_cmp_o_f32_e32 vcc, v5, v5
	v_cndmask_b32_e32 v12, v7, v9, vcc
.LBB48_2505:
	s_mov_b64 s[6:7], 0
.LBB48_2506:
	s_andn2_b64 vcc, exec, s[6:7]
	s_cbranch_vccnz .LBB48_2508
; %bb.2507:
	global_load_dword v5, v[10:11], off
	s_movk_i32 s6, 0x7fff
	v_mov_b32_e32 v9, 0x7fc0
	s_waitcnt vmcnt(0)
	v_cvt_f32_f16_e32 v7, v5
	v_cmp_o_f16_e32 vcc, v5, v5
	v_bfe_u32 v12, v7, 16, 1
	v_add3_u32 v7, v7, v12, s6
	v_lshrrev_b32_e32 v7, 16, v7
	v_cndmask_b32_e32 v12, v9, v7, vcc
.LBB48_2508:
	s_mov_b64 s[6:7], 0
.LBB48_2509:
	s_andn2_b64 vcc, exec, s[6:7]
	s_cbranch_vccnz .LBB48_2520
; %bb.2510:
	v_mov_b32_e32 v5, 6
	v_cmp_lt_i16_sdwa s[6:7], s25, v5 src0_sel:BYTE_0 src1_sel:DWORD
	s_and_b64 vcc, exec, s[6:7]
	s_cbranch_vccnz .LBB48_2513
; %bb.2511:
	v_cmp_gt_i16_sdwa s[6:7], s25, v5 src0_sel:BYTE_0 src1_sel:DWORD
	s_and_b64 vcc, exec, s[6:7]
	s_cbranch_vccz .LBB48_2514
; %bb.2512:
	global_load_dwordx2 v[12:13], v[10:11], off
	s_movk_i32 s6, 0x7fff
	v_mov_b32_e32 v5, 0x7fc0
	s_waitcnt vmcnt(0)
	v_cvt_f32_f64_e32 v7, v[12:13]
	v_bfe_u32 v9, v7, 16, 1
	v_add3_u32 v9, v7, v9, s6
	v_lshrrev_b32_e32 v9, 16, v9
	v_cmp_o_f32_e32 vcc, v7, v7
	v_cndmask_b32_e32 v12, v5, v9, vcc
	s_mov_b64 s[6:7], 0
	s_branch .LBB48_2515
.LBB48_2513:
	s_mov_b64 s[6:7], -1
                                        ; implicit-def: $vgpr12
	s_branch .LBB48_2518
.LBB48_2514:
	s_mov_b64 s[6:7], -1
                                        ; implicit-def: $vgpr12
.LBB48_2515:
	s_andn2_b64 vcc, exec, s[6:7]
	s_cbranch_vccnz .LBB48_2517
; %bb.2516:
	global_load_dword v5, v[10:11], off
	s_movk_i32 s6, 0x7fff
	v_mov_b32_e32 v7, 0x7fc0
	s_waitcnt vmcnt(0)
	v_bfe_u32 v9, v5, 16, 1
	v_add3_u32 v9, v5, v9, s6
	v_lshrrev_b32_e32 v9, 16, v9
	v_cmp_o_f32_e32 vcc, v5, v5
	v_cndmask_b32_e32 v12, v7, v9, vcc
.LBB48_2517:
	s_mov_b64 s[6:7], 0
.LBB48_2518:
	s_andn2_b64 vcc, exec, s[6:7]
	s_cbranch_vccnz .LBB48_2520
; %bb.2519:
	global_load_ushort v5, v[10:11], off
	s_movk_i32 s6, 0x7fff
	v_mov_b32_e32 v9, 0x7fc0
	s_waitcnt vmcnt(0)
	v_cvt_f32_f16_e32 v7, v5
	v_cmp_o_f16_e32 vcc, v5, v5
	v_bfe_u32 v12, v7, 16, 1
	v_add3_u32 v7, v7, v12, s6
	v_lshrrev_b32_e32 v7, 16, v7
	v_cndmask_b32_e32 v12, v9, v7, vcc
.LBB48_2520:
	s_mov_b64 s[6:7], 0
.LBB48_2521:
	s_andn2_b64 vcc, exec, s[6:7]
	s_cbranch_vccnz .LBB48_2541
; %bb.2522:
	v_mov_b32_e32 v5, 2
	v_cmp_lt_i16_sdwa s[6:7], s25, v5 src0_sel:BYTE_0 src1_sel:DWORD
	s_and_b64 vcc, exec, s[6:7]
	s_cbranch_vccnz .LBB48_2526
; %bb.2523:
	v_mov_b32_e32 v5, 3
	v_cmp_lt_i16_sdwa s[6:7], s25, v5 src0_sel:BYTE_0 src1_sel:DWORD
	s_and_b64 vcc, exec, s[6:7]
	s_cbranch_vccnz .LBB48_2527
; %bb.2524:
	v_cmp_gt_i16_sdwa s[6:7], s25, v5 src0_sel:BYTE_0 src1_sel:DWORD
	s_and_b64 vcc, exec, s[6:7]
	s_cbranch_vccz .LBB48_2528
; %bb.2525:
	global_load_dwordx2 v[12:13], v[10:11], off
	s_movk_i32 s6, 0x7fff
	s_waitcnt vmcnt(0)
	v_xor_b32_e32 v7, v12, v13
	v_ffbh_i32_e32 v5, v13
	v_ashrrev_i32_e32 v7, 31, v7
	v_add_u32_e32 v5, -1, v5
	v_add_u32_e32 v7, 32, v7
	v_min_u32_e32 v5, v5, v7
	v_lshlrev_b64 v[12:13], v5, v[12:13]
	v_min_u32_e32 v7, 1, v12
	v_or_b32_e32 v7, v13, v7
	v_cvt_f32_i32_e32 v7, v7
	v_sub_u32_e32 v5, 32, v5
	v_ldexp_f32 v5, v7, v5
	v_bfe_u32 v7, v5, 16, 1
	v_add3_u32 v5, v5, v7, s6
	v_lshrrev_b32_e32 v12, 16, v5
	s_mov_b64 s[6:7], 0
	s_branch .LBB48_2529
.LBB48_2526:
	s_mov_b64 s[6:7], -1
                                        ; implicit-def: $vgpr12
	s_branch .LBB48_2535
.LBB48_2527:
	s_mov_b64 s[6:7], -1
                                        ; implicit-def: $vgpr12
	s_branch .LBB48_2532
.LBB48_2528:
	s_mov_b64 s[6:7], -1
                                        ; implicit-def: $vgpr12
.LBB48_2529:
	s_andn2_b64 vcc, exec, s[6:7]
	s_cbranch_vccnz .LBB48_2531
; %bb.2530:
	global_load_dword v5, v[10:11], off
	s_movk_i32 s6, 0x7fff
	s_waitcnt vmcnt(0)
	v_cvt_f32_i32_e32 v5, v5
	v_bfe_u32 v7, v5, 16, 1
	v_add3_u32 v5, v5, v7, s6
	v_lshrrev_b32_e32 v12, 16, v5
.LBB48_2531:
	s_mov_b64 s[6:7], 0
.LBB48_2532:
	s_andn2_b64 vcc, exec, s[6:7]
	s_cbranch_vccnz .LBB48_2534
; %bb.2533:
	global_load_sshort v5, v[10:11], off
	s_movk_i32 s6, 0x7fff
	s_waitcnt vmcnt(0)
	v_cvt_f32_i32_e32 v5, v5
	v_bfe_u32 v7, v5, 16, 1
	v_add3_u32 v5, v5, v7, s6
	v_lshrrev_b32_e32 v12, 16, v5
.LBB48_2534:
	s_mov_b64 s[6:7], 0
.LBB48_2535:
	s_andn2_b64 vcc, exec, s[6:7]
	s_cbranch_vccnz .LBB48_2541
; %bb.2536:
	v_mov_b32_e32 v5, 0
	v_cmp_gt_i16_sdwa s[6:7], s25, v5 src0_sel:BYTE_0 src1_sel:DWORD
	s_and_b64 vcc, exec, s[6:7]
	s_cbranch_vccz .LBB48_2538
; %bb.2537:
	global_load_sbyte v5, v[10:11], off
	s_movk_i32 s6, 0x7fff
	s_waitcnt vmcnt(0)
	v_cvt_f32_i32_e32 v5, v5
	v_bfe_u32 v7, v5, 16, 1
	v_add3_u32 v5, v5, v7, s6
	v_lshrrev_b32_e32 v12, 16, v5
	s_mov_b64 s[6:7], 0
	s_branch .LBB48_2539
.LBB48_2538:
	s_mov_b64 s[6:7], -1
                                        ; implicit-def: $vgpr12
.LBB48_2539:
	s_andn2_b64 vcc, exec, s[6:7]
	s_cbranch_vccnz .LBB48_2541
; %bb.2540:
	global_load_ubyte v5, v[10:11], off
	s_movk_i32 s6, 0x7fff
	s_waitcnt vmcnt(0)
	v_cvt_f32_ubyte0_e32 v5, v5
	v_bfe_u32 v7, v5, 16, 1
	v_add3_u32 v5, v5, v7, s6
	v_lshrrev_b32_e32 v12, 16, v5
.LBB48_2541:
	s_mov_b64 s[16:17], -1
.LBB48_2542:
	s_andn2_b64 vcc, exec, s[16:17]
	s_cbranch_vccnz .LBB48_2682
; %bb.2543:
	v_mov_b32_e32 v5, s1
	v_add_co_u32_e32 v8, vcc, s0, v8
	v_addc_co_u32_e32 v9, vcc, 0, v5, vcc
	s_and_b64 vcc, exec, s[2:3]
	s_cbranch_vccnz .LBB48_2550
; %bb.2544:
	v_cmp_gt_i16_e64 s[0:1], s26, 25
	s_mov_b64 s[2:3], 0
	s_and_b64 vcc, exec, s[0:1]
	s_cbranch_vccz .LBB48_2551
; %bb.2545:
	v_cmp_gt_i16_e64 s[0:1], s26, 28
	s_and_b64 vcc, exec, s[0:1]
	s_cbranch_vccz .LBB48_2552
; %bb.2546:
	v_cmp_gt_i16_e64 s[0:1], s26, 43
	s_and_b64 vcc, exec, s[0:1]
	s_cbranch_vccz .LBB48_2553
; %bb.2547:
	v_cmp_gt_i16_e64 s[0:1], s26, 45
	s_and_b64 vcc, exec, s[0:1]
	s_cbranch_vccz .LBB48_2555
; %bb.2548:
	v_cmp_eq_u16_e64 s[0:1], s26, 46
	s_mov_b64 s[10:11], 0
	s_and_b64 vcc, exec, s[0:1]
	s_cbranch_vccz .LBB48_2556
; %bb.2549:
	global_load_dword v5, v[8:9], off
	s_mov_b64 s[0:1], 0
	s_mov_b64 s[6:7], -1
	s_branch .LBB48_2557
.LBB48_2550:
	s_mov_b64 s[0:1], -1
	s_mov_b64 s[6:7], 0
                                        ; implicit-def: $vgpr5
	s_branch .LBB48_2623
.LBB48_2551:
	s_mov_b64 s[10:11], -1
	s_mov_b64 s[6:7], 0
	s_mov_b64 s[0:1], 0
                                        ; implicit-def: $vgpr5
	s_branch .LBB48_2586
.LBB48_2552:
	s_mov_b64 s[10:11], -1
	s_mov_b64 s[6:7], 0
	s_mov_b64 s[0:1], 0
                                        ; implicit-def: $vgpr5
	s_branch .LBB48_2567
.LBB48_2553:
	s_mov_b64 s[10:11], -1
	s_mov_b64 s[6:7], 0
	s_mov_b64 s[0:1], 0
                                        ; implicit-def: $vgpr5
	s_branch .LBB48_2562
.LBB48_2554:
	s_trap 2
	s_or_b64 s[4:5], s[4:5], exec
                                        ; implicit-def: $vgpr12
	s_cbranch_execz .LBB48_2491
	s_branch .LBB48_2492
.LBB48_2555:
	s_mov_b64 s[10:11], -1
	s_mov_b64 s[6:7], 0
	s_mov_b64 s[0:1], 0
                                        ; implicit-def: $vgpr5
	s_branch .LBB48_2557
.LBB48_2556:
	s_mov_b64 s[0:1], -1
                                        ; implicit-def: $vgpr5
	s_mov_b64 s[6:7], 0
.LBB48_2557:
	s_and_b64 vcc, exec, s[10:11]
	s_cbranch_vccz .LBB48_2561
; %bb.2558:
	v_cmp_eq_u16_e64 s[0:1], s26, 44
	s_and_b64 vcc, exec, s[0:1]
	s_cbranch_vccz .LBB48_2560
; %bb.2559:
	global_load_ubyte v5, v[8:9], off
	s_movk_i32 s6, 0xff
	v_mov_b32_e32 v7, 0x7f800001
	v_mov_b32_e32 v10, 0x400000
	;; [unrolled: 1-line block ×3, first 2 shown]
	s_mov_b64 s[0:1], 0
	s_waitcnt vmcnt(0)
	v_lshlrev_b32_e32 v13, 23, v5
	v_cmp_ne_u32_e32 vcc, s6, v5
	v_cndmask_b32_e32 v7, v7, v13, vcc
	v_cmp_ne_u32_e32 vcc, 0, v5
	v_cndmask_b32_e32 v5, v10, v7, vcc
	v_add_u32_e32 v7, 0x7fff, v5
	v_lshrrev_b32_e32 v7, 16, v7
	v_cmp_o_f32_e32 vcc, v5, v5
	v_cndmask_b32_e32 v5, v11, v7, vcc
	s_mov_b64 s[6:7], -1
	s_branch .LBB48_2561
.LBB48_2560:
	s_mov_b64 s[0:1], -1
                                        ; implicit-def: $vgpr5
.LBB48_2561:
	s_mov_b64 s[10:11], 0
.LBB48_2562:
	s_and_b64 vcc, exec, s[10:11]
	s_cbranch_vccz .LBB48_2566
; %bb.2563:
	v_cmp_eq_u16_e64 s[0:1], s26, 29
	s_and_b64 vcc, exec, s[0:1]
	s_cbranch_vccz .LBB48_2565
; %bb.2564:
	global_load_dwordx2 v[10:11], v[8:9], off
	s_movk_i32 s6, 0x7fff
	s_mov_b64 s[0:1], 0
	s_mov_b64 s[10:11], 0
	s_waitcnt vmcnt(0)
	v_ffbh_u32_e32 v5, v11
	v_min_u32_e32 v5, 32, v5
	v_lshlrev_b64 v[10:11], v5, v[10:11]
	v_min_u32_e32 v7, 1, v10
	v_or_b32_e32 v7, v11, v7
	v_cvt_f32_u32_e32 v7, v7
	v_sub_u32_e32 v5, 32, v5
	v_ldexp_f32 v5, v7, v5
	v_bfe_u32 v7, v5, 16, 1
	v_add3_u32 v5, v5, v7, s6
	v_lshrrev_b32_e32 v5, 16, v5
	s_mov_b64 s[6:7], -1
	s_branch .LBB48_2567
.LBB48_2565:
	s_mov_b64 s[0:1], -1
                                        ; implicit-def: $vgpr5
.LBB48_2566:
	s_mov_b64 s[10:11], 0
.LBB48_2567:
	s_and_b64 vcc, exec, s[10:11]
	s_cbranch_vccz .LBB48_2585
; %bb.2568:
	v_cmp_lt_i16_e64 s[6:7], s26, 27
	s_and_b64 vcc, exec, s[6:7]
	s_cbranch_vccnz .LBB48_2571
; %bb.2569:
	v_cmp_gt_i16_e64 s[6:7], s26, 27
	s_and_b64 vcc, exec, s[6:7]
	s_cbranch_vccz .LBB48_2572
; %bb.2570:
	global_load_dword v5, v[8:9], off
	s_movk_i32 s6, 0x7fff
	s_waitcnt vmcnt(0)
	v_cvt_f32_u32_e32 v5, v5
	v_bfe_u32 v7, v5, 16, 1
	v_add3_u32 v5, v5, v7, s6
	v_lshrrev_b32_e32 v5, 16, v5
	s_mov_b64 s[6:7], 0
	s_branch .LBB48_2573
.LBB48_2571:
	s_mov_b64 s[6:7], -1
                                        ; implicit-def: $vgpr5
	s_branch .LBB48_2576
.LBB48_2572:
	s_mov_b64 s[6:7], -1
                                        ; implicit-def: $vgpr5
.LBB48_2573:
	s_andn2_b64 vcc, exec, s[6:7]
	s_cbranch_vccnz .LBB48_2575
; %bb.2574:
	global_load_ushort v5, v[8:9], off
	s_movk_i32 s6, 0x7fff
	s_waitcnt vmcnt(0)
	v_cvt_f32_u32_e32 v5, v5
	v_bfe_u32 v7, v5, 16, 1
	v_add3_u32 v5, v5, v7, s6
	v_lshrrev_b32_e32 v5, 16, v5
.LBB48_2575:
	s_mov_b64 s[6:7], 0
.LBB48_2576:
	s_andn2_b64 vcc, exec, s[6:7]
	s_cbranch_vccnz .LBB48_2584
; %bb.2577:
	global_load_ubyte v5, v[8:9], off
	s_movk_i32 s6, 0x7f
                                        ; implicit-def: $sgpr18
	s_waitcnt vmcnt(0)
	v_cmp_lt_i16_e32 vcc, s6, v5
	s_mov_b64 s[6:7], 0
	s_and_saveexec_b64 s[10:11], vcc
	s_xor_b64 s[10:11], exec, s[10:11]
	s_cbranch_execz .LBB48_2598
; %bb.2578:
	s_movk_i32 s6, 0x80
	v_cmp_eq_u16_e32 vcc, s6, v5
	s_mov_b64 s[6:7], -1
                                        ; implicit-def: $sgpr18
	s_and_saveexec_b64 s[16:17], vcc
; %bb.2579:
	s_mov_b32 s18, 0x7f800001
	s_xor_b64 s[6:7], exec, -1
; %bb.2580:
	s_or_b64 exec, exec, s[16:17]
	s_and_b64 s[6:7], s[6:7], exec
	s_or_saveexec_b64 s[10:11], s[10:11]
	v_mov_b32_e32 v7, s18
	s_xor_b64 exec, exec, s[10:11]
	s_cbranch_execnz .LBB48_2599
.LBB48_2581:
	s_or_b64 exec, exec, s[10:11]
	s_and_saveexec_b64 s[10:11], s[6:7]
	s_cbranch_execz .LBB48_2583
.LBB48_2582:
	v_lshlrev_b32_e32 v7, 24, v5
	v_and_b32_e32 v5, 0xffff, v5
	v_and_b32_e32 v10, 7, v5
	v_ffbh_u32_e32 v13, v10
	v_min_u32_e32 v13, 32, v13
	v_subrev_u32_e32 v14, 28, v13
	v_bfe_u32 v11, v5, 3, 4
	v_lshlrev_b32_e32 v5, v14, v5
	v_sub_u32_e32 v13, 29, v13
	v_and_b32_e32 v5, 7, v5
	v_cmp_eq_u32_e32 vcc, 0, v11
	v_cndmask_b32_e32 v11, v11, v13, vcc
	v_cndmask_b32_e32 v5, v10, v5, vcc
	v_mov_b32_e32 v10, 0x3b800000
	v_lshlrev_b32_e32 v5, 20, v5
	v_and_b32_e32 v7, 0x80000000, v7
	v_lshl_add_u32 v10, v11, 23, v10
	v_or3_b32 v7, v7, v10, v5
.LBB48_2583:
	s_or_b64 exec, exec, s[10:11]
	v_bfe_u32 v5, v7, 16, 1
	s_movk_i32 s6, 0x7fff
	v_add3_u32 v5, v7, v5, s6
	v_lshrrev_b32_e32 v5, 16, v5
	v_mov_b32_e32 v10, 0x7fc0
	v_cmp_o_f32_e32 vcc, v7, v7
	v_cndmask_b32_e32 v5, v10, v5, vcc
.LBB48_2584:
	s_mov_b64 s[6:7], -1
.LBB48_2585:
	s_mov_b64 s[10:11], 0
.LBB48_2586:
	s_and_b64 vcc, exec, s[10:11]
	s_cbranch_vccz .LBB48_2619
; %bb.2587:
	v_cmp_gt_i16_e64 s[2:3], s26, 22
	s_and_b64 vcc, exec, s[2:3]
	s_cbranch_vccz .LBB48_2597
; %bb.2588:
	v_cmp_lt_i16_e64 s[2:3], s26, 24
	s_and_b64 vcc, exec, s[2:3]
	s_cbranch_vccnz .LBB48_2600
; %bb.2589:
	v_cmp_gt_i16_e64 s[2:3], s26, 24
	s_and_b64 vcc, exec, s[2:3]
	s_cbranch_vccz .LBB48_2601
; %bb.2590:
	global_load_ubyte v5, v[8:9], off
	s_movk_i32 s2, 0x7f
                                        ; implicit-def: $sgpr16
	s_waitcnt vmcnt(0)
	v_cmp_lt_i16_e32 vcc, s2, v5
	s_mov_b64 s[2:3], 0
	s_and_saveexec_b64 s[6:7], vcc
	s_xor_b64 s[6:7], exec, s[6:7]
	s_cbranch_execz .LBB48_2613
; %bb.2591:
	s_movk_i32 s2, 0x80
	v_cmp_eq_u16_e32 vcc, s2, v5
	s_mov_b64 s[2:3], -1
                                        ; implicit-def: $sgpr16
	s_and_saveexec_b64 s[10:11], vcc
; %bb.2592:
	s_mov_b32 s16, 0x7f800001
	s_xor_b64 s[2:3], exec, -1
; %bb.2593:
	s_or_b64 exec, exec, s[10:11]
	s_and_b64 s[2:3], s[2:3], exec
	s_or_saveexec_b64 s[6:7], s[6:7]
	v_mov_b32_e32 v7, s16
	s_xor_b64 exec, exec, s[6:7]
	s_cbranch_execnz .LBB48_2614
.LBB48_2594:
	s_or_b64 exec, exec, s[6:7]
	s_and_saveexec_b64 s[6:7], s[2:3]
	s_cbranch_execz .LBB48_2596
.LBB48_2595:
	v_lshlrev_b32_e32 v7, 24, v5
	v_and_b32_e32 v5, 0xffff, v5
	v_and_b32_e32 v10, 3, v5
	v_ffbh_u32_e32 v13, v10
	v_min_u32_e32 v13, 32, v13
	v_subrev_u32_e32 v14, 29, v13
	v_bfe_u32 v11, v5, 2, 5
	v_lshlrev_b32_e32 v5, v14, v5
	v_sub_u32_e32 v13, 30, v13
	v_and_b32_e32 v5, 3, v5
	v_cmp_eq_u32_e32 vcc, 0, v11
	v_cndmask_b32_e32 v11, v11, v13, vcc
	v_cndmask_b32_e32 v5, v10, v5, vcc
	v_mov_b32_e32 v10, 0x37800000
	v_lshlrev_b32_e32 v5, 21, v5
	v_and_b32_e32 v7, 0x80000000, v7
	v_lshl_add_u32 v10, v11, 23, v10
	v_or3_b32 v7, v7, v10, v5
.LBB48_2596:
	s_or_b64 exec, exec, s[6:7]
	v_bfe_u32 v5, v7, 16, 1
	s_movk_i32 s2, 0x7fff
	v_add3_u32 v5, v7, v5, s2
	v_lshrrev_b32_e32 v5, 16, v5
	v_mov_b32_e32 v10, 0x7fc0
	v_cmp_o_f32_e32 vcc, v7, v7
	v_cndmask_b32_e32 v5, v10, v5, vcc
	s_mov_b64 s[2:3], 0
	s_branch .LBB48_2602
.LBB48_2597:
	s_mov_b64 s[2:3], -1
                                        ; implicit-def: $vgpr5
	s_branch .LBB48_2608
.LBB48_2598:
	s_or_saveexec_b64 s[10:11], s[10:11]
	v_mov_b32_e32 v7, s18
	s_xor_b64 exec, exec, s[10:11]
	s_cbranch_execz .LBB48_2581
.LBB48_2599:
	v_cmp_ne_u16_e32 vcc, 0, v5
	s_andn2_b64 s[6:7], s[6:7], exec
	s_and_b64 s[16:17], vcc, exec
	v_mov_b32_e32 v7, 0
	s_or_b64 s[6:7], s[6:7], s[16:17]
	s_or_b64 exec, exec, s[10:11]
	s_and_saveexec_b64 s[10:11], s[6:7]
	s_cbranch_execnz .LBB48_2582
	s_branch .LBB48_2583
.LBB48_2600:
	s_mov_b64 s[2:3], -1
                                        ; implicit-def: $vgpr5
	s_branch .LBB48_2605
.LBB48_2601:
	s_mov_b64 s[2:3], -1
                                        ; implicit-def: $vgpr5
.LBB48_2602:
	s_and_b64 vcc, exec, s[2:3]
	s_cbranch_vccz .LBB48_2604
; %bb.2603:
	global_load_ubyte v5, v[8:9], off
	s_mov_b32 s2, 0x7f800000
	s_brev_b32 s3, 1
	s_movk_i32 s6, 0x7fff
	v_mov_b32_e32 v7, 0x7fc0
	s_waitcnt vmcnt(0)
	v_lshlrev_b32_e32 v5, 24, v5
	v_and_b32_e32 v10, 0x7f000000, v5
	v_ffbh_u32_e32 v11, v10
	v_min_u32_e32 v11, 32, v11
	v_sub_u32_e64 v11, v11, 4 clamp
	v_lshlrev_b32_e32 v14, v11, v10
	v_lshlrev_b32_e32 v11, 23, v11
	v_lshrrev_b32_e32 v14, 4, v14
	v_add_u32_e32 v13, 0x1000000, v10
	v_sub_u32_e32 v11, v14, v11
	v_ashrrev_i32_e32 v13, 8, v13
	v_add_u32_e32 v11, 0x3c000000, v11
	v_and_or_b32 v11, v13, s2, v11
	v_cmp_ne_u32_e32 vcc, 0, v10
	v_cndmask_b32_e32 v10, 0, v11, vcc
	v_and_or_b32 v5, v5, s3, v10
	v_bfe_u32 v10, v10, 16, 1
	v_add3_u32 v10, v5, v10, s6
	v_lshrrev_b32_e32 v10, 16, v10
	v_cmp_o_f32_e32 vcc, v5, v5
	v_cndmask_b32_e32 v5, v7, v10, vcc
.LBB48_2604:
	s_mov_b64 s[2:3], 0
.LBB48_2605:
	s_andn2_b64 vcc, exec, s[2:3]
	s_cbranch_vccnz .LBB48_2607
; %bb.2606:
	global_load_ubyte v5, v[8:9], off
	s_movk_i32 s2, 0x7f00
	s_brev_b32 s3, 16
	s_brev_b32 s6, 1
	s_movk_i32 s7, 0x7fff
	v_mov_b32_e32 v7, 0x7fc0
	s_waitcnt vmcnt(0)
	v_lshlrev_b16_e32 v10, 8, v5
	v_lshlrev_b32_e32 v5, 25, v5
	v_lshrrev_b32_e32 v11, 4, v5
	v_and_or_b32 v13, v10, s2, 0.5
	v_or_b32_e32 v11, 0x70000000, v11
	v_add_f32_e32 v13, -0.5, v13
	v_mul_f32_e32 v11, 0x7800000, v11
	v_cmp_gt_u32_e32 vcc, s3, v5
	v_bfe_i32 v10, v10, 0, 16
	v_cndmask_b32_e32 v5, v11, v13, vcc
	v_and_or_b32 v10, v10, s6, v5
	v_bfe_u32 v5, v5, 16, 1
	v_add3_u32 v5, v10, v5, s7
	v_lshrrev_b32_e32 v5, 16, v5
	v_cmp_o_f32_e32 vcc, v10, v10
	v_cndmask_b32_e32 v5, v7, v5, vcc
.LBB48_2607:
	s_mov_b64 s[2:3], 0
	s_mov_b64 s[6:7], -1
.LBB48_2608:
	s_andn2_b64 vcc, exec, s[2:3]
	s_mov_b64 s[2:3], 0
	s_cbranch_vccnz .LBB48_2619
; %bb.2609:
	v_cmp_gt_i16_e64 s[2:3], s26, 14
	s_and_b64 vcc, exec, s[2:3]
	s_cbranch_vccz .LBB48_2612
; %bb.2610:
	v_cmp_eq_u16_e64 s[0:1], s26, 15
	s_and_b64 vcc, exec, s[0:1]
	s_cbranch_vccz .LBB48_2615
; %bb.2611:
	global_load_ushort v5, v[8:9], off
	s_mov_b64 s[0:1], 0
	s_mov_b64 s[6:7], -1
	s_branch .LBB48_2616
.LBB48_2612:
	s_mov_b64 s[10:11], -1
                                        ; implicit-def: $vgpr5
	s_branch .LBB48_2617
.LBB48_2613:
	s_or_saveexec_b64 s[6:7], s[6:7]
	v_mov_b32_e32 v7, s16
	s_xor_b64 exec, exec, s[6:7]
	s_cbranch_execz .LBB48_2594
.LBB48_2614:
	v_cmp_ne_u16_e32 vcc, 0, v5
	s_andn2_b64 s[2:3], s[2:3], exec
	s_and_b64 s[10:11], vcc, exec
	v_mov_b32_e32 v7, 0
	s_or_b64 s[2:3], s[2:3], s[10:11]
	s_or_b64 exec, exec, s[6:7]
	s_and_saveexec_b64 s[6:7], s[2:3]
	s_cbranch_execnz .LBB48_2595
	s_branch .LBB48_2596
.LBB48_2615:
	s_mov_b64 s[0:1], -1
                                        ; implicit-def: $vgpr5
.LBB48_2616:
	s_mov_b64 s[10:11], 0
.LBB48_2617:
	s_mov_b64 s[2:3], 0
	s_and_b64 vcc, exec, s[10:11]
	s_cbranch_vccz .LBB48_2619
; %bb.2618:
	v_cmp_ne_u16_e64 s[0:1], s26, 11
	s_mov_b64 s[2:3], -1
                                        ; implicit-def: $vgpr5
.LBB48_2619:
	s_and_b64 vcc, exec, s[0:1]
	s_cbranch_vccnz .LBB48_2731
; %bb.2620:
	s_andn2_b64 vcc, exec, s[2:3]
	s_cbranch_vccnz .LBB48_2622
.LBB48_2621:
	global_load_ubyte v5, v[8:9], off
	s_mov_b64 s[6:7], -1
	s_waitcnt vmcnt(0)
	v_cmp_ne_u16_e32 vcc, 0, v5
	v_cndmask_b32_e64 v5, 0, 1.0, vcc
	v_lshrrev_b32_e32 v5, 16, v5
.LBB48_2622:
	s_mov_b64 s[0:1], 0
.LBB48_2623:
	s_and_b64 vcc, exec, s[0:1]
	s_cbranch_vccz .LBB48_2672
; %bb.2624:
	v_cmp_lt_i16_e64 s[0:1], s26, 5
	s_and_b64 vcc, exec, s[0:1]
	s_cbranch_vccnz .LBB48_2629
; %bb.2625:
	v_cmp_lt_i16_e64 s[0:1], s26, 8
	s_and_b64 vcc, exec, s[0:1]
	s_cbranch_vccnz .LBB48_2630
	;; [unrolled: 4-line block ×3, first 2 shown]
; %bb.2627:
	v_cmp_gt_i16_e64 s[0:1], s26, 9
	s_and_b64 vcc, exec, s[0:1]
	s_cbranch_vccz .LBB48_2632
; %bb.2628:
	global_load_dwordx2 v[10:11], v[8:9], off
	s_movk_i32 s0, 0x7fff
	s_waitcnt vmcnt(1)
	v_mov_b32_e32 v5, 0x7fc0
	s_waitcnt vmcnt(0)
	v_cvt_f32_f64_e32 v7, v[10:11]
	v_bfe_u32 v10, v7, 16, 1
	v_add3_u32 v10, v7, v10, s0
	v_lshrrev_b32_e32 v10, 16, v10
	v_cmp_o_f32_e32 vcc, v7, v7
	v_cndmask_b32_e32 v5, v5, v10, vcc
	s_mov_b64 s[0:1], 0
	s_branch .LBB48_2633
.LBB48_2629:
	s_mov_b64 s[0:1], -1
                                        ; implicit-def: $vgpr5
	s_branch .LBB48_2651
.LBB48_2630:
	s_mov_b64 s[0:1], -1
                                        ; implicit-def: $vgpr5
	s_branch .LBB48_2639
.LBB48_2631:
	s_mov_b64 s[0:1], -1
                                        ; implicit-def: $vgpr5
	s_branch .LBB48_2636
.LBB48_2632:
	s_mov_b64 s[0:1], -1
                                        ; implicit-def: $vgpr5
.LBB48_2633:
	s_andn2_b64 vcc, exec, s[0:1]
	s_cbranch_vccnz .LBB48_2635
; %bb.2634:
	global_load_dword v5, v[8:9], off
	s_movk_i32 s0, 0x7fff
	v_mov_b32_e32 v7, 0x7fc0
	s_waitcnt vmcnt(0)
	v_bfe_u32 v10, v5, 16, 1
	v_add3_u32 v10, v5, v10, s0
	v_lshrrev_b32_e32 v10, 16, v10
	v_cmp_o_f32_e32 vcc, v5, v5
	v_cndmask_b32_e32 v5, v7, v10, vcc
.LBB48_2635:
	s_mov_b64 s[0:1], 0
.LBB48_2636:
	s_andn2_b64 vcc, exec, s[0:1]
	s_cbranch_vccnz .LBB48_2638
; %bb.2637:
	global_load_dword v5, v[8:9], off
	s_movk_i32 s0, 0x7fff
	v_mov_b32_e32 v10, 0x7fc0
	s_waitcnt vmcnt(0)
	v_cvt_f32_f16_e32 v7, v5
	v_cmp_o_f16_e32 vcc, v5, v5
	v_bfe_u32 v11, v7, 16, 1
	v_add3_u32 v7, v7, v11, s0
	v_lshrrev_b32_e32 v7, 16, v7
	v_cndmask_b32_e32 v5, v10, v7, vcc
.LBB48_2638:
	s_mov_b64 s[0:1], 0
.LBB48_2639:
	s_andn2_b64 vcc, exec, s[0:1]
	s_cbranch_vccnz .LBB48_2650
; %bb.2640:
	v_cmp_lt_i16_e64 s[0:1], s26, 6
	s_and_b64 vcc, exec, s[0:1]
	s_cbranch_vccnz .LBB48_2643
; %bb.2641:
	v_cmp_gt_i16_e64 s[0:1], s26, 6
	s_and_b64 vcc, exec, s[0:1]
	s_cbranch_vccz .LBB48_2644
; %bb.2642:
	global_load_dwordx2 v[10:11], v[8:9], off
	s_movk_i32 s0, 0x7fff
	s_waitcnt vmcnt(1)
	v_mov_b32_e32 v5, 0x7fc0
	s_waitcnt vmcnt(0)
	v_cvt_f32_f64_e32 v7, v[10:11]
	v_bfe_u32 v10, v7, 16, 1
	v_add3_u32 v10, v7, v10, s0
	v_lshrrev_b32_e32 v10, 16, v10
	v_cmp_o_f32_e32 vcc, v7, v7
	v_cndmask_b32_e32 v5, v5, v10, vcc
	s_mov_b64 s[0:1], 0
	s_branch .LBB48_2645
.LBB48_2643:
	s_mov_b64 s[0:1], -1
                                        ; implicit-def: $vgpr5
	s_branch .LBB48_2648
.LBB48_2644:
	s_mov_b64 s[0:1], -1
                                        ; implicit-def: $vgpr5
.LBB48_2645:
	s_andn2_b64 vcc, exec, s[0:1]
	s_cbranch_vccnz .LBB48_2647
; %bb.2646:
	global_load_dword v5, v[8:9], off
	s_movk_i32 s0, 0x7fff
	v_mov_b32_e32 v7, 0x7fc0
	s_waitcnt vmcnt(0)
	v_bfe_u32 v10, v5, 16, 1
	v_add3_u32 v10, v5, v10, s0
	v_lshrrev_b32_e32 v10, 16, v10
	v_cmp_o_f32_e32 vcc, v5, v5
	v_cndmask_b32_e32 v5, v7, v10, vcc
.LBB48_2647:
	s_mov_b64 s[0:1], 0
.LBB48_2648:
	s_andn2_b64 vcc, exec, s[0:1]
	s_cbranch_vccnz .LBB48_2650
; %bb.2649:
	global_load_ushort v5, v[8:9], off
	s_movk_i32 s0, 0x7fff
	v_mov_b32_e32 v10, 0x7fc0
	s_waitcnt vmcnt(0)
	v_cvt_f32_f16_e32 v7, v5
	v_cmp_o_f16_e32 vcc, v5, v5
	v_bfe_u32 v11, v7, 16, 1
	v_add3_u32 v7, v7, v11, s0
	v_lshrrev_b32_e32 v7, 16, v7
	v_cndmask_b32_e32 v5, v10, v7, vcc
.LBB48_2650:
	s_mov_b64 s[0:1], 0
.LBB48_2651:
	s_andn2_b64 vcc, exec, s[0:1]
	s_cbranch_vccnz .LBB48_2671
; %bb.2652:
	v_cmp_lt_i16_e64 s[0:1], s26, 2
	s_and_b64 vcc, exec, s[0:1]
	s_cbranch_vccnz .LBB48_2656
; %bb.2653:
	v_cmp_lt_i16_e64 s[0:1], s26, 3
	s_and_b64 vcc, exec, s[0:1]
	s_cbranch_vccnz .LBB48_2657
; %bb.2654:
	v_cmp_gt_i16_e64 s[0:1], s26, 3
	s_and_b64 vcc, exec, s[0:1]
	s_cbranch_vccz .LBB48_2658
; %bb.2655:
	global_load_dwordx2 v[10:11], v[8:9], off
	s_movk_i32 s0, 0x7fff
	s_waitcnt vmcnt(0)
	v_xor_b32_e32 v7, v10, v11
	v_ffbh_i32_e32 v5, v11
	v_ashrrev_i32_e32 v7, 31, v7
	v_add_u32_e32 v5, -1, v5
	v_add_u32_e32 v7, 32, v7
	v_min_u32_e32 v5, v5, v7
	v_lshlrev_b64 v[10:11], v5, v[10:11]
	v_min_u32_e32 v7, 1, v10
	v_or_b32_e32 v7, v11, v7
	v_cvt_f32_i32_e32 v7, v7
	v_sub_u32_e32 v5, 32, v5
	v_ldexp_f32 v5, v7, v5
	v_bfe_u32 v7, v5, 16, 1
	v_add3_u32 v5, v5, v7, s0
	v_lshrrev_b32_e32 v5, 16, v5
	s_mov_b64 s[0:1], 0
	s_branch .LBB48_2659
.LBB48_2656:
	s_mov_b64 s[0:1], -1
                                        ; implicit-def: $vgpr5
	s_branch .LBB48_2665
.LBB48_2657:
	s_mov_b64 s[0:1], -1
                                        ; implicit-def: $vgpr5
	s_branch .LBB48_2662
.LBB48_2658:
	s_mov_b64 s[0:1], -1
                                        ; implicit-def: $vgpr5
.LBB48_2659:
	s_andn2_b64 vcc, exec, s[0:1]
	s_cbranch_vccnz .LBB48_2661
; %bb.2660:
	global_load_dword v5, v[8:9], off
	s_movk_i32 s0, 0x7fff
	s_waitcnt vmcnt(0)
	v_cvt_f32_i32_e32 v5, v5
	v_bfe_u32 v7, v5, 16, 1
	v_add3_u32 v5, v5, v7, s0
	v_lshrrev_b32_e32 v5, 16, v5
.LBB48_2661:
	s_mov_b64 s[0:1], 0
.LBB48_2662:
	s_andn2_b64 vcc, exec, s[0:1]
	s_cbranch_vccnz .LBB48_2664
; %bb.2663:
	global_load_sshort v5, v[8:9], off
	s_movk_i32 s0, 0x7fff
	s_waitcnt vmcnt(0)
	v_cvt_f32_i32_e32 v5, v5
	v_bfe_u32 v7, v5, 16, 1
	v_add3_u32 v5, v5, v7, s0
	v_lshrrev_b32_e32 v5, 16, v5
.LBB48_2664:
	s_mov_b64 s[0:1], 0
.LBB48_2665:
	s_andn2_b64 vcc, exec, s[0:1]
	s_cbranch_vccnz .LBB48_2671
; %bb.2666:
	v_cmp_gt_i16_e64 s[0:1], s26, 0
	s_and_b64 vcc, exec, s[0:1]
	s_cbranch_vccz .LBB48_2668
; %bb.2667:
	global_load_sbyte v5, v[8:9], off
	s_movk_i32 s0, 0x7fff
	s_waitcnt vmcnt(0)
	v_cvt_f32_i32_e32 v5, v5
	v_bfe_u32 v7, v5, 16, 1
	v_add3_u32 v5, v5, v7, s0
	v_lshrrev_b32_e32 v5, 16, v5
	s_mov_b64 s[0:1], 0
	s_branch .LBB48_2669
.LBB48_2668:
	s_mov_b64 s[0:1], -1
                                        ; implicit-def: $vgpr5
.LBB48_2669:
	s_andn2_b64 vcc, exec, s[0:1]
	s_cbranch_vccnz .LBB48_2671
; %bb.2670:
	global_load_ubyte v5, v[8:9], off
	s_movk_i32 s0, 0x7fff
	s_waitcnt vmcnt(0)
	v_cvt_f32_ubyte0_e32 v5, v5
	v_bfe_u32 v7, v5, 16, 1
	v_add3_u32 v5, v5, v7, s0
	v_lshrrev_b32_e32 v5, 16, v5
.LBB48_2671:
	s_mov_b64 s[6:7], -1
.LBB48_2672:
	s_andn2_b64 vcc, exec, s[6:7]
	s_cbranch_vccnz .LBB48_2682
; %bb.2673:
	s_waitcnt vmcnt(0)
	v_lshlrev_b32_e32 v7, 16, v12
	v_cmp_nlt_f32_e32 vcc, 0, v7
	s_and_saveexec_b64 s[0:1], vcc
; %bb.2674:
	v_lshlrev_b32_e32 v5, 16, v5
	v_mul_f32_e32 v5, v7, v5
	v_bfe_u32 v7, v5, 16, 1
	s_movk_i32 s2, 0x7fff
	v_add3_u32 v7, v5, v7, s2
	v_lshrrev_b32_e32 v7, 16, v7
	v_mov_b32_e32 v8, 0x7fc0
	v_cmp_o_f32_e32 vcc, v5, v5
	v_cndmask_b32_e32 v12, v8, v7, vcc
; %bb.2675:
	s_or_b64 exec, exec, s[0:1]
	v_mov_b32_e32 v5, s9
	v_add_co_u32_e32 v6, vcc, s8, v6
	s_lshr_b32 s18, s24, 8
	v_addc_co_u32_e32 v7, vcc, 0, v5, vcc
	v_mov_b32_e32 v5, 11
	v_cmp_lt_i16_sdwa s[0:1], s18, v5 src0_sel:BYTE_0 src1_sel:DWORD
	s_and_b64 vcc, exec, s[0:1]
	s_cbranch_vccnz .LBB48_2728
; %bb.2676:
	v_mov_b32_e32 v5, 25
	v_cmp_gt_i16_sdwa s[0:1], s18, v5 src0_sel:BYTE_0 src1_sel:DWORD
	s_mov_b64 s[10:11], -1
	s_mov_b64 s[2:3], 0
	s_and_b64 vcc, exec, s[0:1]
	s_mov_b64 s[6:7], 0
	s_mov_b64 s[0:1], 0
	s_cbranch_vccz .LBB48_2760
; %bb.2677:
	v_mov_b32_e32 v5, 28
	v_cmp_gt_i16_sdwa s[0:1], s18, v5 src0_sel:BYTE_0 src1_sel:DWORD
	s_and_b64 vcc, exec, s[0:1]
	s_cbranch_vccz .LBB48_2729
; %bb.2678:
	v_mov_b32_e32 v5, 43
	v_cmp_gt_i16_sdwa s[0:1], s18, v5 src0_sel:BYTE_0 src1_sel:DWORD
	s_and_b64 vcc, exec, s[0:1]
	;; [unrolled: 5-line block ×3, first 2 shown]
	s_cbranch_vccz .LBB48_2732
; %bb.2680:
	v_mov_b32_e32 v5, 46
	v_cmp_eq_u16_sdwa s[6:7], s18, v5 src0_sel:BYTE_0 src1_sel:DWORD
	s_mov_b64 s[0:1], -1
	s_mov_b64 s[10:11], 0
	s_and_b64 vcc, exec, s[6:7]
	s_mov_b64 s[6:7], 0
	s_cbranch_vccz .LBB48_2733
; %bb.2681:
	v_and_b32_e32 v5, 0xffff, v1
	global_store_dword v[6:7], v5, off
	s_mov_b64 s[0:1], 0
	s_mov_b64 s[6:7], -1
	s_branch .LBB48_2733
.LBB48_2682:
	s_mov_b64 s[0:1], 0
                                        ; implicit-def: $vgpr0_vgpr1
                                        ; implicit-def: $vgpr2
                                        ; implicit-def: $vgpr12
.LBB48_2683:
	s_mov_b64 s[2:3], 0
.LBB48_2684:
	s_and_b64 s[6:7], s[2:3], exec
	s_andn2_b64 s[2:3], s[12:13], exec
	s_and_b64 s[4:5], s[4:5], exec
	s_and_b64 s[0:1], s[0:1], exec
	s_or_b64 s[12:13], s[2:3], s[4:5]
.LBB48_2685:
	s_or_b64 exec, exec, s[14:15]
	s_and_saveexec_b64 s[2:3], s[12:13]
	s_cbranch_execz .LBB48_2688
; %bb.2686:
	; divergent unreachable
	s_or_b64 exec, exec, s[2:3]
	s_and_saveexec_b64 s[2:3], s[6:7]
	s_xor_b64 s[2:3], exec, s[2:3]
	s_cbranch_execnz .LBB48_2689
.LBB48_2687:
	s_or_b64 exec, exec, s[2:3]
	s_and_saveexec_b64 s[2:3], s[0:1]
	s_cbranch_execnz .LBB48_2690
	s_branch .LBB48_2727
.LBB48_2688:
	s_or_b64 exec, exec, s[2:3]
	s_and_saveexec_b64 s[2:3], s[6:7]
	s_xor_b64 s[2:3], exec, s[2:3]
	s_cbranch_execz .LBB48_2687
.LBB48_2689:
	s_waitcnt vmcnt(0)
	v_and_b32_e32 v3, 0x7fff, v12
	v_cmp_ne_u16_e32 vcc, 0, v3
	v_cndmask_b32_e64 v3, 0, 1, vcc
	global_store_byte v[0:1], v3, off
	s_or_b64 exec, exec, s[2:3]
	s_and_saveexec_b64 s[2:3], s[0:1]
	s_cbranch_execz .LBB48_2727
.LBB48_2690:
	v_cmp_gt_i16_e32 vcc, 5, v2
	s_mov_b64 s[0:1], -1
	s_cbranch_vccnz .LBB48_2711
; %bb.2691:
	v_cmp_gt_i16_e32 vcc, 8, v2
	s_cbranch_vccnz .LBB48_2701
; %bb.2692:
	v_cmp_gt_i16_e32 vcc, 9, v2
	s_cbranch_vccnz .LBB48_2698
; %bb.2693:
	v_cmp_lt_i16_e32 vcc, 9, v2
	s_cbranch_vccz .LBB48_2695
; %bb.2694:
	s_waitcnt vmcnt(0)
	v_lshlrev_b32_e32 v3, 16, v12
	v_mov_b32_e32 v6, 0
	v_cvt_f64_f32_e32 v[4:5], v3
	v_mov_b32_e32 v7, v6
	global_store_dwordx4 v[0:1], v[4:7], off
	s_mov_b64 s[0:1], 0
.LBB48_2695:
	s_andn2_b64 vcc, exec, s[0:1]
	s_cbranch_vccnz .LBB48_2697
; %bb.2696:
	s_waitcnt vmcnt(0)
	v_lshlrev_b32_e32 v4, 16, v12
	v_mov_b32_e32 v5, 0
	global_store_dwordx2 v[0:1], v[4:5], off
.LBB48_2697:
	s_mov_b64 s[0:1], 0
.LBB48_2698:
	s_andn2_b64 vcc, exec, s[0:1]
	s_cbranch_vccnz .LBB48_2700
; %bb.2699:
	s_waitcnt vmcnt(0)
	v_lshlrev_b32_e32 v3, 16, v12
	v_cvt_f16_f32_e32 v3, v3
	global_store_dword v[0:1], v3, off
.LBB48_2700:
	s_mov_b64 s[0:1], 0
.LBB48_2701:
	s_andn2_b64 vcc, exec, s[0:1]
	s_cbranch_vccnz .LBB48_2710
; %bb.2702:
	v_cmp_gt_i16_e32 vcc, 6, v2
	s_mov_b64 s[0:1], -1
	s_cbranch_vccnz .LBB48_2708
; %bb.2703:
	v_cmp_lt_i16_e32 vcc, 6, v2
	s_cbranch_vccz .LBB48_2705
; %bb.2704:
	s_waitcnt vmcnt(0)
	v_lshlrev_b32_e32 v3, 16, v12
	v_cvt_f64_f32_e32 v[4:5], v3
	global_store_dwordx2 v[0:1], v[4:5], off
	s_mov_b64 s[0:1], 0
.LBB48_2705:
	s_andn2_b64 vcc, exec, s[0:1]
	s_cbranch_vccnz .LBB48_2707
; %bb.2706:
	s_waitcnt vmcnt(0)
	v_lshlrev_b32_e32 v3, 16, v12
	global_store_dword v[0:1], v3, off
.LBB48_2707:
	s_mov_b64 s[0:1], 0
.LBB48_2708:
	s_andn2_b64 vcc, exec, s[0:1]
	s_cbranch_vccnz .LBB48_2710
; %bb.2709:
	s_waitcnt vmcnt(0)
	v_lshlrev_b32_e32 v3, 16, v12
	v_cvt_f16_f32_e32 v3, v3
	global_store_short v[0:1], v3, off
.LBB48_2710:
	s_mov_b64 s[0:1], 0
.LBB48_2711:
	s_andn2_b64 vcc, exec, s[0:1]
	s_cbranch_vccnz .LBB48_2727
; %bb.2712:
	v_cmp_gt_i16_e32 vcc, 2, v2
	s_mov_b64 s[0:1], -1
	s_cbranch_vccnz .LBB48_2722
; %bb.2713:
	v_cmp_gt_i16_e32 vcc, 3, v2
	s_cbranch_vccnz .LBB48_2719
; %bb.2714:
	v_cmp_lt_i16_e32 vcc, 3, v2
	s_cbranch_vccz .LBB48_2716
; %bb.2715:
	s_waitcnt vmcnt(0)
	v_lshlrev_b32_e32 v3, 16, v12
	v_trunc_f32_e32 v3, v3
	s_mov_b32 s0, 0x2f800000
	v_mul_f32_e64 v4, |v3|, s0
	v_floor_f32_e32 v4, v4
	s_mov_b32 s0, 0xcf800000
	v_cvt_u32_f32_e32 v5, v4
	v_fma_f32 v4, v4, s0, |v3|
	v_cvt_u32_f32_e32 v4, v4
	v_ashrrev_i32_e32 v3, 31, v3
	v_xor_b32_e32 v5, v5, v3
	s_mov_b64 s[0:1], 0
	v_xor_b32_e32 v4, v4, v3
	v_sub_co_u32_e32 v4, vcc, v4, v3
	v_subb_co_u32_e32 v5, vcc, v5, v3, vcc
	global_store_dwordx2 v[0:1], v[4:5], off
.LBB48_2716:
	s_andn2_b64 vcc, exec, s[0:1]
	s_cbranch_vccnz .LBB48_2718
; %bb.2717:
	s_waitcnt vmcnt(0)
	v_lshlrev_b32_e32 v3, 16, v12
	v_cvt_i32_f32_e32 v3, v3
	global_store_dword v[0:1], v3, off
.LBB48_2718:
	s_mov_b64 s[0:1], 0
.LBB48_2719:
	s_andn2_b64 vcc, exec, s[0:1]
	s_cbranch_vccnz .LBB48_2721
; %bb.2720:
	s_waitcnt vmcnt(0)
	v_lshlrev_b32_e32 v3, 16, v12
	v_cvt_i32_f32_e32 v3, v3
	global_store_short v[0:1], v3, off
.LBB48_2721:
	s_mov_b64 s[0:1], 0
.LBB48_2722:
	s_andn2_b64 vcc, exec, s[0:1]
	s_cbranch_vccnz .LBB48_2727
; %bb.2723:
	v_cmp_lt_i16_e32 vcc, 0, v2
	s_mov_b64 s[0:1], -1
	s_cbranch_vccz .LBB48_2725
; %bb.2724:
	s_waitcnt vmcnt(0)
	v_lshlrev_b32_e32 v2, 16, v12
	v_cvt_i32_f32_e32 v2, v2
	s_mov_b64 s[0:1], 0
	global_store_byte v[0:1], v2, off
.LBB48_2725:
	s_andn2_b64 vcc, exec, s[0:1]
	s_cbranch_vccnz .LBB48_2727
; %bb.2726:
	s_waitcnt vmcnt(0)
	v_lshlrev_b32_e32 v2, 16, v12
	v_trunc_f32_e32 v2, v2
	s_mov_b32 s0, 0x2f800000
	v_mul_f32_e64 v3, |v2|, s0
	v_floor_f32_e32 v3, v3
	s_mov_b32 s0, 0xcf800000
	v_fma_f32 v3, v3, s0, |v2|
	v_cvt_u32_f32_e32 v3, v3
	v_ashrrev_i32_e32 v2, 31, v2
	v_xor_b32_e32 v3, v3, v2
	v_sub_u32_e32 v2, v3, v2
	global_store_byte v[0:1], v2, off
	s_endpgm
.LBB48_2727:
	s_endpgm
.LBB48_2728:
	s_mov_b64 s[0:1], -1
	s_mov_b64 s[6:7], 0
	s_branch .LBB48_2804
.LBB48_2729:
	s_mov_b64 s[0:1], 0
	s_branch .LBB48_2743
.LBB48_2730:
	s_mov_b64 s[0:1], 0
	s_branch .LBB48_2739
.LBB48_2731:
	s_trap 2
	s_or_b64 s[4:5], s[4:5], exec
                                        ; implicit-def: $vgpr5
	s_cbranch_execz .LBB48_2621
	s_branch .LBB48_2622
.LBB48_2732:
	s_mov_b64 s[0:1], 0
.LBB48_2733:
	s_and_b64 vcc, exec, s[10:11]
	s_cbranch_vccz .LBB48_2738
; %bb.2734:
	v_mov_b32_e32 v5, 44
	v_cmp_eq_u16_sdwa s[10:11], s18, v5 src0_sel:BYTE_0 src1_sel:DWORD
	s_mov_b64 s[0:1], -1
	s_and_b64 vcc, exec, s[10:11]
	s_cbranch_vccz .LBB48_2738
; %bb.2735:
	v_and_b32_e32 v8, 0xffff, v1
	v_bfe_u32 v5, v8, 7, 8
	s_movk_i32 s0, 0xff
	v_cmp_ne_u32_e32 vcc, s0, v5
	v_mov_b32_e32 v9, 0xff
	s_and_saveexec_b64 s[6:7], vcc
; %bb.2736:
	v_lshlrev_b32_e32 v10, 16, v8
	s_mov_b32 s0, 0x3f0000
	v_lshrrev_b32_e32 v9, 7, v8
	v_and_b32_e32 v8, 64, v8
	v_and_or_b32 v5, v10, s0, v5
	v_cmp_ne_u32_e32 vcc, 0, v8
	v_cmp_ne_u32_e64 s[0:1], 0, v5
	s_and_b64 s[0:1], vcc, s[0:1]
	v_cndmask_b32_e64 v5, 0, 1, s[0:1]
	v_add_u32_e32 v9, v9, v5
; %bb.2737:
	s_or_b64 exec, exec, s[6:7]
	s_mov_b64 s[0:1], 0
	s_mov_b64 s[6:7], -1
	global_store_byte v[6:7], v9, off
.LBB48_2738:
	s_mov_b64 s[10:11], 0
.LBB48_2739:
	s_and_b64 vcc, exec, s[10:11]
	s_cbranch_vccz .LBB48_2742
; %bb.2740:
	v_mov_b32_e32 v5, 29
	v_cmp_eq_u16_sdwa s[10:11], s18, v5 src0_sel:BYTE_0 src1_sel:DWORD
	s_mov_b64 s[0:1], -1
	s_and_b64 vcc, exec, s[10:11]
	s_cbranch_vccz .LBB48_2742
; %bb.2741:
	v_lshlrev_b32_e32 v5, 16, v1
	v_trunc_f32_e32 v5, v5
	v_mul_f32_e32 v8, 0x2f800000, v5
	v_floor_f32_e32 v8, v8
	v_fmac_f32_e32 v5, 0xcf800000, v8
	v_cvt_u32_f32_e32 v9, v8
	v_cvt_u32_f32_e32 v8, v5
	s_mov_b64 s[0:1], 0
	s_mov_b64 s[6:7], -1
	s_mov_b64 s[10:11], 0
	global_store_dwordx2 v[6:7], v[8:9], off
	s_branch .LBB48_2743
.LBB48_2742:
	s_mov_b64 s[10:11], 0
.LBB48_2743:
	s_and_b64 vcc, exec, s[10:11]
	s_cbranch_vccz .LBB48_2759
; %bb.2744:
	v_mov_b32_e32 v5, 27
	v_cmp_lt_i16_sdwa s[10:11], s18, v5 src0_sel:BYTE_0 src1_sel:DWORD
	s_mov_b64 s[6:7], -1
	s_and_b64 vcc, exec, s[10:11]
	s_cbranch_vccnz .LBB48_2750
; %bb.2745:
	v_cmp_gt_i16_sdwa s[10:11], s18, v5 src0_sel:BYTE_0 src1_sel:DWORD
	s_and_b64 vcc, exec, s[10:11]
	s_cbranch_vccz .LBB48_2747
; %bb.2746:
	v_lshlrev_b32_e32 v5, 16, v1
	v_cvt_u32_f32_e32 v5, v5
	s_mov_b64 s[6:7], 0
	global_store_dword v[6:7], v5, off
.LBB48_2747:
	s_andn2_b64 vcc, exec, s[6:7]
	s_cbranch_vccnz .LBB48_2749
; %bb.2748:
	v_lshlrev_b32_e32 v5, 16, v1
	v_cvt_u32_f32_e32 v5, v5
	global_store_short v[6:7], v5, off
.LBB48_2749:
	s_mov_b64 s[6:7], 0
.LBB48_2750:
	s_andn2_b64 vcc, exec, s[6:7]
	s_cbranch_vccnz .LBB48_2758
; %bb.2751:
	v_lshlrev_b32_e32 v9, 16, v1
	v_and_b32_e32 v8, 0x7fffffff, v9
	s_mov_b32 s6, 0x43800000
	v_cmp_gt_u32_e32 vcc, s6, v8
	v_mov_b32_e32 v10, 0x80
	s_and_saveexec_b64 s[6:7], vcc
	s_cbranch_execz .LBB48_2757
; %bb.2752:
	s_mov_b32 s10, 0x3bffffff
	v_and_b32_e32 v5, 0xffff, v1
	v_cmp_lt_u32_e32 vcc, s10, v8
	s_mov_b64 s[10:11], 0
                                        ; implicit-def: $vgpr8
	s_and_saveexec_b64 s[16:17], vcc
	s_xor_b64 s[16:17], exec, s[16:17]
	s_cbranch_execz .LBB48_2853
; %bb.2753:
	v_bfe_u32 v8, v5, 4, 1
	s_mov_b32 s19, 0x487ffff
	v_add3_u32 v8, v9, v8, s19
	s_mov_b64 s[10:11], exec
	v_lshrrev_b32_e32 v8, 20, v8
                                        ; implicit-def: $vgpr9
	s_or_saveexec_b64 s[16:17], s[16:17]
                                        ; implicit-def: $sgpr19
	s_xor_b64 exec, exec, s[16:17]
	s_cbranch_execnz .LBB48_2854
.LBB48_2754:
	s_or_b64 exec, exec, s[16:17]
	v_mov_b32_e32 v10, s19
	s_and_saveexec_b64 s[16:17], s[10:11]
.LBB48_2755:
	v_lshrrev_b32_e32 v5, 8, v5
	s_movk_i32 s10, 0x80
	v_and_or_b32 v10, v5, s10, v8
.LBB48_2756:
	s_or_b64 exec, exec, s[16:17]
.LBB48_2757:
	s_or_b64 exec, exec, s[6:7]
	global_store_byte v[6:7], v10, off
.LBB48_2758:
	s_mov_b64 s[6:7], -1
.LBB48_2759:
	s_mov_b64 s[10:11], 0
.LBB48_2760:
	s_and_b64 vcc, exec, s[10:11]
	s_cbranch_vccz .LBB48_2800
; %bb.2761:
	v_mov_b32_e32 v5, 22
	v_cmp_gt_i16_sdwa s[10:11], s18, v5 src0_sel:BYTE_0 src1_sel:DWORD
	s_mov_b64 s[2:3], -1
	s_and_b64 vcc, exec, s[10:11]
	s_cbranch_vccz .LBB48_2793
; %bb.2762:
	v_mov_b32_e32 v5, 24
	v_cmp_lt_i16_sdwa s[6:7], s18, v5 src0_sel:BYTE_0 src1_sel:DWORD
	s_and_b64 vcc, exec, s[6:7]
	s_cbranch_vccnz .LBB48_2782
; %bb.2763:
	v_cmp_gt_i16_sdwa s[6:7], s18, v5 src0_sel:BYTE_0 src1_sel:DWORD
	s_and_b64 vcc, exec, s[6:7]
	s_cbranch_vccz .LBB48_2771
; %bb.2764:
	v_lshlrev_b32_e32 v9, 16, v1
	v_and_b32_e32 v8, 0x7fffffff, v9
	s_mov_b32 s2, 0x47800000
	v_cmp_gt_u32_e32 vcc, s2, v8
	v_mov_b32_e32 v10, 0x80
	s_and_saveexec_b64 s[2:3], vcc
	s_cbranch_execz .LBB48_2770
; %bb.2765:
	s_mov_b32 s6, 0x37ffffff
	v_and_b32_e32 v5, 0xffff, v1
	v_cmp_lt_u32_e32 vcc, s6, v8
	s_mov_b64 s[6:7], 0
                                        ; implicit-def: $vgpr8
	s_and_saveexec_b64 s[10:11], vcc
	s_xor_b64 s[10:11], exec, s[10:11]
	s_cbranch_execz .LBB48_2857
; %bb.2766:
	v_bfe_u32 v8, v5, 5, 1
	s_mov_b32 s16, 0x88fffff
	v_add3_u32 v8, v9, v8, s16
	s_mov_b64 s[6:7], exec
	v_lshrrev_b32_e32 v8, 21, v8
                                        ; implicit-def: $vgpr9
	s_or_saveexec_b64 s[10:11], s[10:11]
                                        ; implicit-def: $sgpr16
	s_xor_b64 exec, exec, s[10:11]
	s_cbranch_execnz .LBB48_2858
.LBB48_2767:
	s_or_b64 exec, exec, s[10:11]
	v_mov_b32_e32 v10, s16
	s_and_saveexec_b64 s[10:11], s[6:7]
.LBB48_2768:
	v_lshrrev_b32_e32 v5, 8, v5
	s_movk_i32 s6, 0x80
	v_and_or_b32 v10, v5, s6, v8
.LBB48_2769:
	s_or_b64 exec, exec, s[10:11]
.LBB48_2770:
	s_or_b64 exec, exec, s[2:3]
	s_mov_b64 s[2:3], 0
	global_store_byte v[6:7], v10, off
.LBB48_2771:
	s_and_b64 vcc, exec, s[2:3]
	s_cbranch_vccz .LBB48_2781
; %bb.2772:
	v_lshlrev_b32_e32 v9, 16, v1
	v_and_b32_e32 v10, 0x7fffffff, v9
	s_mov_b32 s2, 0x43f00000
	v_and_b32_e32 v5, 0xffff, v1
	v_cmp_gt_u32_e32 vcc, s2, v10
                                        ; implicit-def: $vgpr8
	s_and_saveexec_b64 s[2:3], vcc
	s_xor_b64 s[2:3], exec, s[2:3]
	s_cbranch_execz .LBB48_2778
; %bb.2773:
	s_mov_b32 s6, 0x3c7fffff
	v_cmp_lt_u32_e32 vcc, s6, v10
                                        ; implicit-def: $vgpr8
	s_and_saveexec_b64 s[6:7], vcc
	s_xor_b64 s[6:7], exec, s[6:7]
; %bb.2774:
	v_bfe_u32 v8, v5, 4, 1
	s_mov_b32 s10, 0x407ffff
	v_add3_u32 v8, v9, v8, s10
	v_lshrrev_b32_e32 v9, 20, v8
	v_and_b32_e32 v8, 0xff00000, v8
	s_mov_b32 s10, 0x7f00000
	v_mov_b32_e32 v10, 0x7e
	v_cmp_ne_u32_e32 vcc, s10, v8
	v_cndmask_b32_e32 v8, v10, v9, vcc
                                        ; implicit-def: $vgpr9
; %bb.2775:
	s_andn2_saveexec_b64 s[6:7], s[6:7]
; %bb.2776:
	s_mov_b32 s10, 0x46800000
	v_add_f32_e64 v8, |v9|, s10
; %bb.2777:
	s_or_b64 exec, exec, s[6:7]
                                        ; implicit-def: $vgpr10
.LBB48_2778:
	s_andn2_saveexec_b64 s[2:3], s[2:3]
; %bb.2779:
	s_mov_b32 s6, 0x7f800000
	v_mov_b32_e32 v8, 0x7e
	v_mov_b32_e32 v9, 0x7f
	v_cmp_lt_u32_e32 vcc, s6, v10
	v_cndmask_b32_e32 v8, v8, v9, vcc
; %bb.2780:
	s_or_b64 exec, exec, s[2:3]
	v_lshrrev_b32_e32 v5, 8, v5
	s_movk_i32 s2, 0x80
	v_and_or_b32 v5, v5, s2, v8
	global_store_byte v[6:7], v5, off
.LBB48_2781:
	s_mov_b64 s[2:3], 0
.LBB48_2782:
	s_andn2_b64 vcc, exec, s[2:3]
	s_cbranch_vccnz .LBB48_2792
; %bb.2783:
	v_lshlrev_b32_e32 v9, 16, v1
	v_and_b32_e32 v10, 0x7fffffff, v9
	s_mov_b32 s2, 0x47800000
	v_and_b32_e32 v5, 0xffff, v1
	v_cmp_gt_u32_e32 vcc, s2, v10
                                        ; implicit-def: $vgpr8
	s_and_saveexec_b64 s[2:3], vcc
	s_xor_b64 s[2:3], exec, s[2:3]
	s_cbranch_execz .LBB48_2789
; %bb.2784:
	s_mov_b32 s6, 0x387fffff
	v_cmp_lt_u32_e32 vcc, s6, v10
                                        ; implicit-def: $vgpr8
	s_and_saveexec_b64 s[6:7], vcc
	s_xor_b64 s[6:7], exec, s[6:7]
; %bb.2785:
	v_bfe_u32 v8, v5, 5, 1
	s_mov_b32 s10, 0x80fffff
	v_add3_u32 v8, v9, v8, s10
	v_lshrrev_b32_e32 v8, 21, v8
                                        ; implicit-def: $vgpr9
; %bb.2786:
	s_andn2_saveexec_b64 s[6:7], s[6:7]
; %bb.2787:
	s_mov_b32 s10, 0x43000000
	v_add_f32_e64 v8, |v9|, s10
; %bb.2788:
	s_or_b64 exec, exec, s[6:7]
                                        ; implicit-def: $vgpr10
.LBB48_2789:
	s_andn2_saveexec_b64 s[2:3], s[2:3]
; %bb.2790:
	s_mov_b32 s6, 0x7f800000
	v_mov_b32_e32 v8, 0x7c
	v_mov_b32_e32 v9, 0x7f
	v_cmp_lt_u32_e32 vcc, s6, v10
	v_cndmask_b32_e32 v8, v8, v9, vcc
; %bb.2791:
	s_or_b64 exec, exec, s[2:3]
	v_lshrrev_b32_e32 v5, 8, v5
	s_movk_i32 s2, 0x80
	v_and_or_b32 v5, v5, s2, v8
	global_store_byte v[6:7], v5, off
.LBB48_2792:
	s_mov_b64 s[2:3], 0
	s_mov_b64 s[6:7], -1
.LBB48_2793:
	s_andn2_b64 vcc, exec, s[2:3]
	s_mov_b64 s[2:3], 0
	s_cbranch_vccnz .LBB48_2800
; %bb.2794:
	v_mov_b32_e32 v5, 14
	v_cmp_gt_i16_sdwa s[2:3], s18, v5 src0_sel:BYTE_0 src1_sel:DWORD
	s_mov_b64 s[10:11], -1
	s_and_b64 vcc, exec, s[2:3]
	s_cbranch_vccz .LBB48_2798
; %bb.2795:
	v_mov_b32_e32 v5, 15
	v_cmp_eq_u16_sdwa s[2:3], s18, v5 src0_sel:BYTE_0 src1_sel:DWORD
	s_mov_b64 s[0:1], -1
	s_and_b64 vcc, exec, s[2:3]
	s_cbranch_vccz .LBB48_2797
; %bb.2796:
	global_store_short v[6:7], v1, off
	s_mov_b64 s[0:1], 0
	s_mov_b64 s[6:7], -1
.LBB48_2797:
	s_mov_b64 s[10:11], 0
.LBB48_2798:
	s_mov_b64 s[2:3], 0
	s_and_b64 vcc, exec, s[10:11]
	s_cbranch_vccz .LBB48_2800
; %bb.2799:
	v_mov_b32_e32 v5, 11
	v_cmp_ne_u16_sdwa s[0:1], s18, v5 src0_sel:BYTE_0 src1_sel:DWORD
	s_mov_b64 s[2:3], -1
.LBB48_2800:
	s_and_b64 vcc, exec, s[0:1]
	s_cbranch_vccnz .LBB48_2856
; %bb.2801:
	s_andn2_b64 vcc, exec, s[2:3]
	s_cbranch_vccnz .LBB48_2803
.LBB48_2802:
	v_and_b32_e32 v5, 0x7fff, v1
	v_cmp_ne_u16_e32 vcc, 0, v5
	v_cndmask_b32_e64 v5, 0, 1, vcc
	s_mov_b64 s[6:7], -1
	global_store_byte v[6:7], v5, off
.LBB48_2803:
	s_mov_b64 s[0:1], 0
.LBB48_2804:
	s_and_b64 vcc, exec, s[0:1]
	s_cbranch_vccz .LBB48_2843
; %bb.2805:
	v_mov_b32_e32 v5, 5
	v_cmp_lt_i16_sdwa s[2:3], s18, v5 src0_sel:BYTE_0 src1_sel:DWORD
	s_mov_b64 s[0:1], -1
	s_and_b64 vcc, exec, s[2:3]
	s_cbranch_vccnz .LBB48_2826
; %bb.2806:
	v_mov_b32_e32 v5, 8
	v_cmp_lt_i16_sdwa s[2:3], s18, v5 src0_sel:BYTE_0 src1_sel:DWORD
	s_and_b64 vcc, exec, s[2:3]
	s_cbranch_vccnz .LBB48_2816
; %bb.2807:
	v_mov_b32_e32 v5, 9
	v_cmp_lt_i16_sdwa s[2:3], s18, v5 src0_sel:BYTE_0 src1_sel:DWORD
	s_and_b64 vcc, exec, s[2:3]
	s_cbranch_vccnz .LBB48_2813
; %bb.2808:
	v_cmp_gt_i16_sdwa s[2:3], s18, v5 src0_sel:BYTE_0 src1_sel:DWORD
	s_and_b64 vcc, exec, s[2:3]
	s_cbranch_vccz .LBB48_2810
; %bb.2809:
	v_lshlrev_b32_e32 v5, 16, v1
	v_mov_b32_e32 v10, 0
	v_cvt_f64_f32_e32 v[8:9], v5
	v_mov_b32_e32 v11, v10
	global_store_dwordx4 v[6:7], v[8:11], off
	s_mov_b64 s[0:1], 0
.LBB48_2810:
	s_andn2_b64 vcc, exec, s[0:1]
	s_cbranch_vccnz .LBB48_2812
; %bb.2811:
	v_lshlrev_b32_e32 v8, 16, v1
	v_mov_b32_e32 v9, 0
	global_store_dwordx2 v[6:7], v[8:9], off
.LBB48_2812:
	s_mov_b64 s[0:1], 0
.LBB48_2813:
	s_andn2_b64 vcc, exec, s[0:1]
	s_cbranch_vccnz .LBB48_2815
; %bb.2814:
	v_lshlrev_b32_e32 v5, 16, v1
	v_cvt_f16_f32_e32 v5, v5
	global_store_dword v[6:7], v5, off
.LBB48_2815:
	s_mov_b64 s[0:1], 0
.LBB48_2816:
	s_andn2_b64 vcc, exec, s[0:1]
	s_cbranch_vccnz .LBB48_2825
; %bb.2817:
	v_mov_b32_e32 v5, 6
	v_cmp_lt_i16_sdwa s[2:3], s18, v5 src0_sel:BYTE_0 src1_sel:DWORD
	s_mov_b64 s[0:1], -1
	s_and_b64 vcc, exec, s[2:3]
	s_cbranch_vccnz .LBB48_2823
; %bb.2818:
	v_cmp_gt_i16_sdwa s[2:3], s18, v5 src0_sel:BYTE_0 src1_sel:DWORD
	s_and_b64 vcc, exec, s[2:3]
	s_cbranch_vccz .LBB48_2820
; %bb.2819:
	v_lshlrev_b32_e32 v5, 16, v1
	v_cvt_f64_f32_e32 v[8:9], v5
	global_store_dwordx2 v[6:7], v[8:9], off
	s_mov_b64 s[0:1], 0
.LBB48_2820:
	s_andn2_b64 vcc, exec, s[0:1]
	s_cbranch_vccnz .LBB48_2822
; %bb.2821:
	v_lshlrev_b32_e32 v5, 16, v1
	global_store_dword v[6:7], v5, off
.LBB48_2822:
	s_mov_b64 s[0:1], 0
.LBB48_2823:
	s_andn2_b64 vcc, exec, s[0:1]
	s_cbranch_vccnz .LBB48_2825
; %bb.2824:
	v_lshlrev_b32_e32 v5, 16, v1
	v_cvt_f16_f32_e32 v5, v5
	global_store_short v[6:7], v5, off
.LBB48_2825:
	s_mov_b64 s[0:1], 0
.LBB48_2826:
	s_andn2_b64 vcc, exec, s[0:1]
	s_cbranch_vccnz .LBB48_2842
; %bb.2827:
	v_mov_b32_e32 v5, 2
	v_cmp_lt_i16_sdwa s[2:3], s18, v5 src0_sel:BYTE_0 src1_sel:DWORD
	s_mov_b64 s[0:1], -1
	s_and_b64 vcc, exec, s[2:3]
	s_cbranch_vccnz .LBB48_2837
; %bb.2828:
	v_mov_b32_e32 v5, 3
	v_cmp_lt_i16_sdwa s[2:3], s18, v5 src0_sel:BYTE_0 src1_sel:DWORD
	s_and_b64 vcc, exec, s[2:3]
	s_cbranch_vccnz .LBB48_2834
; %bb.2829:
	v_cmp_gt_i16_sdwa s[2:3], s18, v5 src0_sel:BYTE_0 src1_sel:DWORD
	s_and_b64 vcc, exec, s[2:3]
	s_cbranch_vccz .LBB48_2831
; %bb.2830:
	v_lshlrev_b32_e32 v5, 16, v1
	v_trunc_f32_e32 v5, v5
	s_mov_b32 s0, 0x2f800000
	v_mul_f32_e64 v8, |v5|, s0
	v_floor_f32_e32 v8, v8
	s_mov_b32 s0, 0xcf800000
	v_cvt_u32_f32_e32 v9, v8
	v_fma_f32 v8, v8, s0, |v5|
	v_cvt_u32_f32_e32 v8, v8
	v_ashrrev_i32_e32 v5, 31, v5
	v_xor_b32_e32 v9, v9, v5
	s_mov_b64 s[0:1], 0
	v_xor_b32_e32 v8, v8, v5
	v_sub_co_u32_e32 v8, vcc, v8, v5
	v_subb_co_u32_e32 v9, vcc, v9, v5, vcc
	global_store_dwordx2 v[6:7], v[8:9], off
.LBB48_2831:
	s_andn2_b64 vcc, exec, s[0:1]
	s_cbranch_vccnz .LBB48_2833
; %bb.2832:
	v_lshlrev_b32_e32 v5, 16, v1
	v_cvt_i32_f32_e32 v5, v5
	global_store_dword v[6:7], v5, off
.LBB48_2833:
	s_mov_b64 s[0:1], 0
.LBB48_2834:
	s_andn2_b64 vcc, exec, s[0:1]
	s_cbranch_vccnz .LBB48_2836
; %bb.2835:
	v_lshlrev_b32_e32 v5, 16, v1
	v_cvt_i32_f32_e32 v5, v5
	global_store_short v[6:7], v5, off
.LBB48_2836:
	s_mov_b64 s[0:1], 0
.LBB48_2837:
	s_andn2_b64 vcc, exec, s[0:1]
	s_cbranch_vccnz .LBB48_2842
; %bb.2838:
	v_mov_b32_e32 v5, 0
	v_cmp_gt_i16_sdwa s[2:3], s18, v5 src0_sel:BYTE_0 src1_sel:DWORD
	s_mov_b64 s[0:1], -1
	s_and_b64 vcc, exec, s[2:3]
	v_lshlrev_b32_e32 v1, 16, v1
	s_cbranch_vccz .LBB48_2840
; %bb.2839:
	v_cvt_i32_f32_e32 v5, v1
	s_mov_b64 s[0:1], 0
	global_store_byte v[6:7], v5, off
.LBB48_2840:
	s_andn2_b64 vcc, exec, s[0:1]
	s_cbranch_vccnz .LBB48_2842
; %bb.2841:
	v_trunc_f32_e32 v1, v1
	s_mov_b32 s0, 0x2f800000
	v_mul_f32_e64 v5, |v1|, s0
	v_floor_f32_e32 v5, v5
	s_mov_b32 s0, 0xcf800000
	v_fma_f32 v5, v5, s0, |v1|
	v_cvt_u32_f32_e32 v5, v5
	v_ashrrev_i32_e32 v1, 31, v1
	v_xor_b32_e32 v5, v5, v1
	v_sub_u32_e32 v1, v5, v1
	global_store_byte v[6:7], v1, off
.LBB48_2842:
	s_mov_b64 s[6:7], -1
.LBB48_2843:
	s_andn2_b64 vcc, exec, s[6:7]
	s_cbranch_vccnz .LBB48_3174
; %bb.2844:
	v_mov_b32_e32 v1, s9
	v_add_co_u32_e32 v4, vcc, s8, v4
	v_addc_co_u32_e32 v5, vcc, 0, v1, vcc
	v_mov_b32_e32 v1, 11
	v_cmp_lt_i16_sdwa s[0:1], s18, v1 src0_sel:BYTE_0 src1_sel:DWORD
	s_and_b64 vcc, exec, s[0:1]
	s_cbranch_vccnz .LBB48_2851
; %bb.2845:
	v_mov_b32_e32 v1, 25
	v_cmp_gt_i16_sdwa s[0:1], s18, v1 src0_sel:BYTE_0 src1_sel:DWORD
	s_mov_b64 s[10:11], -1
	s_mov_b64 s[2:3], 0
	s_and_b64 vcc, exec, s[0:1]
	s_mov_b64 s[6:7], 0
	s_mov_b64 s[0:1], 0
	s_cbranch_vccz .LBB48_2887
; %bb.2846:
	v_mov_b32_e32 v1, 28
	v_cmp_gt_i16_sdwa s[0:1], s18, v1 src0_sel:BYTE_0 src1_sel:DWORD
	s_and_b64 vcc, exec, s[0:1]
	s_cbranch_vccz .LBB48_2852
; %bb.2847:
	v_mov_b32_e32 v1, 43
	v_cmp_gt_i16_sdwa s[0:1], s18, v1 src0_sel:BYTE_0 src1_sel:DWORD
	s_and_b64 vcc, exec, s[0:1]
	;; [unrolled: 5-line block ×3, first 2 shown]
	s_cbranch_vccz .LBB48_2859
; %bb.2849:
	v_mov_b32_e32 v1, 46
	v_cmp_eq_u16_sdwa s[6:7], s18, v1 src0_sel:BYTE_0 src1_sel:DWORD
	s_mov_b64 s[0:1], -1
	s_mov_b64 s[10:11], 0
	s_and_b64 vcc, exec, s[6:7]
	s_mov_b64 s[6:7], 0
	s_cbranch_vccz .LBB48_2860
; %bb.2850:
	v_and_b32_e32 v1, 0xffff, v3
	global_store_dword v[4:5], v1, off
	s_mov_b64 s[0:1], 0
	s_mov_b64 s[6:7], -1
	s_branch .LBB48_2860
.LBB48_2851:
	s_mov_b64 s[0:1], -1
	s_mov_b64 s[6:7], 0
	s_branch .LBB48_2931
.LBB48_2852:
	s_mov_b64 s[0:1], 0
	s_branch .LBB48_2870
.LBB48_2853:
	s_or_saveexec_b64 s[16:17], s[16:17]
                                        ; implicit-def: $sgpr19
	s_xor_b64 exec, exec, s[16:17]
	s_cbranch_execz .LBB48_2754
.LBB48_2854:
	s_mov_b32 s19, 0x46000000
	v_add_f32_e64 v8, |v9|, s19
	v_and_b32_e32 v8, 0xff, v8
	v_cmp_ne_u32_e32 vcc, 0, v8
	s_andn2_b64 s[10:11], s[10:11], exec
	s_and_b64 s[20:21], vcc, exec
	s_mov_b32 s19, 0
	s_or_b64 s[10:11], s[10:11], s[20:21]
	s_or_b64 exec, exec, s[16:17]
	v_mov_b32_e32 v10, s19
	s_and_saveexec_b64 s[16:17], s[10:11]
	s_cbranch_execnz .LBB48_2755
	s_branch .LBB48_2756
.LBB48_2855:
	s_mov_b64 s[0:1], 0
	s_branch .LBB48_2866
.LBB48_2856:
	s_trap 2
	s_or_b64 s[4:5], s[4:5], exec
	s_cbranch_execz .LBB48_2802
	s_branch .LBB48_2803
.LBB48_2857:
	s_or_saveexec_b64 s[10:11], s[10:11]
                                        ; implicit-def: $sgpr16
	s_xor_b64 exec, exec, s[10:11]
	s_cbranch_execz .LBB48_2767
.LBB48_2858:
	s_mov_b32 s16, 0x42800000
	v_add_f32_e64 v8, |v9|, s16
	v_and_b32_e32 v8, 0xff, v8
	v_cmp_ne_u32_e32 vcc, 0, v8
	s_andn2_b64 s[6:7], s[6:7], exec
	s_and_b64 s[20:21], vcc, exec
	s_mov_b32 s16, 0
	s_or_b64 s[6:7], s[6:7], s[20:21]
	s_or_b64 exec, exec, s[10:11]
	v_mov_b32_e32 v10, s16
	s_and_saveexec_b64 s[10:11], s[6:7]
	s_cbranch_execnz .LBB48_2768
	s_branch .LBB48_2769
.LBB48_2859:
	s_mov_b64 s[0:1], 0
.LBB48_2860:
	s_and_b64 vcc, exec, s[10:11]
	s_cbranch_vccz .LBB48_2865
; %bb.2861:
	v_mov_b32_e32 v1, 44
	v_cmp_eq_u16_sdwa s[10:11], s18, v1 src0_sel:BYTE_0 src1_sel:DWORD
	s_mov_b64 s[0:1], -1
	s_and_b64 vcc, exec, s[10:11]
	s_cbranch_vccz .LBB48_2865
; %bb.2862:
	v_and_b32_e32 v6, 0xffff, v3
	v_bfe_u32 v1, v6, 7, 8
	s_movk_i32 s0, 0xff
	v_cmp_ne_u32_e32 vcc, s0, v1
	v_mov_b32_e32 v7, 0xff
	s_and_saveexec_b64 s[6:7], vcc
; %bb.2863:
	v_lshlrev_b32_e32 v8, 16, v6
	s_mov_b32 s0, 0x3f0000
	v_lshrrev_b32_e32 v7, 7, v6
	v_and_b32_e32 v6, 64, v6
	v_and_or_b32 v1, v8, s0, v1
	v_cmp_ne_u32_e32 vcc, 0, v6
	v_cmp_ne_u32_e64 s[0:1], 0, v1
	s_and_b64 s[0:1], vcc, s[0:1]
	v_cndmask_b32_e64 v1, 0, 1, s[0:1]
	v_add_u32_e32 v7, v7, v1
; %bb.2864:
	s_or_b64 exec, exec, s[6:7]
	s_mov_b64 s[0:1], 0
	s_mov_b64 s[6:7], -1
	global_store_byte v[4:5], v7, off
.LBB48_2865:
	s_mov_b64 s[10:11], 0
.LBB48_2866:
	s_and_b64 vcc, exec, s[10:11]
	s_cbranch_vccz .LBB48_2869
; %bb.2867:
	v_mov_b32_e32 v1, 29
	v_cmp_eq_u16_sdwa s[10:11], s18, v1 src0_sel:BYTE_0 src1_sel:DWORD
	s_mov_b64 s[0:1], -1
	s_and_b64 vcc, exec, s[10:11]
	s_cbranch_vccz .LBB48_2869
; %bb.2868:
	v_lshlrev_b32_e32 v1, 16, v3
	v_trunc_f32_e32 v1, v1
	v_mul_f32_e32 v6, 0x2f800000, v1
	v_floor_f32_e32 v6, v6
	v_fmac_f32_e32 v1, 0xcf800000, v6
	v_cvt_u32_f32_e32 v7, v6
	v_cvt_u32_f32_e32 v6, v1
	s_mov_b64 s[0:1], 0
	s_mov_b64 s[6:7], -1
	s_mov_b64 s[10:11], 0
	global_store_dwordx2 v[4:5], v[6:7], off
	s_branch .LBB48_2870
.LBB48_2869:
	s_mov_b64 s[10:11], 0
.LBB48_2870:
	s_and_b64 vcc, exec, s[10:11]
	s_cbranch_vccz .LBB48_2886
; %bb.2871:
	v_mov_b32_e32 v1, 27
	v_cmp_lt_i16_sdwa s[10:11], s18, v1 src0_sel:BYTE_0 src1_sel:DWORD
	s_mov_b64 s[6:7], -1
	s_and_b64 vcc, exec, s[10:11]
	s_cbranch_vccnz .LBB48_2877
; %bb.2872:
	v_cmp_gt_i16_sdwa s[10:11], s18, v1 src0_sel:BYTE_0 src1_sel:DWORD
	s_and_b64 vcc, exec, s[10:11]
	s_cbranch_vccz .LBB48_2874
; %bb.2873:
	v_lshlrev_b32_e32 v1, 16, v3
	v_cvt_u32_f32_e32 v1, v1
	s_mov_b64 s[6:7], 0
	global_store_dword v[4:5], v1, off
.LBB48_2874:
	s_andn2_b64 vcc, exec, s[6:7]
	s_cbranch_vccnz .LBB48_2876
; %bb.2875:
	v_lshlrev_b32_e32 v1, 16, v3
	v_cvt_u32_f32_e32 v1, v1
	global_store_short v[4:5], v1, off
.LBB48_2876:
	s_mov_b64 s[6:7], 0
.LBB48_2877:
	s_andn2_b64 vcc, exec, s[6:7]
	s_cbranch_vccnz .LBB48_2885
; %bb.2878:
	v_lshlrev_b32_e32 v7, 16, v3
	v_and_b32_e32 v6, 0x7fffffff, v7
	s_mov_b32 s6, 0x43800000
	v_cmp_gt_u32_e32 vcc, s6, v6
	v_mov_b32_e32 v8, 0x80
	s_and_saveexec_b64 s[6:7], vcc
	s_cbranch_execz .LBB48_2884
; %bb.2879:
	s_mov_b32 s10, 0x3bffffff
	v_and_b32_e32 v1, 0xffff, v3
	v_cmp_lt_u32_e32 vcc, s10, v6
	s_mov_b64 s[10:11], 0
                                        ; implicit-def: $vgpr6
	s_and_saveexec_b64 s[16:17], vcc
	s_xor_b64 s[16:17], exec, s[16:17]
	s_cbranch_execz .LBB48_2980
; %bb.2880:
	v_bfe_u32 v6, v1, 4, 1
	s_mov_b32 s19, 0x487ffff
	v_add3_u32 v6, v7, v6, s19
	s_mov_b64 s[10:11], exec
	v_lshrrev_b32_e32 v6, 20, v6
                                        ; implicit-def: $vgpr7
	s_or_saveexec_b64 s[16:17], s[16:17]
                                        ; implicit-def: $sgpr19
	s_xor_b64 exec, exec, s[16:17]
	s_cbranch_execnz .LBB48_2981
.LBB48_2881:
	s_or_b64 exec, exec, s[16:17]
	v_mov_b32_e32 v8, s19
	s_and_saveexec_b64 s[16:17], s[10:11]
.LBB48_2882:
	v_lshrrev_b32_e32 v1, 8, v1
	s_movk_i32 s10, 0x80
	v_and_or_b32 v8, v1, s10, v6
.LBB48_2883:
	s_or_b64 exec, exec, s[16:17]
.LBB48_2884:
	s_or_b64 exec, exec, s[6:7]
	global_store_byte v[4:5], v8, off
.LBB48_2885:
	s_mov_b64 s[6:7], -1
.LBB48_2886:
	s_mov_b64 s[10:11], 0
.LBB48_2887:
	s_and_b64 vcc, exec, s[10:11]
	s_cbranch_vccz .LBB48_2927
; %bb.2888:
	v_mov_b32_e32 v1, 22
	v_cmp_gt_i16_sdwa s[10:11], s18, v1 src0_sel:BYTE_0 src1_sel:DWORD
	s_mov_b64 s[2:3], -1
	s_and_b64 vcc, exec, s[10:11]
	s_cbranch_vccz .LBB48_2920
; %bb.2889:
	v_mov_b32_e32 v1, 24
	v_cmp_lt_i16_sdwa s[6:7], s18, v1 src0_sel:BYTE_0 src1_sel:DWORD
	s_and_b64 vcc, exec, s[6:7]
	s_cbranch_vccnz .LBB48_2909
; %bb.2890:
	v_cmp_gt_i16_sdwa s[6:7], s18, v1 src0_sel:BYTE_0 src1_sel:DWORD
	s_and_b64 vcc, exec, s[6:7]
	s_cbranch_vccz .LBB48_2898
; %bb.2891:
	v_lshlrev_b32_e32 v7, 16, v3
	v_and_b32_e32 v6, 0x7fffffff, v7
	s_mov_b32 s2, 0x47800000
	v_cmp_gt_u32_e32 vcc, s2, v6
	v_mov_b32_e32 v8, 0x80
	s_and_saveexec_b64 s[2:3], vcc
	s_cbranch_execz .LBB48_2897
; %bb.2892:
	s_mov_b32 s6, 0x37ffffff
	v_and_b32_e32 v1, 0xffff, v3
	v_cmp_lt_u32_e32 vcc, s6, v6
	s_mov_b64 s[6:7], 0
                                        ; implicit-def: $vgpr6
	s_and_saveexec_b64 s[10:11], vcc
	s_xor_b64 s[10:11], exec, s[10:11]
	s_cbranch_execz .LBB48_2984
; %bb.2893:
	v_bfe_u32 v6, v1, 5, 1
	s_mov_b32 s16, 0x88fffff
	v_add3_u32 v6, v7, v6, s16
	s_mov_b64 s[6:7], exec
	v_lshrrev_b32_e32 v6, 21, v6
                                        ; implicit-def: $vgpr7
	s_or_saveexec_b64 s[10:11], s[10:11]
                                        ; implicit-def: $sgpr16
	s_xor_b64 exec, exec, s[10:11]
	s_cbranch_execnz .LBB48_2985
.LBB48_2894:
	s_or_b64 exec, exec, s[10:11]
	v_mov_b32_e32 v8, s16
	s_and_saveexec_b64 s[10:11], s[6:7]
.LBB48_2895:
	v_lshrrev_b32_e32 v1, 8, v1
	s_movk_i32 s6, 0x80
	v_and_or_b32 v8, v1, s6, v6
.LBB48_2896:
	s_or_b64 exec, exec, s[10:11]
.LBB48_2897:
	s_or_b64 exec, exec, s[2:3]
	s_mov_b64 s[2:3], 0
	global_store_byte v[4:5], v8, off
.LBB48_2898:
	s_and_b64 vcc, exec, s[2:3]
	s_cbranch_vccz .LBB48_2908
; %bb.2899:
	v_lshlrev_b32_e32 v7, 16, v3
	v_and_b32_e32 v8, 0x7fffffff, v7
	s_mov_b32 s2, 0x43f00000
	v_and_b32_e32 v1, 0xffff, v3
	v_cmp_gt_u32_e32 vcc, s2, v8
                                        ; implicit-def: $vgpr6
	s_and_saveexec_b64 s[2:3], vcc
	s_xor_b64 s[2:3], exec, s[2:3]
	s_cbranch_execz .LBB48_2905
; %bb.2900:
	s_mov_b32 s6, 0x3c7fffff
	v_cmp_lt_u32_e32 vcc, s6, v8
                                        ; implicit-def: $vgpr6
	s_and_saveexec_b64 s[6:7], vcc
	s_xor_b64 s[6:7], exec, s[6:7]
; %bb.2901:
	v_bfe_u32 v6, v1, 4, 1
	s_mov_b32 s10, 0x407ffff
	v_add3_u32 v6, v7, v6, s10
	v_lshrrev_b32_e32 v7, 20, v6
	v_and_b32_e32 v6, 0xff00000, v6
	s_mov_b32 s10, 0x7f00000
	v_mov_b32_e32 v8, 0x7e
	v_cmp_ne_u32_e32 vcc, s10, v6
	v_cndmask_b32_e32 v6, v8, v7, vcc
                                        ; implicit-def: $vgpr7
; %bb.2902:
	s_andn2_saveexec_b64 s[6:7], s[6:7]
; %bb.2903:
	s_mov_b32 s10, 0x46800000
	v_add_f32_e64 v6, |v7|, s10
; %bb.2904:
	s_or_b64 exec, exec, s[6:7]
                                        ; implicit-def: $vgpr8
.LBB48_2905:
	s_andn2_saveexec_b64 s[2:3], s[2:3]
; %bb.2906:
	s_mov_b32 s6, 0x7f800000
	v_mov_b32_e32 v6, 0x7e
	v_mov_b32_e32 v7, 0x7f
	v_cmp_lt_u32_e32 vcc, s6, v8
	v_cndmask_b32_e32 v6, v6, v7, vcc
; %bb.2907:
	s_or_b64 exec, exec, s[2:3]
	v_lshrrev_b32_e32 v1, 8, v1
	s_movk_i32 s2, 0x80
	v_and_or_b32 v1, v1, s2, v6
	global_store_byte v[4:5], v1, off
.LBB48_2908:
	s_mov_b64 s[2:3], 0
.LBB48_2909:
	s_andn2_b64 vcc, exec, s[2:3]
	s_cbranch_vccnz .LBB48_2919
; %bb.2910:
	v_lshlrev_b32_e32 v7, 16, v3
	v_and_b32_e32 v8, 0x7fffffff, v7
	s_mov_b32 s2, 0x47800000
	v_and_b32_e32 v1, 0xffff, v3
	v_cmp_gt_u32_e32 vcc, s2, v8
                                        ; implicit-def: $vgpr6
	s_and_saveexec_b64 s[2:3], vcc
	s_xor_b64 s[2:3], exec, s[2:3]
	s_cbranch_execz .LBB48_2916
; %bb.2911:
	s_mov_b32 s6, 0x387fffff
	v_cmp_lt_u32_e32 vcc, s6, v8
                                        ; implicit-def: $vgpr6
	s_and_saveexec_b64 s[6:7], vcc
	s_xor_b64 s[6:7], exec, s[6:7]
; %bb.2912:
	v_bfe_u32 v6, v1, 5, 1
	s_mov_b32 s10, 0x80fffff
	v_add3_u32 v6, v7, v6, s10
	v_lshrrev_b32_e32 v6, 21, v6
                                        ; implicit-def: $vgpr7
; %bb.2913:
	s_andn2_saveexec_b64 s[6:7], s[6:7]
; %bb.2914:
	s_mov_b32 s10, 0x43000000
	v_add_f32_e64 v6, |v7|, s10
; %bb.2915:
	s_or_b64 exec, exec, s[6:7]
                                        ; implicit-def: $vgpr8
.LBB48_2916:
	s_andn2_saveexec_b64 s[2:3], s[2:3]
; %bb.2917:
	s_mov_b32 s6, 0x7f800000
	v_mov_b32_e32 v6, 0x7c
	v_mov_b32_e32 v7, 0x7f
	v_cmp_lt_u32_e32 vcc, s6, v8
	v_cndmask_b32_e32 v6, v6, v7, vcc
; %bb.2918:
	s_or_b64 exec, exec, s[2:3]
	v_lshrrev_b32_e32 v1, 8, v1
	s_movk_i32 s2, 0x80
	v_and_or_b32 v1, v1, s2, v6
	global_store_byte v[4:5], v1, off
.LBB48_2919:
	s_mov_b64 s[2:3], 0
	s_mov_b64 s[6:7], -1
.LBB48_2920:
	s_andn2_b64 vcc, exec, s[2:3]
	s_mov_b64 s[2:3], 0
	s_cbranch_vccnz .LBB48_2927
; %bb.2921:
	v_mov_b32_e32 v1, 14
	v_cmp_gt_i16_sdwa s[2:3], s18, v1 src0_sel:BYTE_0 src1_sel:DWORD
	s_mov_b64 s[10:11], -1
	s_and_b64 vcc, exec, s[2:3]
	s_cbranch_vccz .LBB48_2925
; %bb.2922:
	v_mov_b32_e32 v1, 15
	v_cmp_eq_u16_sdwa s[2:3], s18, v1 src0_sel:BYTE_0 src1_sel:DWORD
	s_mov_b64 s[0:1], -1
	s_and_b64 vcc, exec, s[2:3]
	s_cbranch_vccz .LBB48_2924
; %bb.2923:
	global_store_short v[4:5], v3, off
	s_mov_b64 s[0:1], 0
	s_mov_b64 s[6:7], -1
.LBB48_2924:
	s_mov_b64 s[10:11], 0
.LBB48_2925:
	s_mov_b64 s[2:3], 0
	s_and_b64 vcc, exec, s[10:11]
	s_cbranch_vccz .LBB48_2927
; %bb.2926:
	v_mov_b32_e32 v1, 11
	v_cmp_ne_u16_sdwa s[0:1], s18, v1 src0_sel:BYTE_0 src1_sel:DWORD
	s_mov_b64 s[2:3], -1
.LBB48_2927:
	s_and_b64 vcc, exec, s[0:1]
	s_cbranch_vccnz .LBB48_2983
; %bb.2928:
	s_andn2_b64 vcc, exec, s[2:3]
	s_cbranch_vccnz .LBB48_2930
.LBB48_2929:
	v_and_b32_e32 v1, 0x7fff, v3
	v_cmp_ne_u16_e32 vcc, 0, v1
	v_cndmask_b32_e64 v1, 0, 1, vcc
	s_mov_b64 s[6:7], -1
	global_store_byte v[4:5], v1, off
.LBB48_2930:
	s_mov_b64 s[0:1], 0
.LBB48_2931:
	s_and_b64 vcc, exec, s[0:1]
	s_cbranch_vccz .LBB48_2970
; %bb.2932:
	v_mov_b32_e32 v1, 5
	v_cmp_lt_i16_sdwa s[2:3], s18, v1 src0_sel:BYTE_0 src1_sel:DWORD
	s_mov_b64 s[0:1], -1
	s_and_b64 vcc, exec, s[2:3]
	s_cbranch_vccnz .LBB48_2953
; %bb.2933:
	v_mov_b32_e32 v1, 8
	v_cmp_lt_i16_sdwa s[2:3], s18, v1 src0_sel:BYTE_0 src1_sel:DWORD
	s_and_b64 vcc, exec, s[2:3]
	s_cbranch_vccnz .LBB48_2943
; %bb.2934:
	v_mov_b32_e32 v1, 9
	v_cmp_lt_i16_sdwa s[2:3], s18, v1 src0_sel:BYTE_0 src1_sel:DWORD
	s_and_b64 vcc, exec, s[2:3]
	s_cbranch_vccnz .LBB48_2940
; %bb.2935:
	v_cmp_gt_i16_sdwa s[2:3], s18, v1 src0_sel:BYTE_0 src1_sel:DWORD
	s_and_b64 vcc, exec, s[2:3]
	s_cbranch_vccz .LBB48_2937
; %bb.2936:
	v_lshlrev_b32_e32 v1, 16, v3
	v_mov_b32_e32 v8, 0
	v_cvt_f64_f32_e32 v[6:7], v1
	v_mov_b32_e32 v9, v8
	global_store_dwordx4 v[4:5], v[6:9], off
	s_mov_b64 s[0:1], 0
.LBB48_2937:
	s_andn2_b64 vcc, exec, s[0:1]
	s_cbranch_vccnz .LBB48_2939
; %bb.2938:
	v_lshlrev_b32_e32 v6, 16, v3
	v_mov_b32_e32 v7, 0
	global_store_dwordx2 v[4:5], v[6:7], off
.LBB48_2939:
	s_mov_b64 s[0:1], 0
.LBB48_2940:
	s_andn2_b64 vcc, exec, s[0:1]
	s_cbranch_vccnz .LBB48_2942
; %bb.2941:
	v_lshlrev_b32_e32 v1, 16, v3
	v_cvt_f16_f32_e32 v1, v1
	global_store_dword v[4:5], v1, off
.LBB48_2942:
	s_mov_b64 s[0:1], 0
.LBB48_2943:
	s_andn2_b64 vcc, exec, s[0:1]
	s_cbranch_vccnz .LBB48_2952
; %bb.2944:
	v_mov_b32_e32 v1, 6
	v_cmp_lt_i16_sdwa s[2:3], s18, v1 src0_sel:BYTE_0 src1_sel:DWORD
	s_mov_b64 s[0:1], -1
	s_and_b64 vcc, exec, s[2:3]
	s_cbranch_vccnz .LBB48_2950
; %bb.2945:
	v_cmp_gt_i16_sdwa s[2:3], s18, v1 src0_sel:BYTE_0 src1_sel:DWORD
	s_and_b64 vcc, exec, s[2:3]
	s_cbranch_vccz .LBB48_2947
; %bb.2946:
	v_lshlrev_b32_e32 v1, 16, v3
	v_cvt_f64_f32_e32 v[6:7], v1
	global_store_dwordx2 v[4:5], v[6:7], off
	s_mov_b64 s[0:1], 0
.LBB48_2947:
	s_andn2_b64 vcc, exec, s[0:1]
	s_cbranch_vccnz .LBB48_2949
; %bb.2948:
	v_lshlrev_b32_e32 v1, 16, v3
	global_store_dword v[4:5], v1, off
.LBB48_2949:
	s_mov_b64 s[0:1], 0
.LBB48_2950:
	s_andn2_b64 vcc, exec, s[0:1]
	s_cbranch_vccnz .LBB48_2952
; %bb.2951:
	v_lshlrev_b32_e32 v1, 16, v3
	v_cvt_f16_f32_e32 v1, v1
	global_store_short v[4:5], v1, off
.LBB48_2952:
	s_mov_b64 s[0:1], 0
.LBB48_2953:
	s_andn2_b64 vcc, exec, s[0:1]
	s_cbranch_vccnz .LBB48_2969
; %bb.2954:
	v_mov_b32_e32 v1, 2
	v_cmp_lt_i16_sdwa s[2:3], s18, v1 src0_sel:BYTE_0 src1_sel:DWORD
	s_mov_b64 s[0:1], -1
	s_and_b64 vcc, exec, s[2:3]
	s_cbranch_vccnz .LBB48_2964
; %bb.2955:
	v_mov_b32_e32 v1, 3
	v_cmp_lt_i16_sdwa s[2:3], s18, v1 src0_sel:BYTE_0 src1_sel:DWORD
	s_and_b64 vcc, exec, s[2:3]
	s_cbranch_vccnz .LBB48_2961
; %bb.2956:
	v_cmp_gt_i16_sdwa s[2:3], s18, v1 src0_sel:BYTE_0 src1_sel:DWORD
	s_and_b64 vcc, exec, s[2:3]
	s_cbranch_vccz .LBB48_2958
; %bb.2957:
	v_lshlrev_b32_e32 v1, 16, v3
	v_trunc_f32_e32 v1, v1
	s_mov_b32 s0, 0x2f800000
	v_mul_f32_e64 v6, |v1|, s0
	v_floor_f32_e32 v6, v6
	s_mov_b32 s0, 0xcf800000
	v_cvt_u32_f32_e32 v7, v6
	v_fma_f32 v6, v6, s0, |v1|
	v_cvt_u32_f32_e32 v6, v6
	v_ashrrev_i32_e32 v1, 31, v1
	v_xor_b32_e32 v7, v7, v1
	s_mov_b64 s[0:1], 0
	v_xor_b32_e32 v6, v6, v1
	v_sub_co_u32_e32 v6, vcc, v6, v1
	v_subb_co_u32_e32 v7, vcc, v7, v1, vcc
	global_store_dwordx2 v[4:5], v[6:7], off
.LBB48_2958:
	s_andn2_b64 vcc, exec, s[0:1]
	s_cbranch_vccnz .LBB48_2960
; %bb.2959:
	v_lshlrev_b32_e32 v1, 16, v3
	v_cvt_i32_f32_e32 v1, v1
	global_store_dword v[4:5], v1, off
.LBB48_2960:
	s_mov_b64 s[0:1], 0
.LBB48_2961:
	s_andn2_b64 vcc, exec, s[0:1]
	s_cbranch_vccnz .LBB48_2963
; %bb.2962:
	v_lshlrev_b32_e32 v1, 16, v3
	v_cvt_i32_f32_e32 v1, v1
	global_store_short v[4:5], v1, off
.LBB48_2963:
	s_mov_b64 s[0:1], 0
.LBB48_2964:
	s_andn2_b64 vcc, exec, s[0:1]
	s_cbranch_vccnz .LBB48_2969
; %bb.2965:
	v_mov_b32_e32 v1, 0
	v_cmp_gt_i16_sdwa s[2:3], s18, v1 src0_sel:BYTE_0 src1_sel:DWORD
	s_mov_b64 s[0:1], -1
	s_and_b64 vcc, exec, s[2:3]
	v_lshlrev_b32_e32 v1, 16, v3
	s_cbranch_vccz .LBB48_2967
; %bb.2966:
	v_cvt_i32_f32_e32 v3, v1
	s_mov_b64 s[0:1], 0
	global_store_byte v[4:5], v3, off
.LBB48_2967:
	s_andn2_b64 vcc, exec, s[0:1]
	s_cbranch_vccnz .LBB48_2969
; %bb.2968:
	v_trunc_f32_e32 v1, v1
	s_mov_b32 s0, 0x2f800000
	v_mul_f32_e64 v3, |v1|, s0
	v_floor_f32_e32 v3, v3
	s_mov_b32 s0, 0xcf800000
	v_fma_f32 v3, v3, s0, |v1|
	v_cvt_u32_f32_e32 v3, v3
	v_ashrrev_i32_e32 v1, 31, v1
	v_xor_b32_e32 v3, v3, v1
	v_sub_u32_e32 v1, v3, v1
	global_store_byte v[4:5], v1, off
.LBB48_2969:
	s_mov_b64 s[6:7], -1
.LBB48_2970:
	s_andn2_b64 vcc, exec, s[6:7]
	s_cbranch_vccnz .LBB48_3174
; %bb.2971:
	v_mov_b32_e32 v1, s9
	v_add_co_u32_e32 v2, vcc, s8, v2
	v_addc_co_u32_e32 v3, vcc, 0, v1, vcc
	v_mov_b32_e32 v1, 11
	v_cmp_lt_i16_sdwa s[0:1], s18, v1 src0_sel:BYTE_0 src1_sel:DWORD
	s_and_b64 vcc, exec, s[0:1]
	s_cbranch_vccnz .LBB48_2978
; %bb.2972:
	v_mov_b32_e32 v1, 25
	v_cmp_gt_i16_sdwa s[0:1], s18, v1 src0_sel:BYTE_0 src1_sel:DWORD
	s_mov_b64 s[10:11], -1
	s_mov_b64 s[2:3], 0
	s_and_b64 vcc, exec, s[0:1]
	s_mov_b64 s[6:7], 0
	s_mov_b64 s[0:1], 0
	s_cbranch_vccz .LBB48_3014
; %bb.2973:
	v_mov_b32_e32 v1, 28
	v_cmp_gt_i16_sdwa s[0:1], s18, v1 src0_sel:BYTE_0 src1_sel:DWORD
	s_and_b64 vcc, exec, s[0:1]
	s_cbranch_vccz .LBB48_2979
; %bb.2974:
	v_mov_b32_e32 v1, 43
	v_cmp_gt_i16_sdwa s[0:1], s18, v1 src0_sel:BYTE_0 src1_sel:DWORD
	s_and_b64 vcc, exec, s[0:1]
	;; [unrolled: 5-line block ×3, first 2 shown]
	s_cbranch_vccz .LBB48_2986
; %bb.2976:
	v_mov_b32_e32 v1, 46
	v_cmp_eq_u16_sdwa s[6:7], s18, v1 src0_sel:BYTE_0 src1_sel:DWORD
	s_mov_b64 s[0:1], -1
	s_mov_b64 s[10:11], 0
	s_and_b64 vcc, exec, s[6:7]
	s_mov_b64 s[6:7], 0
	s_cbranch_vccz .LBB48_2987
; %bb.2977:
	v_and_b32_e32 v1, 0xffff, v16
	global_store_dword v[2:3], v1, off
	s_mov_b64 s[0:1], 0
	s_mov_b64 s[6:7], -1
	s_branch .LBB48_2987
.LBB48_2978:
	s_mov_b64 s[0:1], -1
	s_mov_b64 s[6:7], 0
	s_branch .LBB48_3058
.LBB48_2979:
	s_mov_b64 s[0:1], 0
	s_branch .LBB48_2997
.LBB48_2980:
	s_or_saveexec_b64 s[16:17], s[16:17]
                                        ; implicit-def: $sgpr19
	s_xor_b64 exec, exec, s[16:17]
	s_cbranch_execz .LBB48_2881
.LBB48_2981:
	s_mov_b32 s19, 0x46000000
	v_add_f32_e64 v6, |v7|, s19
	v_and_b32_e32 v6, 0xff, v6
	v_cmp_ne_u32_e32 vcc, 0, v6
	s_andn2_b64 s[10:11], s[10:11], exec
	s_and_b64 s[20:21], vcc, exec
	s_mov_b32 s19, 0
	s_or_b64 s[10:11], s[10:11], s[20:21]
	s_or_b64 exec, exec, s[16:17]
	v_mov_b32_e32 v8, s19
	s_and_saveexec_b64 s[16:17], s[10:11]
	s_cbranch_execnz .LBB48_2882
	s_branch .LBB48_2883
.LBB48_2982:
	s_mov_b64 s[0:1], 0
	s_branch .LBB48_2993
.LBB48_2983:
	s_trap 2
	s_or_b64 s[4:5], s[4:5], exec
	s_cbranch_execz .LBB48_2929
	s_branch .LBB48_2930
.LBB48_2984:
	s_or_saveexec_b64 s[10:11], s[10:11]
                                        ; implicit-def: $sgpr16
	s_xor_b64 exec, exec, s[10:11]
	s_cbranch_execz .LBB48_2894
.LBB48_2985:
	s_mov_b32 s16, 0x42800000
	v_add_f32_e64 v6, |v7|, s16
	v_and_b32_e32 v6, 0xff, v6
	v_cmp_ne_u32_e32 vcc, 0, v6
	s_andn2_b64 s[6:7], s[6:7], exec
	s_and_b64 s[20:21], vcc, exec
	s_mov_b32 s16, 0
	s_or_b64 s[6:7], s[6:7], s[20:21]
	s_or_b64 exec, exec, s[10:11]
	v_mov_b32_e32 v8, s16
	s_and_saveexec_b64 s[10:11], s[6:7]
	s_cbranch_execnz .LBB48_2895
	s_branch .LBB48_2896
.LBB48_2986:
	s_mov_b64 s[0:1], 0
.LBB48_2987:
	s_and_b64 vcc, exec, s[10:11]
	s_cbranch_vccz .LBB48_2992
; %bb.2988:
	v_mov_b32_e32 v1, 44
	v_cmp_eq_u16_sdwa s[10:11], s18, v1 src0_sel:BYTE_0 src1_sel:DWORD
	s_mov_b64 s[0:1], -1
	s_and_b64 vcc, exec, s[10:11]
	s_cbranch_vccz .LBB48_2992
; %bb.2989:
	v_and_b32_e32 v4, 0xffff, v16
	v_bfe_u32 v1, v4, 7, 8
	s_movk_i32 s0, 0xff
	v_cmp_ne_u32_e32 vcc, s0, v1
	v_mov_b32_e32 v5, 0xff
	s_and_saveexec_b64 s[6:7], vcc
; %bb.2990:
	v_lshlrev_b32_e32 v6, 16, v4
	s_mov_b32 s0, 0x3f0000
	v_lshrrev_b32_e32 v5, 7, v4
	v_and_b32_e32 v4, 64, v4
	v_and_or_b32 v1, v6, s0, v1
	v_cmp_ne_u32_e32 vcc, 0, v4
	v_cmp_ne_u32_e64 s[0:1], 0, v1
	s_and_b64 s[0:1], vcc, s[0:1]
	v_cndmask_b32_e64 v1, 0, 1, s[0:1]
	v_add_u32_e32 v5, v5, v1
; %bb.2991:
	s_or_b64 exec, exec, s[6:7]
	s_mov_b64 s[0:1], 0
	s_mov_b64 s[6:7], -1
	global_store_byte v[2:3], v5, off
.LBB48_2992:
	s_mov_b64 s[10:11], 0
.LBB48_2993:
	s_and_b64 vcc, exec, s[10:11]
	s_cbranch_vccz .LBB48_2996
; %bb.2994:
	v_mov_b32_e32 v1, 29
	v_cmp_eq_u16_sdwa s[10:11], s18, v1 src0_sel:BYTE_0 src1_sel:DWORD
	s_mov_b64 s[0:1], -1
	s_and_b64 vcc, exec, s[10:11]
	s_cbranch_vccz .LBB48_2996
; %bb.2995:
	v_lshlrev_b32_e32 v1, 16, v16
	v_trunc_f32_e32 v1, v1
	v_mul_f32_e32 v4, 0x2f800000, v1
	v_floor_f32_e32 v4, v4
	v_fmac_f32_e32 v1, 0xcf800000, v4
	v_cvt_u32_f32_e32 v5, v4
	v_cvt_u32_f32_e32 v4, v1
	s_mov_b64 s[0:1], 0
	s_mov_b64 s[6:7], -1
	s_mov_b64 s[10:11], 0
	global_store_dwordx2 v[2:3], v[4:5], off
	s_branch .LBB48_2997
.LBB48_2996:
	s_mov_b64 s[10:11], 0
.LBB48_2997:
	s_and_b64 vcc, exec, s[10:11]
	s_cbranch_vccz .LBB48_3013
; %bb.2998:
	v_mov_b32_e32 v1, 27
	v_cmp_lt_i16_sdwa s[10:11], s18, v1 src0_sel:BYTE_0 src1_sel:DWORD
	s_mov_b64 s[6:7], -1
	s_and_b64 vcc, exec, s[10:11]
	s_cbranch_vccnz .LBB48_3004
; %bb.2999:
	v_cmp_gt_i16_sdwa s[10:11], s18, v1 src0_sel:BYTE_0 src1_sel:DWORD
	s_and_b64 vcc, exec, s[10:11]
	s_cbranch_vccz .LBB48_3001
; %bb.3000:
	v_lshlrev_b32_e32 v1, 16, v16
	v_cvt_u32_f32_e32 v1, v1
	s_mov_b64 s[6:7], 0
	global_store_dword v[2:3], v1, off
.LBB48_3001:
	s_andn2_b64 vcc, exec, s[6:7]
	s_cbranch_vccnz .LBB48_3003
; %bb.3002:
	v_lshlrev_b32_e32 v1, 16, v16
	v_cvt_u32_f32_e32 v1, v1
	global_store_short v[2:3], v1, off
.LBB48_3003:
	s_mov_b64 s[6:7], 0
.LBB48_3004:
	s_andn2_b64 vcc, exec, s[6:7]
	s_cbranch_vccnz .LBB48_3012
; %bb.3005:
	v_lshlrev_b32_e32 v5, 16, v16
	v_and_b32_e32 v4, 0x7fffffff, v5
	s_mov_b32 s6, 0x43800000
	v_cmp_gt_u32_e32 vcc, s6, v4
	v_mov_b32_e32 v6, 0x80
	s_and_saveexec_b64 s[6:7], vcc
	s_cbranch_execz .LBB48_3011
; %bb.3006:
	s_mov_b32 s10, 0x3bffffff
	v_and_b32_e32 v1, 0xffff, v16
	v_cmp_lt_u32_e32 vcc, s10, v4
	s_mov_b64 s[10:11], 0
                                        ; implicit-def: $vgpr4
	s_and_saveexec_b64 s[16:17], vcc
	s_xor_b64 s[16:17], exec, s[16:17]
	s_cbranch_execz .LBB48_3176
; %bb.3007:
	v_bfe_u32 v4, v1, 4, 1
	s_mov_b32 s19, 0x487ffff
	v_add3_u32 v4, v5, v4, s19
	s_mov_b64 s[10:11], exec
	v_lshrrev_b32_e32 v4, 20, v4
                                        ; implicit-def: $vgpr5
	s_or_saveexec_b64 s[16:17], s[16:17]
                                        ; implicit-def: $sgpr19
	s_xor_b64 exec, exec, s[16:17]
	s_cbranch_execnz .LBB48_3177
.LBB48_3008:
	s_or_b64 exec, exec, s[16:17]
	v_mov_b32_e32 v6, s19
	s_and_saveexec_b64 s[16:17], s[10:11]
.LBB48_3009:
	v_lshrrev_b32_e32 v1, 8, v1
	s_movk_i32 s10, 0x80
	v_and_or_b32 v6, v1, s10, v4
.LBB48_3010:
	s_or_b64 exec, exec, s[16:17]
.LBB48_3011:
	s_or_b64 exec, exec, s[6:7]
	global_store_byte v[2:3], v6, off
.LBB48_3012:
	s_mov_b64 s[6:7], -1
.LBB48_3013:
	s_mov_b64 s[10:11], 0
.LBB48_3014:
	s_and_b64 vcc, exec, s[10:11]
	s_cbranch_vccz .LBB48_3054
; %bb.3015:
	v_mov_b32_e32 v1, 22
	v_cmp_gt_i16_sdwa s[10:11], s18, v1 src0_sel:BYTE_0 src1_sel:DWORD
	s_mov_b64 s[2:3], -1
	s_and_b64 vcc, exec, s[10:11]
	s_cbranch_vccz .LBB48_3047
; %bb.3016:
	v_mov_b32_e32 v1, 24
	v_cmp_lt_i16_sdwa s[6:7], s18, v1 src0_sel:BYTE_0 src1_sel:DWORD
	s_and_b64 vcc, exec, s[6:7]
	s_cbranch_vccnz .LBB48_3036
; %bb.3017:
	v_cmp_gt_i16_sdwa s[6:7], s18, v1 src0_sel:BYTE_0 src1_sel:DWORD
	s_and_b64 vcc, exec, s[6:7]
	s_cbranch_vccz .LBB48_3025
; %bb.3018:
	v_lshlrev_b32_e32 v5, 16, v16
	v_and_b32_e32 v4, 0x7fffffff, v5
	s_mov_b32 s2, 0x47800000
	v_cmp_gt_u32_e32 vcc, s2, v4
	v_mov_b32_e32 v6, 0x80
	s_and_saveexec_b64 s[2:3], vcc
	s_cbranch_execz .LBB48_3024
; %bb.3019:
	s_mov_b32 s6, 0x37ffffff
	v_and_b32_e32 v1, 0xffff, v16
	v_cmp_lt_u32_e32 vcc, s6, v4
	s_mov_b64 s[6:7], 0
                                        ; implicit-def: $vgpr4
	s_and_saveexec_b64 s[10:11], vcc
	s_xor_b64 s[10:11], exec, s[10:11]
	s_cbranch_execz .LBB48_3179
; %bb.3020:
	v_bfe_u32 v4, v1, 5, 1
	s_mov_b32 s16, 0x88fffff
	v_add3_u32 v4, v5, v4, s16
	s_mov_b64 s[6:7], exec
	v_lshrrev_b32_e32 v4, 21, v4
                                        ; implicit-def: $vgpr5
	s_or_saveexec_b64 s[10:11], s[10:11]
                                        ; implicit-def: $sgpr16
	s_xor_b64 exec, exec, s[10:11]
	s_cbranch_execnz .LBB48_3180
.LBB48_3021:
	s_or_b64 exec, exec, s[10:11]
	v_mov_b32_e32 v6, s16
	s_and_saveexec_b64 s[10:11], s[6:7]
.LBB48_3022:
	v_lshrrev_b32_e32 v1, 8, v1
	s_movk_i32 s6, 0x80
	v_and_or_b32 v6, v1, s6, v4
.LBB48_3023:
	s_or_b64 exec, exec, s[10:11]
.LBB48_3024:
	s_or_b64 exec, exec, s[2:3]
	s_mov_b64 s[2:3], 0
	global_store_byte v[2:3], v6, off
.LBB48_3025:
	s_and_b64 vcc, exec, s[2:3]
	s_cbranch_vccz .LBB48_3035
; %bb.3026:
	v_lshlrev_b32_e32 v5, 16, v16
	v_and_b32_e32 v6, 0x7fffffff, v5
	s_mov_b32 s2, 0x43f00000
	v_and_b32_e32 v1, 0xffff, v16
	v_cmp_gt_u32_e32 vcc, s2, v6
                                        ; implicit-def: $vgpr4
	s_and_saveexec_b64 s[2:3], vcc
	s_xor_b64 s[2:3], exec, s[2:3]
	s_cbranch_execz .LBB48_3032
; %bb.3027:
	s_mov_b32 s6, 0x3c7fffff
	v_cmp_lt_u32_e32 vcc, s6, v6
                                        ; implicit-def: $vgpr4
	s_and_saveexec_b64 s[6:7], vcc
	s_xor_b64 s[6:7], exec, s[6:7]
; %bb.3028:
	v_bfe_u32 v4, v1, 4, 1
	s_mov_b32 s10, 0x407ffff
	v_add3_u32 v4, v5, v4, s10
	v_lshrrev_b32_e32 v5, 20, v4
	v_and_b32_e32 v4, 0xff00000, v4
	s_mov_b32 s10, 0x7f00000
	v_mov_b32_e32 v6, 0x7e
	v_cmp_ne_u32_e32 vcc, s10, v4
	v_cndmask_b32_e32 v4, v6, v5, vcc
                                        ; implicit-def: $vgpr5
; %bb.3029:
	s_andn2_saveexec_b64 s[6:7], s[6:7]
; %bb.3030:
	s_mov_b32 s10, 0x46800000
	v_add_f32_e64 v4, |v5|, s10
; %bb.3031:
	s_or_b64 exec, exec, s[6:7]
                                        ; implicit-def: $vgpr6
.LBB48_3032:
	s_andn2_saveexec_b64 s[2:3], s[2:3]
; %bb.3033:
	s_mov_b32 s6, 0x7f800000
	v_mov_b32_e32 v4, 0x7e
	v_mov_b32_e32 v5, 0x7f
	v_cmp_lt_u32_e32 vcc, s6, v6
	v_cndmask_b32_e32 v4, v4, v5, vcc
; %bb.3034:
	s_or_b64 exec, exec, s[2:3]
	v_lshrrev_b32_e32 v1, 8, v1
	s_movk_i32 s2, 0x80
	v_and_or_b32 v1, v1, s2, v4
	global_store_byte v[2:3], v1, off
.LBB48_3035:
	s_mov_b64 s[2:3], 0
.LBB48_3036:
	s_andn2_b64 vcc, exec, s[2:3]
	s_cbranch_vccnz .LBB48_3046
; %bb.3037:
	v_lshlrev_b32_e32 v5, 16, v16
	v_and_b32_e32 v6, 0x7fffffff, v5
	s_mov_b32 s2, 0x47800000
	v_and_b32_e32 v1, 0xffff, v16
	v_cmp_gt_u32_e32 vcc, s2, v6
                                        ; implicit-def: $vgpr4
	s_and_saveexec_b64 s[2:3], vcc
	s_xor_b64 s[2:3], exec, s[2:3]
	s_cbranch_execz .LBB48_3043
; %bb.3038:
	s_mov_b32 s6, 0x387fffff
	v_cmp_lt_u32_e32 vcc, s6, v6
                                        ; implicit-def: $vgpr4
	s_and_saveexec_b64 s[6:7], vcc
	s_xor_b64 s[6:7], exec, s[6:7]
; %bb.3039:
	v_bfe_u32 v4, v1, 5, 1
	s_mov_b32 s10, 0x80fffff
	v_add3_u32 v4, v5, v4, s10
	v_lshrrev_b32_e32 v4, 21, v4
                                        ; implicit-def: $vgpr5
; %bb.3040:
	s_andn2_saveexec_b64 s[6:7], s[6:7]
; %bb.3041:
	s_mov_b32 s10, 0x43000000
	v_add_f32_e64 v4, |v5|, s10
; %bb.3042:
	s_or_b64 exec, exec, s[6:7]
                                        ; implicit-def: $vgpr6
.LBB48_3043:
	s_andn2_saveexec_b64 s[2:3], s[2:3]
; %bb.3044:
	s_mov_b32 s6, 0x7f800000
	v_mov_b32_e32 v4, 0x7c
	v_mov_b32_e32 v5, 0x7f
	v_cmp_lt_u32_e32 vcc, s6, v6
	v_cndmask_b32_e32 v4, v4, v5, vcc
; %bb.3045:
	s_or_b64 exec, exec, s[2:3]
	v_lshrrev_b32_e32 v1, 8, v1
	s_movk_i32 s2, 0x80
	v_and_or_b32 v1, v1, s2, v4
	global_store_byte v[2:3], v1, off
.LBB48_3046:
	s_mov_b64 s[2:3], 0
	s_mov_b64 s[6:7], -1
.LBB48_3047:
	s_andn2_b64 vcc, exec, s[2:3]
	s_mov_b64 s[2:3], 0
	s_cbranch_vccnz .LBB48_3054
; %bb.3048:
	v_mov_b32_e32 v1, 14
	v_cmp_gt_i16_sdwa s[2:3], s18, v1 src0_sel:BYTE_0 src1_sel:DWORD
	s_mov_b64 s[10:11], -1
	s_and_b64 vcc, exec, s[2:3]
	s_cbranch_vccz .LBB48_3052
; %bb.3049:
	v_mov_b32_e32 v1, 15
	v_cmp_eq_u16_sdwa s[2:3], s18, v1 src0_sel:BYTE_0 src1_sel:DWORD
	s_mov_b64 s[0:1], -1
	s_and_b64 vcc, exec, s[2:3]
	s_cbranch_vccz .LBB48_3051
; %bb.3050:
	global_store_short v[2:3], v16, off
	s_mov_b64 s[0:1], 0
	s_mov_b64 s[6:7], -1
.LBB48_3051:
	s_mov_b64 s[10:11], 0
.LBB48_3052:
	s_mov_b64 s[2:3], 0
	s_and_b64 vcc, exec, s[10:11]
	s_cbranch_vccz .LBB48_3054
; %bb.3053:
	v_mov_b32_e32 v1, 11
	v_cmp_ne_u16_sdwa s[0:1], s18, v1 src0_sel:BYTE_0 src1_sel:DWORD
	s_mov_b64 s[2:3], -1
.LBB48_3054:
	s_and_b64 vcc, exec, s[0:1]
	s_cbranch_vccnz .LBB48_3178
; %bb.3055:
	s_andn2_b64 vcc, exec, s[2:3]
	s_cbranch_vccnz .LBB48_3057
.LBB48_3056:
	v_and_b32_e32 v1, 0x7fff, v16
	v_cmp_ne_u16_e32 vcc, 0, v1
	v_cndmask_b32_e64 v1, 0, 1, vcc
	s_mov_b64 s[6:7], -1
	global_store_byte v[2:3], v1, off
.LBB48_3057:
	s_mov_b64 s[0:1], 0
.LBB48_3058:
	s_and_b64 vcc, exec, s[0:1]
	s_cbranch_vccz .LBB48_3097
; %bb.3059:
	v_mov_b32_e32 v1, 5
	v_cmp_lt_i16_sdwa s[2:3], s18, v1 src0_sel:BYTE_0 src1_sel:DWORD
	s_mov_b64 s[0:1], -1
	s_and_b64 vcc, exec, s[2:3]
	s_cbranch_vccnz .LBB48_3080
; %bb.3060:
	v_mov_b32_e32 v1, 8
	v_cmp_lt_i16_sdwa s[2:3], s18, v1 src0_sel:BYTE_0 src1_sel:DWORD
	s_and_b64 vcc, exec, s[2:3]
	s_cbranch_vccnz .LBB48_3070
; %bb.3061:
	v_mov_b32_e32 v1, 9
	v_cmp_lt_i16_sdwa s[2:3], s18, v1 src0_sel:BYTE_0 src1_sel:DWORD
	s_and_b64 vcc, exec, s[2:3]
	s_cbranch_vccnz .LBB48_3067
; %bb.3062:
	v_cmp_gt_i16_sdwa s[2:3], s18, v1 src0_sel:BYTE_0 src1_sel:DWORD
	s_and_b64 vcc, exec, s[2:3]
	s_cbranch_vccz .LBB48_3064
; %bb.3063:
	v_lshlrev_b32_e32 v1, 16, v16
	v_mov_b32_e32 v6, 0
	v_cvt_f64_f32_e32 v[4:5], v1
	v_mov_b32_e32 v7, v6
	global_store_dwordx4 v[2:3], v[4:7], off
	s_mov_b64 s[0:1], 0
.LBB48_3064:
	s_andn2_b64 vcc, exec, s[0:1]
	s_cbranch_vccnz .LBB48_3066
; %bb.3065:
	v_lshlrev_b32_e32 v4, 16, v16
	v_mov_b32_e32 v5, 0
	global_store_dwordx2 v[2:3], v[4:5], off
.LBB48_3066:
	s_mov_b64 s[0:1], 0
.LBB48_3067:
	s_andn2_b64 vcc, exec, s[0:1]
	s_cbranch_vccnz .LBB48_3069
; %bb.3068:
	v_lshlrev_b32_e32 v1, 16, v16
	v_cvt_f16_f32_e32 v1, v1
	global_store_dword v[2:3], v1, off
.LBB48_3069:
	s_mov_b64 s[0:1], 0
.LBB48_3070:
	s_andn2_b64 vcc, exec, s[0:1]
	s_cbranch_vccnz .LBB48_3079
; %bb.3071:
	v_mov_b32_e32 v1, 6
	v_cmp_lt_i16_sdwa s[2:3], s18, v1 src0_sel:BYTE_0 src1_sel:DWORD
	s_mov_b64 s[0:1], -1
	s_and_b64 vcc, exec, s[2:3]
	s_cbranch_vccnz .LBB48_3077
; %bb.3072:
	v_cmp_gt_i16_sdwa s[2:3], s18, v1 src0_sel:BYTE_0 src1_sel:DWORD
	s_and_b64 vcc, exec, s[2:3]
	s_cbranch_vccz .LBB48_3074
; %bb.3073:
	v_lshlrev_b32_e32 v1, 16, v16
	v_cvt_f64_f32_e32 v[4:5], v1
	global_store_dwordx2 v[2:3], v[4:5], off
	s_mov_b64 s[0:1], 0
.LBB48_3074:
	s_andn2_b64 vcc, exec, s[0:1]
	s_cbranch_vccnz .LBB48_3076
; %bb.3075:
	v_lshlrev_b32_e32 v1, 16, v16
	global_store_dword v[2:3], v1, off
.LBB48_3076:
	s_mov_b64 s[0:1], 0
.LBB48_3077:
	s_andn2_b64 vcc, exec, s[0:1]
	s_cbranch_vccnz .LBB48_3079
; %bb.3078:
	v_lshlrev_b32_e32 v1, 16, v16
	v_cvt_f16_f32_e32 v1, v1
	global_store_short v[2:3], v1, off
.LBB48_3079:
	s_mov_b64 s[0:1], 0
.LBB48_3080:
	s_andn2_b64 vcc, exec, s[0:1]
	s_cbranch_vccnz .LBB48_3096
; %bb.3081:
	v_mov_b32_e32 v1, 2
	v_cmp_lt_i16_sdwa s[2:3], s18, v1 src0_sel:BYTE_0 src1_sel:DWORD
	s_mov_b64 s[0:1], -1
	s_and_b64 vcc, exec, s[2:3]
	s_cbranch_vccnz .LBB48_3091
; %bb.3082:
	v_mov_b32_e32 v1, 3
	v_cmp_lt_i16_sdwa s[2:3], s18, v1 src0_sel:BYTE_0 src1_sel:DWORD
	s_and_b64 vcc, exec, s[2:3]
	s_cbranch_vccnz .LBB48_3088
; %bb.3083:
	v_cmp_gt_i16_sdwa s[2:3], s18, v1 src0_sel:BYTE_0 src1_sel:DWORD
	s_and_b64 vcc, exec, s[2:3]
	s_cbranch_vccz .LBB48_3085
; %bb.3084:
	v_lshlrev_b32_e32 v1, 16, v16
	v_trunc_f32_e32 v1, v1
	s_mov_b32 s0, 0x2f800000
	v_mul_f32_e64 v4, |v1|, s0
	v_floor_f32_e32 v4, v4
	s_mov_b32 s0, 0xcf800000
	v_cvt_u32_f32_e32 v5, v4
	v_fma_f32 v4, v4, s0, |v1|
	v_cvt_u32_f32_e32 v4, v4
	v_ashrrev_i32_e32 v1, 31, v1
	v_xor_b32_e32 v5, v5, v1
	s_mov_b64 s[0:1], 0
	v_xor_b32_e32 v4, v4, v1
	v_sub_co_u32_e32 v4, vcc, v4, v1
	v_subb_co_u32_e32 v5, vcc, v5, v1, vcc
	global_store_dwordx2 v[2:3], v[4:5], off
.LBB48_3085:
	s_andn2_b64 vcc, exec, s[0:1]
	s_cbranch_vccnz .LBB48_3087
; %bb.3086:
	v_lshlrev_b32_e32 v1, 16, v16
	v_cvt_i32_f32_e32 v1, v1
	global_store_dword v[2:3], v1, off
.LBB48_3087:
	s_mov_b64 s[0:1], 0
.LBB48_3088:
	s_andn2_b64 vcc, exec, s[0:1]
	s_cbranch_vccnz .LBB48_3090
; %bb.3089:
	v_lshlrev_b32_e32 v1, 16, v16
	v_cvt_i32_f32_e32 v1, v1
	global_store_short v[2:3], v1, off
.LBB48_3090:
	s_mov_b64 s[0:1], 0
.LBB48_3091:
	s_andn2_b64 vcc, exec, s[0:1]
	s_cbranch_vccnz .LBB48_3096
; %bb.3092:
	v_mov_b32_e32 v1, 0
	v_cmp_gt_i16_sdwa s[2:3], s18, v1 src0_sel:BYTE_0 src1_sel:DWORD
	s_mov_b64 s[0:1], -1
	s_and_b64 vcc, exec, s[2:3]
	s_cbranch_vccz .LBB48_3094
; %bb.3093:
	v_lshlrev_b32_e32 v1, 16, v16
	v_cvt_i32_f32_e32 v1, v1
	s_mov_b64 s[0:1], 0
	global_store_byte v[2:3], v1, off
.LBB48_3094:
	s_andn2_b64 vcc, exec, s[0:1]
	s_cbranch_vccnz .LBB48_3096
; %bb.3095:
	v_lshlrev_b32_e32 v1, 16, v16
	v_trunc_f32_e32 v1, v1
	s_mov_b32 s0, 0x2f800000
	v_mul_f32_e64 v4, |v1|, s0
	v_floor_f32_e32 v4, v4
	s_mov_b32 s0, 0xcf800000
	v_fma_f32 v4, v4, s0, |v1|
	v_cvt_u32_f32_e32 v4, v4
	v_ashrrev_i32_e32 v1, 31, v1
	v_xor_b32_e32 v4, v4, v1
	v_sub_u32_e32 v1, v4, v1
	global_store_byte v[2:3], v1, off
.LBB48_3096:
	s_mov_b64 s[6:7], -1
.LBB48_3097:
	s_andn2_b64 vcc, exec, s[6:7]
	s_cbranch_vccnz .LBB48_3174
; %bb.3098:
	v_mov_b32_e32 v1, 0xff
	v_and_b32_e32 v2, s18, v1
	v_mov_b32_e32 v1, s9
	v_add_co_u32_e32 v0, vcc, s8, v0
	v_addc_co_u32_e32 v1, vcc, 0, v1, vcc
	v_cmp_gt_i16_e32 vcc, 11, v2
	s_cbranch_vccnz .LBB48_3175
; %bb.3099:
	v_cmp_lt_i16_e32 vcc, 25, v2
	s_mov_b64 s[6:7], -1
	s_mov_b64 s[2:3], 0
	s_mov_b64 s[0:1], 0
	s_cbranch_vccz .LBB48_3132
; %bb.3100:
	v_cmp_lt_i16_e32 vcc, 28, v2
	s_cbranch_vccz .LBB48_3116
; %bb.3101:
	v_cmp_lt_i16_e32 vcc, 43, v2
	;; [unrolled: 3-line block ×3, first 2 shown]
	s_cbranch_vccz .LBB48_3106
; %bb.3103:
	v_cmp_eq_u16_e32 vcc, 46, v2
	s_mov_b64 s[0:1], -1
	s_cbranch_vccz .LBB48_3105
; %bb.3104:
	v_and_b32_e32 v3, 0xffff, v12
	global_store_dword v[0:1], v3, off
	s_mov_b64 s[0:1], 0
.LBB48_3105:
	s_mov_b64 s[6:7], 0
.LBB48_3106:
	s_and_b64 vcc, exec, s[6:7]
	s_cbranch_vccz .LBB48_3111
; %bb.3107:
	v_cmp_eq_u16_e32 vcc, 44, v2
	s_mov_b64 s[0:1], -1
	s_cbranch_vccz .LBB48_3111
; %bb.3108:
	v_and_b32_e32 v4, 0xffff, v12
	v_bfe_u32 v3, v4, 7, 8
	s_movk_i32 s0, 0xff
	v_cmp_ne_u32_e32 vcc, s0, v3
	v_mov_b32_e32 v5, 0xff
	s_and_saveexec_b64 s[6:7], vcc
; %bb.3109:
	v_lshlrev_b32_e32 v6, 16, v4
	s_mov_b32 s0, 0x3f0000
	v_lshrrev_b32_e32 v5, 7, v4
	v_and_b32_e32 v4, 64, v4
	v_and_or_b32 v3, v6, s0, v3
	v_cmp_ne_u32_e32 vcc, 0, v4
	v_cmp_ne_u32_e64 s[0:1], 0, v3
	s_and_b64 s[0:1], vcc, s[0:1]
	v_cndmask_b32_e64 v3, 0, 1, s[0:1]
	v_add_u32_e32 v5, v5, v3
; %bb.3110:
	s_or_b64 exec, exec, s[6:7]
	s_mov_b64 s[0:1], 0
	global_store_byte v[0:1], v5, off
.LBB48_3111:
	s_mov_b64 s[6:7], 0
.LBB48_3112:
	s_and_b64 vcc, exec, s[6:7]
	s_cbranch_vccz .LBB48_3115
; %bb.3113:
	v_cmp_eq_u16_e32 vcc, 29, v2
	s_mov_b64 s[0:1], -1
	s_cbranch_vccz .LBB48_3115
; %bb.3114:
	v_lshlrev_b32_e32 v3, 16, v12
	v_trunc_f32_e32 v3, v3
	v_mul_f32_e32 v4, 0x2f800000, v3
	v_floor_f32_e32 v4, v4
	v_fmac_f32_e32 v3, 0xcf800000, v4
	v_cvt_u32_f32_e32 v5, v4
	v_cvt_u32_f32_e32 v4, v3
	s_mov_b64 s[0:1], 0
	global_store_dwordx2 v[0:1], v[4:5], off
.LBB48_3115:
	s_mov_b64 s[6:7], 0
.LBB48_3116:
	s_and_b64 vcc, exec, s[6:7]
	s_cbranch_vccz .LBB48_3131
; %bb.3117:
	v_cmp_gt_i16_e32 vcc, 27, v2
	s_mov_b64 s[6:7], -1
	s_cbranch_vccnz .LBB48_3123
; %bb.3118:
	v_cmp_lt_i16_e32 vcc, 27, v2
	s_cbranch_vccz .LBB48_3120
; %bb.3119:
	v_lshlrev_b32_e32 v3, 16, v12
	v_cvt_u32_f32_e32 v3, v3
	s_mov_b64 s[6:7], 0
	global_store_dword v[0:1], v3, off
.LBB48_3120:
	s_andn2_b64 vcc, exec, s[6:7]
	s_cbranch_vccnz .LBB48_3122
; %bb.3121:
	v_lshlrev_b32_e32 v3, 16, v12
	v_cvt_u32_f32_e32 v3, v3
	global_store_short v[0:1], v3, off
.LBB48_3122:
	s_mov_b64 s[6:7], 0
.LBB48_3123:
	s_andn2_b64 vcc, exec, s[6:7]
	s_cbranch_vccnz .LBB48_3131
; %bb.3124:
	v_lshlrev_b32_e32 v5, 16, v12
	v_and_b32_e32 v4, 0x7fffffff, v5
	s_mov_b32 s6, 0x43800000
	v_cmp_gt_u32_e32 vcc, s6, v4
	v_mov_b32_e32 v6, 0x80
	s_and_saveexec_b64 s[6:7], vcc
	s_cbranch_execz .LBB48_3130
; %bb.3125:
	s_mov_b32 s8, 0x3bffffff
	v_and_b32_e32 v3, 0xffff, v12
	v_cmp_lt_u32_e32 vcc, s8, v4
	s_mov_b64 s[8:9], 0
                                        ; implicit-def: $vgpr4
	s_and_saveexec_b64 s[10:11], vcc
	s_xor_b64 s[10:11], exec, s[10:11]
	s_cbranch_execz .LBB48_3181
; %bb.3126:
	v_bfe_u32 v4, v3, 4, 1
	s_mov_b32 s16, 0x487ffff
	v_add3_u32 v4, v5, v4, s16
	s_mov_b64 s[8:9], exec
	v_lshrrev_b32_e32 v4, 20, v4
                                        ; implicit-def: $vgpr5
	s_or_saveexec_b64 s[10:11], s[10:11]
                                        ; implicit-def: $sgpr16
	s_xor_b64 exec, exec, s[10:11]
	s_cbranch_execnz .LBB48_3182
.LBB48_3127:
	s_or_b64 exec, exec, s[10:11]
	v_mov_b32_e32 v6, s16
	s_and_saveexec_b64 s[10:11], s[8:9]
.LBB48_3128:
	v_lshrrev_b32_e32 v3, 8, v3
	s_movk_i32 s8, 0x80
	v_and_or_b32 v6, v3, s8, v4
.LBB48_3129:
	s_or_b64 exec, exec, s[10:11]
.LBB48_3130:
	s_or_b64 exec, exec, s[6:7]
	global_store_byte v[0:1], v6, off
.LBB48_3131:
	s_mov_b64 s[6:7], 0
.LBB48_3132:
	s_and_b64 vcc, exec, s[6:7]
	s_cbranch_vccz .LBB48_3172
; %bb.3133:
	v_cmp_lt_i16_e32 vcc, 22, v2
	s_mov_b64 s[2:3], -1
	s_cbranch_vccz .LBB48_3165
; %bb.3134:
	v_cmp_gt_i16_e32 vcc, 24, v2
	s_cbranch_vccnz .LBB48_3154
; %bb.3135:
	v_cmp_lt_i16_e32 vcc, 24, v2
	s_cbranch_vccz .LBB48_3143
; %bb.3136:
	v_lshlrev_b32_e32 v5, 16, v12
	v_and_b32_e32 v4, 0x7fffffff, v5
	s_mov_b32 s2, 0x47800000
	v_cmp_gt_u32_e32 vcc, s2, v4
	v_mov_b32_e32 v6, 0x80
	s_and_saveexec_b64 s[2:3], vcc
	s_cbranch_execz .LBB48_3142
; %bb.3137:
	s_mov_b32 s6, 0x37ffffff
	v_and_b32_e32 v3, 0xffff, v12
	v_cmp_lt_u32_e32 vcc, s6, v4
	s_mov_b64 s[6:7], 0
                                        ; implicit-def: $vgpr4
	s_and_saveexec_b64 s[8:9], vcc
	s_xor_b64 s[8:9], exec, s[8:9]
	s_cbranch_execz .LBB48_3184
; %bb.3138:
	v_bfe_u32 v4, v3, 5, 1
	s_mov_b32 s10, 0x88fffff
	v_add3_u32 v4, v5, v4, s10
	s_mov_b64 s[6:7], exec
	v_lshrrev_b32_e32 v4, 21, v4
                                        ; implicit-def: $vgpr5
	s_or_saveexec_b64 s[8:9], s[8:9]
                                        ; implicit-def: $sgpr10
	s_xor_b64 exec, exec, s[8:9]
	s_cbranch_execnz .LBB48_3185
.LBB48_3139:
	s_or_b64 exec, exec, s[8:9]
	v_mov_b32_e32 v6, s10
	s_and_saveexec_b64 s[8:9], s[6:7]
.LBB48_3140:
	v_lshrrev_b32_e32 v3, 8, v3
	s_movk_i32 s6, 0x80
	v_and_or_b32 v6, v3, s6, v4
.LBB48_3141:
	s_or_b64 exec, exec, s[8:9]
.LBB48_3142:
	s_or_b64 exec, exec, s[2:3]
	s_mov_b64 s[2:3], 0
	global_store_byte v[0:1], v6, off
.LBB48_3143:
	s_and_b64 vcc, exec, s[2:3]
	s_cbranch_vccz .LBB48_3153
; %bb.3144:
	v_lshlrev_b32_e32 v5, 16, v12
	v_and_b32_e32 v6, 0x7fffffff, v5
	s_mov_b32 s2, 0x43f00000
	v_and_b32_e32 v3, 0xffff, v12
	v_cmp_gt_u32_e32 vcc, s2, v6
                                        ; implicit-def: $vgpr4
	s_and_saveexec_b64 s[2:3], vcc
	s_xor_b64 s[2:3], exec, s[2:3]
	s_cbranch_execz .LBB48_3150
; %bb.3145:
	s_mov_b32 s6, 0x3c7fffff
	v_cmp_lt_u32_e32 vcc, s6, v6
                                        ; implicit-def: $vgpr4
	s_and_saveexec_b64 s[6:7], vcc
	s_xor_b64 s[6:7], exec, s[6:7]
; %bb.3146:
	v_bfe_u32 v4, v3, 4, 1
	s_mov_b32 s8, 0x407ffff
	v_add3_u32 v4, v5, v4, s8
	v_lshrrev_b32_e32 v5, 20, v4
	v_and_b32_e32 v4, 0xff00000, v4
	s_mov_b32 s8, 0x7f00000
	v_mov_b32_e32 v6, 0x7e
	v_cmp_ne_u32_e32 vcc, s8, v4
	v_cndmask_b32_e32 v4, v6, v5, vcc
                                        ; implicit-def: $vgpr5
; %bb.3147:
	s_andn2_saveexec_b64 s[6:7], s[6:7]
; %bb.3148:
	s_mov_b32 s8, 0x46800000
	v_add_f32_e64 v4, |v5|, s8
; %bb.3149:
	s_or_b64 exec, exec, s[6:7]
                                        ; implicit-def: $vgpr6
.LBB48_3150:
	s_andn2_saveexec_b64 s[2:3], s[2:3]
; %bb.3151:
	s_mov_b32 s6, 0x7f800000
	v_mov_b32_e32 v4, 0x7e
	v_mov_b32_e32 v5, 0x7f
	v_cmp_lt_u32_e32 vcc, s6, v6
	v_cndmask_b32_e32 v4, v4, v5, vcc
; %bb.3152:
	s_or_b64 exec, exec, s[2:3]
	v_lshrrev_b32_e32 v3, 8, v3
	s_movk_i32 s2, 0x80
	v_and_or_b32 v3, v3, s2, v4
	global_store_byte v[0:1], v3, off
.LBB48_3153:
	s_mov_b64 s[2:3], 0
.LBB48_3154:
	s_andn2_b64 vcc, exec, s[2:3]
	s_cbranch_vccnz .LBB48_3164
; %bb.3155:
	v_lshlrev_b32_e32 v5, 16, v12
	v_and_b32_e32 v6, 0x7fffffff, v5
	s_mov_b32 s2, 0x47800000
	v_and_b32_e32 v3, 0xffff, v12
	v_cmp_gt_u32_e32 vcc, s2, v6
                                        ; implicit-def: $vgpr4
	s_and_saveexec_b64 s[2:3], vcc
	s_xor_b64 s[2:3], exec, s[2:3]
	s_cbranch_execz .LBB48_3161
; %bb.3156:
	s_mov_b32 s6, 0x387fffff
	v_cmp_lt_u32_e32 vcc, s6, v6
                                        ; implicit-def: $vgpr4
	s_and_saveexec_b64 s[6:7], vcc
	s_xor_b64 s[6:7], exec, s[6:7]
; %bb.3157:
	v_bfe_u32 v4, v3, 5, 1
	s_mov_b32 s8, 0x80fffff
	v_add3_u32 v4, v5, v4, s8
	v_lshrrev_b32_e32 v4, 21, v4
                                        ; implicit-def: $vgpr5
; %bb.3158:
	s_andn2_saveexec_b64 s[6:7], s[6:7]
; %bb.3159:
	s_mov_b32 s8, 0x43000000
	v_add_f32_e64 v4, |v5|, s8
; %bb.3160:
	s_or_b64 exec, exec, s[6:7]
                                        ; implicit-def: $vgpr6
.LBB48_3161:
	s_andn2_saveexec_b64 s[2:3], s[2:3]
; %bb.3162:
	s_mov_b32 s6, 0x7f800000
	v_mov_b32_e32 v4, 0x7c
	v_mov_b32_e32 v5, 0x7f
	v_cmp_lt_u32_e32 vcc, s6, v6
	v_cndmask_b32_e32 v4, v4, v5, vcc
; %bb.3163:
	s_or_b64 exec, exec, s[2:3]
	v_lshrrev_b32_e32 v3, 8, v3
	s_movk_i32 s2, 0x80
	v_and_or_b32 v3, v3, s2, v4
	global_store_byte v[0:1], v3, off
.LBB48_3164:
	s_mov_b64 s[2:3], 0
.LBB48_3165:
	s_andn2_b64 vcc, exec, s[2:3]
	s_mov_b64 s[2:3], 0
	s_cbranch_vccnz .LBB48_3172
; %bb.3166:
	v_cmp_lt_i16_e32 vcc, 14, v2
	s_mov_b64 s[6:7], -1
	s_cbranch_vccz .LBB48_3170
; %bb.3167:
	v_cmp_eq_u16_e32 vcc, 15, v2
	s_mov_b64 s[0:1], -1
	s_cbranch_vccz .LBB48_3169
; %bb.3168:
	global_store_short v[0:1], v12, off
	s_mov_b64 s[0:1], 0
.LBB48_3169:
	s_mov_b64 s[6:7], 0
.LBB48_3170:
	s_and_b64 vcc, exec, s[6:7]
	s_cbranch_vccz .LBB48_3172
; %bb.3171:
	v_cmp_ne_u16_e64 s[0:1], 11, v2
	s_mov_b64 s[2:3], -1
.LBB48_3172:
	s_and_b64 vcc, exec, s[0:1]
	s_cbranch_vccnz .LBB48_3183
.LBB48_3173:
	s_mov_b64 s[0:1], 0
	s_branch .LBB48_2684
.LBB48_3174:
	s_mov_b64 s[0:1], 0
                                        ; implicit-def: $vgpr0_vgpr1
                                        ; implicit-def: $vgpr2
	s_branch .LBB48_2683
.LBB48_3175:
	s_mov_b64 s[2:3], 0
	s_mov_b64 s[0:1], -1
	s_branch .LBB48_2684
.LBB48_3176:
	s_or_saveexec_b64 s[16:17], s[16:17]
                                        ; implicit-def: $sgpr19
	s_xor_b64 exec, exec, s[16:17]
	s_cbranch_execz .LBB48_3008
.LBB48_3177:
	s_mov_b32 s19, 0x46000000
	v_add_f32_e64 v4, |v5|, s19
	v_and_b32_e32 v4, 0xff, v4
	v_cmp_ne_u32_e32 vcc, 0, v4
	s_andn2_b64 s[10:11], s[10:11], exec
	s_and_b64 s[20:21], vcc, exec
	s_mov_b32 s19, 0
	s_or_b64 s[10:11], s[10:11], s[20:21]
	s_or_b64 exec, exec, s[16:17]
	v_mov_b32_e32 v6, s19
	s_and_saveexec_b64 s[16:17], s[10:11]
	s_cbranch_execnz .LBB48_3009
	s_branch .LBB48_3010
.LBB48_3178:
	s_trap 2
	s_or_b64 s[4:5], s[4:5], exec
	s_cbranch_execz .LBB48_3056
	s_branch .LBB48_3057
.LBB48_3179:
	s_or_saveexec_b64 s[10:11], s[10:11]
                                        ; implicit-def: $sgpr16
	s_xor_b64 exec, exec, s[10:11]
	s_cbranch_execz .LBB48_3021
.LBB48_3180:
	s_mov_b32 s16, 0x42800000
	v_add_f32_e64 v4, |v5|, s16
	v_and_b32_e32 v4, 0xff, v4
	v_cmp_ne_u32_e32 vcc, 0, v4
	s_andn2_b64 s[6:7], s[6:7], exec
	s_and_b64 s[20:21], vcc, exec
	s_mov_b32 s16, 0
	s_or_b64 s[6:7], s[6:7], s[20:21]
	s_or_b64 exec, exec, s[10:11]
	v_mov_b32_e32 v6, s16
	s_and_saveexec_b64 s[10:11], s[6:7]
	s_cbranch_execnz .LBB48_3022
	s_branch .LBB48_3023
.LBB48_3181:
	s_or_saveexec_b64 s[10:11], s[10:11]
                                        ; implicit-def: $sgpr16
	s_xor_b64 exec, exec, s[10:11]
	s_cbranch_execz .LBB48_3127
.LBB48_3182:
	s_mov_b32 s16, 0x46000000
	v_add_f32_e64 v4, |v5|, s16
	v_and_b32_e32 v4, 0xff, v4
	v_cmp_ne_u32_e32 vcc, 0, v4
	s_andn2_b64 s[8:9], s[8:9], exec
	s_and_b64 s[18:19], vcc, exec
	s_mov_b32 s16, 0
	s_or_b64 s[8:9], s[8:9], s[18:19]
	s_or_b64 exec, exec, s[10:11]
	v_mov_b32_e32 v6, s16
	s_and_saveexec_b64 s[10:11], s[8:9]
	s_cbranch_execnz .LBB48_3128
	s_branch .LBB48_3129
.LBB48_3183:
	s_mov_b64 s[2:3], 0
	s_or_b64 s[4:5], s[4:5], exec
	s_trap 2
	s_branch .LBB48_3173
.LBB48_3184:
	s_or_saveexec_b64 s[8:9], s[8:9]
                                        ; implicit-def: $sgpr10
	s_xor_b64 exec, exec, s[8:9]
	s_cbranch_execz .LBB48_3139
.LBB48_3185:
	s_mov_b32 s10, 0x42800000
	v_add_f32_e64 v4, |v5|, s10
	v_and_b32_e32 v4, 0xff, v4
	v_cmp_ne_u32_e32 vcc, 0, v4
	s_andn2_b64 s[6:7], s[6:7], exec
	s_and_b64 s[16:17], vcc, exec
	s_mov_b32 s10, 0
	s_or_b64 s[6:7], s[6:7], s[16:17]
	s_or_b64 exec, exec, s[8:9]
	v_mov_b32_e32 v6, s10
	s_and_saveexec_b64 s[8:9], s[6:7]
	s_cbranch_execnz .LBB48_3140
	s_branch .LBB48_3141
	.section	.rodata,"a",@progbits
	.p2align	6, 0x0
	.amdhsa_kernel _ZN2at6native32elementwise_kernel_manual_unrollILi128ELi4EZNS0_15gpu_kernel_implIZZZNS0_12prelu_kernelERNS_14TensorIteratorEENKUlvE_clEvENKUlvE1_clEvEUlN3c108BFloat16ES8_E_EEvRNS_18TensorIteratorBaseERKT_EUlibE0_EEviT1_
		.amdhsa_group_segment_fixed_size 0
		.amdhsa_private_segment_fixed_size 0
		.amdhsa_kernarg_size 432
		.amdhsa_user_sgpr_count 6
		.amdhsa_user_sgpr_private_segment_buffer 1
		.amdhsa_user_sgpr_dispatch_ptr 0
		.amdhsa_user_sgpr_queue_ptr 0
		.amdhsa_user_sgpr_kernarg_segment_ptr 1
		.amdhsa_user_sgpr_dispatch_id 0
		.amdhsa_user_sgpr_flat_scratch_init 0
		.amdhsa_user_sgpr_kernarg_preload_length 0
		.amdhsa_user_sgpr_kernarg_preload_offset 0
		.amdhsa_user_sgpr_private_segment_size 0
		.amdhsa_uses_dynamic_stack 0
		.amdhsa_system_sgpr_private_segment_wavefront_offset 0
		.amdhsa_system_sgpr_workgroup_id_x 1
		.amdhsa_system_sgpr_workgroup_id_y 0
		.amdhsa_system_sgpr_workgroup_id_z 0
		.amdhsa_system_sgpr_workgroup_info 0
		.amdhsa_system_vgpr_workitem_id 0
		.amdhsa_next_free_vgpr 26
		.amdhsa_next_free_sgpr 78
		.amdhsa_accum_offset 28
		.amdhsa_reserve_vcc 1
		.amdhsa_reserve_flat_scratch 0
		.amdhsa_float_round_mode_32 0
		.amdhsa_float_round_mode_16_64 0
		.amdhsa_float_denorm_mode_32 3
		.amdhsa_float_denorm_mode_16_64 3
		.amdhsa_dx10_clamp 1
		.amdhsa_ieee_mode 1
		.amdhsa_fp16_overflow 0
		.amdhsa_tg_split 0
		.amdhsa_exception_fp_ieee_invalid_op 0
		.amdhsa_exception_fp_denorm_src 0
		.amdhsa_exception_fp_ieee_div_zero 0
		.amdhsa_exception_fp_ieee_overflow 0
		.amdhsa_exception_fp_ieee_underflow 0
		.amdhsa_exception_fp_ieee_inexact 0
		.amdhsa_exception_int_div_zero 0
	.end_amdhsa_kernel
	.section	.text._ZN2at6native32elementwise_kernel_manual_unrollILi128ELi4EZNS0_15gpu_kernel_implIZZZNS0_12prelu_kernelERNS_14TensorIteratorEENKUlvE_clEvENKUlvE1_clEvEUlN3c108BFloat16ES8_E_EEvRNS_18TensorIteratorBaseERKT_EUlibE0_EEviT1_,"axG",@progbits,_ZN2at6native32elementwise_kernel_manual_unrollILi128ELi4EZNS0_15gpu_kernel_implIZZZNS0_12prelu_kernelERNS_14TensorIteratorEENKUlvE_clEvENKUlvE1_clEvEUlN3c108BFloat16ES8_E_EEvRNS_18TensorIteratorBaseERKT_EUlibE0_EEviT1_,comdat
.Lfunc_end48:
	.size	_ZN2at6native32elementwise_kernel_manual_unrollILi128ELi4EZNS0_15gpu_kernel_implIZZZNS0_12prelu_kernelERNS_14TensorIteratorEENKUlvE_clEvENKUlvE1_clEvEUlN3c108BFloat16ES8_E_EEvRNS_18TensorIteratorBaseERKT_EUlibE0_EEviT1_, .Lfunc_end48-_ZN2at6native32elementwise_kernel_manual_unrollILi128ELi4EZNS0_15gpu_kernel_implIZZZNS0_12prelu_kernelERNS_14TensorIteratorEENKUlvE_clEvENKUlvE1_clEvEUlN3c108BFloat16ES8_E_EEvRNS_18TensorIteratorBaseERKT_EUlibE0_EEviT1_
                                        ; -- End function
	.section	.AMDGPU.csdata,"",@progbits
; Kernel info:
; codeLenInByte = 68360
; NumSgprs: 82
; NumVgprs: 26
; NumAgprs: 0
; TotalNumVgprs: 26
; ScratchSize: 0
; MemoryBound: 0
; FloatMode: 240
; IeeeMode: 1
; LDSByteSize: 0 bytes/workgroup (compile time only)
; SGPRBlocks: 10
; VGPRBlocks: 3
; NumSGPRsForWavesPerEU: 82
; NumVGPRsForWavesPerEU: 26
; AccumOffset: 28
; Occupancy: 8
; WaveLimiterHint : 1
; COMPUTE_PGM_RSRC2:SCRATCH_EN: 0
; COMPUTE_PGM_RSRC2:USER_SGPR: 6
; COMPUTE_PGM_RSRC2:TRAP_HANDLER: 0
; COMPUTE_PGM_RSRC2:TGID_X_EN: 1
; COMPUTE_PGM_RSRC2:TGID_Y_EN: 0
; COMPUTE_PGM_RSRC2:TGID_Z_EN: 0
; COMPUTE_PGM_RSRC2:TIDIG_COMP_CNT: 0
; COMPUTE_PGM_RSRC3_GFX90A:ACCUM_OFFSET: 6
; COMPUTE_PGM_RSRC3_GFX90A:TG_SPLIT: 0
	.section	.text._ZN2at6native29vectorized_elementwise_kernelILi16EZZZNS0_12prelu_kernelERNS_14TensorIteratorEENKUlvE_clEvENKUlvE2_clEvEUlN3c104HalfES7_E_St5arrayIPcLm3EEEEviT0_T1_,"axG",@progbits,_ZN2at6native29vectorized_elementwise_kernelILi16EZZZNS0_12prelu_kernelERNS_14TensorIteratorEENKUlvE_clEvENKUlvE2_clEvEUlN3c104HalfES7_E_St5arrayIPcLm3EEEEviT0_T1_,comdat
	.globl	_ZN2at6native29vectorized_elementwise_kernelILi16EZZZNS0_12prelu_kernelERNS_14TensorIteratorEENKUlvE_clEvENKUlvE2_clEvEUlN3c104HalfES7_E_St5arrayIPcLm3EEEEviT0_T1_ ; -- Begin function _ZN2at6native29vectorized_elementwise_kernelILi16EZZZNS0_12prelu_kernelERNS_14TensorIteratorEENKUlvE_clEvENKUlvE2_clEvEUlN3c104HalfES7_E_St5arrayIPcLm3EEEEviT0_T1_
	.p2align	8
	.type	_ZN2at6native29vectorized_elementwise_kernelILi16EZZZNS0_12prelu_kernelERNS_14TensorIteratorEENKUlvE_clEvENKUlvE2_clEvEUlN3c104HalfES7_E_St5arrayIPcLm3EEEEviT0_T1_,@function
_ZN2at6native29vectorized_elementwise_kernelILi16EZZZNS0_12prelu_kernelERNS_14TensorIteratorEENKUlvE_clEvENKUlvE2_clEvEUlN3c104HalfES7_E_St5arrayIPcLm3EEEEviT0_T1_: ; @_ZN2at6native29vectorized_elementwise_kernelILi16EZZZNS0_12prelu_kernelERNS_14TensorIteratorEENKUlvE_clEvENKUlvE2_clEvEUlN3c104HalfES7_E_St5arrayIPcLm3EEEEviT0_T1_
; %bb.0:
	s_load_dword s0, s[4:5], 0x0
	s_load_dwordx4 s[8:11], s[4:5], 0x8
	s_load_dwordx2 s[12:13], s[4:5], 0x18
	s_lshl_b32 s2, s6, 11
	s_waitcnt lgkmcnt(0)
	s_sub_i32 s6, s0, s2
	s_cmpk_gt_i32 s6, 0x7ff
	s_mov_b64 s[0:1], -1
	s_cbranch_scc0 .LBB49_2
; %bb.1:
	s_ashr_i32 s3, s2, 31
	s_lshl_b64 s[0:1], s[2:3], 1
	s_add_u32 s4, s10, s0
	s_addc_u32 s5, s11, s1
	v_lshlrev_b32_e32 v1, 4, v0
	global_load_dwordx4 v[2:5], v1, s[4:5]
	s_add_u32 s4, s12, s0
	s_addc_u32 s5, s13, s1
	global_load_dwordx4 v[6:9], v1, s[4:5]
	s_mov_b32 s3, 0x5040100
	s_add_u32 s0, s8, s0
	s_addc_u32 s1, s9, s1
	s_waitcnt vmcnt(1)
	v_cmp_lt_f16_e32 vcc, 0, v2
	v_lshrrev_b32_e32 v11, 16, v2
	v_lshrrev_b32_e32 v10, 16, v3
	s_waitcnt vmcnt(0)
	v_pk_mul_f16 v6, v6, v2
	v_pk_mul_f16 v7, v7, v3
	v_cndmask_b32_e32 v2, v6, v2, vcc
	v_cmp_lt_f16_e32 vcc, 0, v3
	v_pk_mul_f16 v8, v8, v4
	v_cndmask_b32_e32 v3, v7, v3, vcc
	v_cmp_lt_f16_e32 vcc, 0, v4
	v_lshrrev_b32_e32 v13, 16, v4
	v_pk_mul_f16 v9, v9, v5
	v_cndmask_b32_e32 v4, v8, v4, vcc
	v_cmp_lt_f16_e32 vcc, 0, v5
	v_lshrrev_b32_e32 v12, 16, v5
	v_lshrrev_b32_e32 v6, 16, v6
	v_cndmask_b32_e32 v5, v9, v5, vcc
	v_cmp_lt_f16_e32 vcc, 0, v11
	v_lshrrev_b32_e32 v7, 16, v7
	v_cndmask_b32_e32 v6, v6, v11, vcc
	v_cmp_lt_f16_e32 vcc, 0, v10
	;; [unrolled: 3-line block ×4, first 2 shown]
	v_cndmask_b32_e32 v9, v9, v12, vcc
	v_perm_b32 v5, v9, v5, s3
	v_perm_b32 v4, v8, v4, s3
	;; [unrolled: 1-line block ×4, first 2 shown]
	global_store_dwordx4 v1, v[2:5], s[0:1]
	s_mov_b64 s[0:1], 0
.LBB49_2:
	s_andn2_b64 vcc, exec, s[0:1]
	s_cbranch_vccnz .LBB49_27
; %bb.3:
	v_cmp_gt_i32_e32 vcc, s6, v0
	v_mov_b32_e32 v4, 0
	v_mov_b32_e32 v1, 0
	v_or_b32_e32 v2, s2, v0
	v_mov_b32_e32 v5, 0
	v_mov_b32_e32 v3, v0
	s_and_saveexec_b64 s[4:5], vcc
	s_cbranch_execz .LBB49_5
; %bb.4:
	v_mov_b32_e32 v3, 0
	v_lshlrev_b64 v[4:5], 1, v[2:3]
	v_mov_b32_e32 v3, s13
	v_add_co_u32_e64 v6, s[0:1], s12, v4
	v_addc_co_u32_e64 v7, s[0:1], v3, v5, s[0:1]
	v_mov_b32_e32 v3, s11
	v_add_co_u32_e64 v8, s[0:1], s10, v4
	v_addc_co_u32_e64 v9, s[0:1], v3, v5, s[0:1]
	global_load_ushort v4, v[8:9], off
	global_load_ushort v5, v[6:7], off
	v_or_b32_e32 v3, 0x100, v0
.LBB49_5:
	s_or_b64 exec, exec, s[4:5]
	v_cmp_gt_i32_e64 s[0:1], s6, v3
	v_mov_b32_e32 v7, 0
	s_and_saveexec_b64 s[4:5], s[0:1]
	s_cbranch_execz .LBB49_7
; %bb.6:
	v_add_u32_e32 v6, s2, v3
	v_mov_b32_e32 v7, 0
	v_lshlrev_b64 v[6:7], 1, v[6:7]
	v_mov_b32_e32 v1, s13
	v_add_co_u32_e64 v8, s[0:1], s12, v6
	v_addc_co_u32_e64 v9, s[0:1], v1, v7, s[0:1]
	v_mov_b32_e32 v1, s11
	v_add_co_u32_e64 v10, s[0:1], s10, v6
	v_addc_co_u32_e64 v11, s[0:1], v1, v7, s[0:1]
	global_load_ushort v1, v[10:11], off
	global_load_ushort v7, v[8:9], off
	v_add_u32_e32 v3, 0x100, v3
.LBB49_7:
	s_or_b64 exec, exec, s[4:5]
	v_cmp_gt_i32_e64 s[0:1], s6, v3
	v_mov_b32_e32 v9, 0
	v_mov_b32_e32 v6, 0
	v_mov_b32_e32 v10, 0
	s_and_saveexec_b64 s[4:5], s[0:1]
	s_cbranch_execz .LBB49_9
; %bb.8:
	v_add_u32_e32 v8, s2, v3
	v_mov_b32_e32 v9, 0
	v_lshlrev_b64 v[8:9], 1, v[8:9]
	v_mov_b32_e32 v10, s13
	v_add_co_u32_e64 v12, s[0:1], s12, v8
	v_addc_co_u32_e64 v13, s[0:1], v10, v9, s[0:1]
	v_mov_b32_e32 v10, s11
	v_add_co_u32_e64 v14, s[0:1], s10, v8
	v_addc_co_u32_e64 v15, s[0:1], v10, v9, s[0:1]
	global_load_ushort v9, v[14:15], off
	global_load_ushort v10, v[12:13], off
	v_add_u32_e32 v3, 0x100, v3
.LBB49_9:
	s_or_b64 exec, exec, s[4:5]
	v_cmp_gt_i32_e64 s[0:1], s6, v3
	v_mov_b32_e32 v11, 0
	s_and_saveexec_b64 s[4:5], s[0:1]
	s_cbranch_execz .LBB49_11
; %bb.10:
	v_add_u32_e32 v12, s2, v3
	v_mov_b32_e32 v13, 0
	v_lshlrev_b64 v[12:13], 1, v[12:13]
	v_mov_b32_e32 v6, s13
	v_add_co_u32_e64 v14, s[0:1], s12, v12
	v_addc_co_u32_e64 v15, s[0:1], v6, v13, s[0:1]
	v_mov_b32_e32 v6, s11
	v_add_co_u32_e64 v12, s[0:1], s10, v12
	v_addc_co_u32_e64 v13, s[0:1], v6, v13, s[0:1]
	global_load_ushort v6, v[12:13], off
	global_load_ushort v11, v[14:15], off
	v_add_u32_e32 v3, 0x100, v3
.LBB49_11:
	s_or_b64 exec, exec, s[4:5]
	v_cmp_gt_i32_e64 s[0:1], s6, v3
	v_mov_b32_e32 v13, 0
	v_mov_b32_e32 v8, 0
	v_mov_b32_e32 v14, 0
	s_and_saveexec_b64 s[4:5], s[0:1]
	s_cbranch_execz .LBB49_13
; %bb.12:
	v_add_u32_e32 v12, s2, v3
	v_mov_b32_e32 v13, 0
	v_lshlrev_b64 v[12:13], 1, v[12:13]
	v_mov_b32_e32 v14, s13
	v_add_co_u32_e64 v16, s[0:1], s12, v12
	v_addc_co_u32_e64 v17, s[0:1], v14, v13, s[0:1]
	v_mov_b32_e32 v14, s11
	v_add_co_u32_e64 v18, s[0:1], s10, v12
	v_addc_co_u32_e64 v19, s[0:1], v14, v13, s[0:1]
	global_load_ushort v13, v[18:19], off
	global_load_ushort v14, v[16:17], off
	v_add_u32_e32 v3, 0x100, v3
.LBB49_13:
	;; [unrolled: 40-line block ×3, first 2 shown]
	s_or_b64 exec, exec, s[4:5]
	v_cmp_gt_i32_e64 s[0:1], s6, v3
	v_mov_b32_e32 v18, 0
	s_and_saveexec_b64 s[4:5], s[0:1]
	s_cbranch_execnz .LBB49_28
; %bb.18:
	s_or_b64 exec, exec, s[4:5]
	s_and_saveexec_b64 s[0:1], vcc
	s_cbranch_execnz .LBB49_29
.LBB49_19:
	s_or_b64 exec, exec, s[0:1]
	v_cmp_gt_i32_e32 vcc, s6, v0
	s_and_saveexec_b64 s[0:1], vcc
	s_cbranch_execnz .LBB49_30
.LBB49_20:
	s_or_b64 exec, exec, s[0:1]
	v_cmp_gt_i32_e32 vcc, s6, v0
	s_and_saveexec_b64 s[0:1], vcc
	s_cbranch_execnz .LBB49_31
.LBB49_21:
	s_or_b64 exec, exec, s[0:1]
	v_cmp_gt_i32_e32 vcc, s6, v0
	s_and_saveexec_b64 s[0:1], vcc
	s_cbranch_execnz .LBB49_32
.LBB49_22:
	s_or_b64 exec, exec, s[0:1]
	v_cmp_gt_i32_e32 vcc, s6, v0
	s_and_saveexec_b64 s[0:1], vcc
	s_cbranch_execnz .LBB49_33
.LBB49_23:
	s_or_b64 exec, exec, s[0:1]
	v_cmp_gt_i32_e32 vcc, s6, v0
	s_and_saveexec_b64 s[0:1], vcc
	s_cbranch_execnz .LBB49_34
.LBB49_24:
	s_or_b64 exec, exec, s[0:1]
	v_cmp_gt_i32_e32 vcc, s6, v0
	s_and_saveexec_b64 s[0:1], vcc
	s_cbranch_execnz .LBB49_35
.LBB49_25:
	s_or_b64 exec, exec, s[0:1]
	v_cmp_gt_i32_e32 vcc, s6, v0
	s_and_saveexec_b64 s[0:1], vcc
	s_cbranch_execz .LBB49_27
.LBB49_26:
	s_waitcnt vmcnt(0)
	v_mul_f16_e32 v1, v18, v12
	v_cmp_lt_f16_e32 vcc, 0, v12
	v_cndmask_b32_e32 v2, v1, v12, vcc
	v_add_u32_e32 v0, s2, v0
	v_mov_b32_e32 v1, 0
	v_lshlrev_b64 v[0:1], 1, v[0:1]
	v_mov_b32_e32 v3, s9
	v_add_co_u32_e32 v0, vcc, s8, v0
	v_addc_co_u32_e32 v1, vcc, v3, v1, vcc
	global_store_short v[0:1], v2, off
.LBB49_27:
	s_endpgm
.LBB49_28:
	v_add_u32_e32 v18, s2, v3
	v_mov_b32_e32 v19, 0
	v_lshlrev_b64 v[18:19], 1, v[18:19]
	v_mov_b32_e32 v3, s13
	v_add_co_u32_e64 v20, s[0:1], s12, v18
	v_addc_co_u32_e64 v21, s[0:1], v3, v19, s[0:1]
	v_mov_b32_e32 v3, s11
	v_add_co_u32_e64 v22, s[0:1], s10, v18
	v_addc_co_u32_e64 v23, s[0:1], v3, v19, s[0:1]
	global_load_ushort v12, v[22:23], off
	global_load_ushort v18, v[20:21], off
	s_or_b64 exec, exec, s[4:5]
	s_and_saveexec_b64 s[0:1], vcc
	s_cbranch_execz .LBB49_19
.LBB49_29:
	v_mov_b32_e32 v3, 0
	v_lshlrev_b64 v[2:3], 1, v[2:3]
	v_mov_b32_e32 v19, s9
	v_add_co_u32_e32 v2, vcc, s8, v2
	v_addc_co_u32_e32 v3, vcc, v19, v3, vcc
	s_waitcnt vmcnt(0)
	v_mul_f16_e32 v5, v5, v4
	v_cmp_lt_f16_e32 vcc, 0, v4
	v_or_b32_e32 v0, 0x100, v0
	v_cndmask_b32_e32 v4, v5, v4, vcc
	global_store_short v[2:3], v4, off
	s_or_b64 exec, exec, s[0:1]
	v_cmp_gt_i32_e32 vcc, s6, v0
	s_and_saveexec_b64 s[0:1], vcc
	s_cbranch_execz .LBB49_20
.LBB49_30:
	s_waitcnt vmcnt(0)
	v_mul_f16_e32 v2, v7, v1
	v_cmp_lt_f16_e32 vcc, 0, v1
	v_cndmask_b32_e32 v1, v2, v1, vcc
	v_add_u32_e32 v2, s2, v0
	v_mov_b32_e32 v3, 0
	v_lshlrev_b64 v[2:3], 1, v[2:3]
	v_mov_b32_e32 v4, s9
	v_add_co_u32_e32 v2, vcc, s8, v2
	v_addc_co_u32_e32 v3, vcc, v4, v3, vcc
	v_add_u32_e32 v0, 0x100, v0
	global_store_short v[2:3], v1, off
	s_or_b64 exec, exec, s[0:1]
	v_cmp_gt_i32_e32 vcc, s6, v0
	s_and_saveexec_b64 s[0:1], vcc
	s_cbranch_execz .LBB49_21
.LBB49_31:
	v_add_u32_e32 v2, s2, v0
	v_mov_b32_e32 v3, 0
	s_waitcnt vmcnt(0)
	v_mul_f16_e32 v1, v10, v9
	v_cmp_lt_f16_e32 vcc, 0, v9
	v_lshlrev_b64 v[2:3], 1, v[2:3]
	v_cndmask_b32_e32 v1, v1, v9, vcc
	v_mov_b32_e32 v4, s9
	v_add_co_u32_e32 v2, vcc, s8, v2
	v_addc_co_u32_e32 v3, vcc, v4, v3, vcc
	v_add_u32_e32 v0, 0x100, v0
	global_store_short v[2:3], v1, off
	s_or_b64 exec, exec, s[0:1]
	v_cmp_gt_i32_e32 vcc, s6, v0
	s_and_saveexec_b64 s[0:1], vcc
	s_cbranch_execz .LBB49_22
.LBB49_32:
	v_add_u32_e32 v2, s2, v0
	v_mov_b32_e32 v3, 0
	s_waitcnt vmcnt(0)
	v_mul_f16_e32 v1, v11, v6
	v_cmp_lt_f16_e32 vcc, 0, v6
	v_lshlrev_b64 v[2:3], 1, v[2:3]
	v_cndmask_b32_e32 v1, v1, v6, vcc
	v_mov_b32_e32 v4, s9
	v_add_co_u32_e32 v2, vcc, s8, v2
	v_addc_co_u32_e32 v3, vcc, v4, v3, vcc
	v_add_u32_e32 v0, 0x100, v0
	global_store_short v[2:3], v1, off
	s_or_b64 exec, exec, s[0:1]
	v_cmp_gt_i32_e32 vcc, s6, v0
	s_and_saveexec_b64 s[0:1], vcc
	s_cbranch_execz .LBB49_23
.LBB49_33:
	v_add_u32_e32 v2, s2, v0
	v_mov_b32_e32 v3, 0
	s_waitcnt vmcnt(0)
	v_mul_f16_e32 v1, v14, v13
	v_cmp_lt_f16_e32 vcc, 0, v13
	v_lshlrev_b64 v[2:3], 1, v[2:3]
	v_cndmask_b32_e32 v1, v1, v13, vcc
	v_mov_b32_e32 v4, s9
	v_add_co_u32_e32 v2, vcc, s8, v2
	v_addc_co_u32_e32 v3, vcc, v4, v3, vcc
	v_add_u32_e32 v0, 0x100, v0
	global_store_short v[2:3], v1, off
	s_or_b64 exec, exec, s[0:1]
	v_cmp_gt_i32_e32 vcc, s6, v0
	s_and_saveexec_b64 s[0:1], vcc
	s_cbranch_execz .LBB49_24
.LBB49_34:
	v_add_u32_e32 v2, s2, v0
	v_mov_b32_e32 v3, 0
	s_waitcnt vmcnt(0)
	v_mul_f16_e32 v1, v15, v8
	v_cmp_lt_f16_e32 vcc, 0, v8
	v_lshlrev_b64 v[2:3], 1, v[2:3]
	v_cndmask_b32_e32 v1, v1, v8, vcc
	v_mov_b32_e32 v4, s9
	v_add_co_u32_e32 v2, vcc, s8, v2
	v_addc_co_u32_e32 v3, vcc, v4, v3, vcc
	v_add_u32_e32 v0, 0x100, v0
	global_store_short v[2:3], v1, off
	s_or_b64 exec, exec, s[0:1]
	v_cmp_gt_i32_e32 vcc, s6, v0
	s_and_saveexec_b64 s[0:1], vcc
	s_cbranch_execz .LBB49_25
.LBB49_35:
	v_add_u32_e32 v2, s2, v0
	v_mov_b32_e32 v3, 0
	s_waitcnt vmcnt(0)
	v_mul_f16_e32 v1, v17, v16
	v_cmp_lt_f16_e32 vcc, 0, v16
	v_lshlrev_b64 v[2:3], 1, v[2:3]
	v_cndmask_b32_e32 v1, v1, v16, vcc
	v_mov_b32_e32 v4, s9
	v_add_co_u32_e32 v2, vcc, s8, v2
	v_addc_co_u32_e32 v3, vcc, v4, v3, vcc
	v_add_u32_e32 v0, 0x100, v0
	global_store_short v[2:3], v1, off
	s_or_b64 exec, exec, s[0:1]
	v_cmp_gt_i32_e32 vcc, s6, v0
	s_and_saveexec_b64 s[0:1], vcc
	s_cbranch_execnz .LBB49_26
	s_branch .LBB49_27
	.section	.rodata,"a",@progbits
	.p2align	6, 0x0
	.amdhsa_kernel _ZN2at6native29vectorized_elementwise_kernelILi16EZZZNS0_12prelu_kernelERNS_14TensorIteratorEENKUlvE_clEvENKUlvE2_clEvEUlN3c104HalfES7_E_St5arrayIPcLm3EEEEviT0_T1_
		.amdhsa_group_segment_fixed_size 0
		.amdhsa_private_segment_fixed_size 0
		.amdhsa_kernarg_size 32
		.amdhsa_user_sgpr_count 6
		.amdhsa_user_sgpr_private_segment_buffer 1
		.amdhsa_user_sgpr_dispatch_ptr 0
		.amdhsa_user_sgpr_queue_ptr 0
		.amdhsa_user_sgpr_kernarg_segment_ptr 1
		.amdhsa_user_sgpr_dispatch_id 0
		.amdhsa_user_sgpr_flat_scratch_init 0
		.amdhsa_user_sgpr_kernarg_preload_length 0
		.amdhsa_user_sgpr_kernarg_preload_offset 0
		.amdhsa_user_sgpr_private_segment_size 0
		.amdhsa_uses_dynamic_stack 0
		.amdhsa_system_sgpr_private_segment_wavefront_offset 0
		.amdhsa_system_sgpr_workgroup_id_x 1
		.amdhsa_system_sgpr_workgroup_id_y 0
		.amdhsa_system_sgpr_workgroup_id_z 0
		.amdhsa_system_sgpr_workgroup_info 0
		.amdhsa_system_vgpr_workitem_id 0
		.amdhsa_next_free_vgpr 24
		.amdhsa_next_free_sgpr 14
		.amdhsa_accum_offset 24
		.amdhsa_reserve_vcc 1
		.amdhsa_reserve_flat_scratch 0
		.amdhsa_float_round_mode_32 0
		.amdhsa_float_round_mode_16_64 0
		.amdhsa_float_denorm_mode_32 3
		.amdhsa_float_denorm_mode_16_64 3
		.amdhsa_dx10_clamp 1
		.amdhsa_ieee_mode 1
		.amdhsa_fp16_overflow 0
		.amdhsa_tg_split 0
		.amdhsa_exception_fp_ieee_invalid_op 0
		.amdhsa_exception_fp_denorm_src 0
		.amdhsa_exception_fp_ieee_div_zero 0
		.amdhsa_exception_fp_ieee_overflow 0
		.amdhsa_exception_fp_ieee_underflow 0
		.amdhsa_exception_fp_ieee_inexact 0
		.amdhsa_exception_int_div_zero 0
	.end_amdhsa_kernel
	.section	.text._ZN2at6native29vectorized_elementwise_kernelILi16EZZZNS0_12prelu_kernelERNS_14TensorIteratorEENKUlvE_clEvENKUlvE2_clEvEUlN3c104HalfES7_E_St5arrayIPcLm3EEEEviT0_T1_,"axG",@progbits,_ZN2at6native29vectorized_elementwise_kernelILi16EZZZNS0_12prelu_kernelERNS_14TensorIteratorEENKUlvE_clEvENKUlvE2_clEvEUlN3c104HalfES7_E_St5arrayIPcLm3EEEEviT0_T1_,comdat
.Lfunc_end49:
	.size	_ZN2at6native29vectorized_elementwise_kernelILi16EZZZNS0_12prelu_kernelERNS_14TensorIteratorEENKUlvE_clEvENKUlvE2_clEvEUlN3c104HalfES7_E_St5arrayIPcLm3EEEEviT0_T1_, .Lfunc_end49-_ZN2at6native29vectorized_elementwise_kernelILi16EZZZNS0_12prelu_kernelERNS_14TensorIteratorEENKUlvE_clEvENKUlvE2_clEvEUlN3c104HalfES7_E_St5arrayIPcLm3EEEEviT0_T1_
                                        ; -- End function
	.section	.AMDGPU.csdata,"",@progbits
; Kernel info:
; codeLenInByte = 1872
; NumSgprs: 18
; NumVgprs: 24
; NumAgprs: 0
; TotalNumVgprs: 24
; ScratchSize: 0
; MemoryBound: 0
; FloatMode: 240
; IeeeMode: 1
; LDSByteSize: 0 bytes/workgroup (compile time only)
; SGPRBlocks: 2
; VGPRBlocks: 2
; NumSGPRsForWavesPerEU: 18
; NumVGPRsForWavesPerEU: 24
; AccumOffset: 24
; Occupancy: 8
; WaveLimiterHint : 0
; COMPUTE_PGM_RSRC2:SCRATCH_EN: 0
; COMPUTE_PGM_RSRC2:USER_SGPR: 6
; COMPUTE_PGM_RSRC2:TRAP_HANDLER: 0
; COMPUTE_PGM_RSRC2:TGID_X_EN: 1
; COMPUTE_PGM_RSRC2:TGID_Y_EN: 0
; COMPUTE_PGM_RSRC2:TGID_Z_EN: 0
; COMPUTE_PGM_RSRC2:TIDIG_COMP_CNT: 0
; COMPUTE_PGM_RSRC3_GFX90A:ACCUM_OFFSET: 5
; COMPUTE_PGM_RSRC3_GFX90A:TG_SPLIT: 0
	.section	.text._ZN2at6native29vectorized_elementwise_kernelILi8EZZZNS0_12prelu_kernelERNS_14TensorIteratorEENKUlvE_clEvENKUlvE2_clEvEUlN3c104HalfES7_E_St5arrayIPcLm3EEEEviT0_T1_,"axG",@progbits,_ZN2at6native29vectorized_elementwise_kernelILi8EZZZNS0_12prelu_kernelERNS_14TensorIteratorEENKUlvE_clEvENKUlvE2_clEvEUlN3c104HalfES7_E_St5arrayIPcLm3EEEEviT0_T1_,comdat
	.globl	_ZN2at6native29vectorized_elementwise_kernelILi8EZZZNS0_12prelu_kernelERNS_14TensorIteratorEENKUlvE_clEvENKUlvE2_clEvEUlN3c104HalfES7_E_St5arrayIPcLm3EEEEviT0_T1_ ; -- Begin function _ZN2at6native29vectorized_elementwise_kernelILi8EZZZNS0_12prelu_kernelERNS_14TensorIteratorEENKUlvE_clEvENKUlvE2_clEvEUlN3c104HalfES7_E_St5arrayIPcLm3EEEEviT0_T1_
	.p2align	8
	.type	_ZN2at6native29vectorized_elementwise_kernelILi8EZZZNS0_12prelu_kernelERNS_14TensorIteratorEENKUlvE_clEvENKUlvE2_clEvEUlN3c104HalfES7_E_St5arrayIPcLm3EEEEviT0_T1_,@function
_ZN2at6native29vectorized_elementwise_kernelILi8EZZZNS0_12prelu_kernelERNS_14TensorIteratorEENKUlvE_clEvENKUlvE2_clEvEUlN3c104HalfES7_E_St5arrayIPcLm3EEEEviT0_T1_: ; @_ZN2at6native29vectorized_elementwise_kernelILi8EZZZNS0_12prelu_kernelERNS_14TensorIteratorEENKUlvE_clEvENKUlvE2_clEvEUlN3c104HalfES7_E_St5arrayIPcLm3EEEEviT0_T1_
; %bb.0:
	s_load_dword s0, s[4:5], 0x0
	s_load_dwordx4 s[8:11], s[4:5], 0x8
	s_load_dwordx2 s[12:13], s[4:5], 0x18
	s_lshl_b32 s2, s6, 11
	s_waitcnt lgkmcnt(0)
	s_sub_i32 s6, s0, s2
	s_cmpk_gt_i32 s6, 0x7ff
	s_mov_b64 s[0:1], -1
	s_cbranch_scc0 .LBB50_2
; %bb.1:
	s_ashr_i32 s3, s2, 31
	s_lshl_b64 s[0:1], s[2:3], 1
	s_add_u32 s4, s10, s0
	s_addc_u32 s5, s11, s1
	v_lshlrev_b32_e32 v1, 4, v0
	global_load_dwordx4 v[2:5], v1, s[4:5]
	s_add_u32 s4, s12, s0
	s_addc_u32 s5, s13, s1
	global_load_dwordx4 v[6:9], v1, s[4:5]
	s_mov_b32 s3, 0x5040100
	s_add_u32 s0, s8, s0
	s_addc_u32 s1, s9, s1
	s_waitcnt vmcnt(1)
	v_cmp_lt_f16_e32 vcc, 0, v2
	v_lshrrev_b32_e32 v11, 16, v2
	v_lshrrev_b32_e32 v10, 16, v3
	s_waitcnt vmcnt(0)
	v_pk_mul_f16 v6, v6, v2
	v_pk_mul_f16 v7, v7, v3
	v_cndmask_b32_e32 v2, v6, v2, vcc
	v_cmp_lt_f16_e32 vcc, 0, v3
	v_pk_mul_f16 v8, v8, v4
	v_cndmask_b32_e32 v3, v7, v3, vcc
	v_cmp_lt_f16_e32 vcc, 0, v4
	v_lshrrev_b32_e32 v13, 16, v4
	v_pk_mul_f16 v9, v9, v5
	v_cndmask_b32_e32 v4, v8, v4, vcc
	v_cmp_lt_f16_e32 vcc, 0, v5
	v_lshrrev_b32_e32 v12, 16, v5
	v_lshrrev_b32_e32 v6, 16, v6
	v_cndmask_b32_e32 v5, v9, v5, vcc
	v_cmp_lt_f16_e32 vcc, 0, v11
	v_lshrrev_b32_e32 v7, 16, v7
	v_cndmask_b32_e32 v6, v6, v11, vcc
	v_cmp_lt_f16_e32 vcc, 0, v10
	v_lshrrev_b32_e32 v8, 16, v8
	v_cndmask_b32_e32 v7, v7, v10, vcc
	v_cmp_lt_f16_e32 vcc, 0, v13
	v_lshrrev_b32_e32 v9, 16, v9
	v_cndmask_b32_e32 v8, v8, v13, vcc
	v_cmp_lt_f16_e32 vcc, 0, v12
	v_cndmask_b32_e32 v9, v9, v12, vcc
	v_perm_b32 v5, v9, v5, s3
	v_perm_b32 v4, v8, v4, s3
	;; [unrolled: 1-line block ×4, first 2 shown]
	global_store_dwordx4 v1, v[2:5], s[0:1]
	s_mov_b64 s[0:1], 0
.LBB50_2:
	s_andn2_b64 vcc, exec, s[0:1]
	s_cbranch_vccnz .LBB50_27
; %bb.3:
	v_cmp_gt_i32_e32 vcc, s6, v0
	v_mov_b32_e32 v4, 0
	v_mov_b32_e32 v1, 0
	v_or_b32_e32 v2, s2, v0
	v_mov_b32_e32 v5, 0
	v_mov_b32_e32 v3, v0
	s_and_saveexec_b64 s[4:5], vcc
	s_cbranch_execz .LBB50_5
; %bb.4:
	v_mov_b32_e32 v3, 0
	v_lshlrev_b64 v[4:5], 1, v[2:3]
	v_mov_b32_e32 v3, s13
	v_add_co_u32_e64 v6, s[0:1], s12, v4
	v_addc_co_u32_e64 v7, s[0:1], v3, v5, s[0:1]
	v_mov_b32_e32 v3, s11
	v_add_co_u32_e64 v8, s[0:1], s10, v4
	v_addc_co_u32_e64 v9, s[0:1], v3, v5, s[0:1]
	global_load_ushort v4, v[8:9], off
	global_load_ushort v5, v[6:7], off
	v_or_b32_e32 v3, 0x100, v0
.LBB50_5:
	s_or_b64 exec, exec, s[4:5]
	v_cmp_gt_i32_e64 s[0:1], s6, v3
	v_mov_b32_e32 v7, 0
	s_and_saveexec_b64 s[4:5], s[0:1]
	s_cbranch_execz .LBB50_7
; %bb.6:
	v_add_u32_e32 v6, s2, v3
	v_mov_b32_e32 v7, 0
	v_lshlrev_b64 v[6:7], 1, v[6:7]
	v_mov_b32_e32 v1, s13
	v_add_co_u32_e64 v8, s[0:1], s12, v6
	v_addc_co_u32_e64 v9, s[0:1], v1, v7, s[0:1]
	v_mov_b32_e32 v1, s11
	v_add_co_u32_e64 v10, s[0:1], s10, v6
	v_addc_co_u32_e64 v11, s[0:1], v1, v7, s[0:1]
	global_load_ushort v1, v[10:11], off
	global_load_ushort v7, v[8:9], off
	v_add_u32_e32 v3, 0x100, v3
.LBB50_7:
	s_or_b64 exec, exec, s[4:5]
	v_cmp_gt_i32_e64 s[0:1], s6, v3
	v_mov_b32_e32 v9, 0
	v_mov_b32_e32 v6, 0
	v_mov_b32_e32 v10, 0
	s_and_saveexec_b64 s[4:5], s[0:1]
	s_cbranch_execz .LBB50_9
; %bb.8:
	v_add_u32_e32 v8, s2, v3
	v_mov_b32_e32 v9, 0
	v_lshlrev_b64 v[8:9], 1, v[8:9]
	v_mov_b32_e32 v10, s13
	v_add_co_u32_e64 v12, s[0:1], s12, v8
	v_addc_co_u32_e64 v13, s[0:1], v10, v9, s[0:1]
	v_mov_b32_e32 v10, s11
	v_add_co_u32_e64 v14, s[0:1], s10, v8
	v_addc_co_u32_e64 v15, s[0:1], v10, v9, s[0:1]
	global_load_ushort v9, v[14:15], off
	global_load_ushort v10, v[12:13], off
	v_add_u32_e32 v3, 0x100, v3
.LBB50_9:
	s_or_b64 exec, exec, s[4:5]
	v_cmp_gt_i32_e64 s[0:1], s6, v3
	v_mov_b32_e32 v11, 0
	s_and_saveexec_b64 s[4:5], s[0:1]
	s_cbranch_execz .LBB50_11
; %bb.10:
	v_add_u32_e32 v12, s2, v3
	v_mov_b32_e32 v13, 0
	v_lshlrev_b64 v[12:13], 1, v[12:13]
	v_mov_b32_e32 v6, s13
	v_add_co_u32_e64 v14, s[0:1], s12, v12
	v_addc_co_u32_e64 v15, s[0:1], v6, v13, s[0:1]
	v_mov_b32_e32 v6, s11
	v_add_co_u32_e64 v12, s[0:1], s10, v12
	v_addc_co_u32_e64 v13, s[0:1], v6, v13, s[0:1]
	global_load_ushort v6, v[12:13], off
	global_load_ushort v11, v[14:15], off
	v_add_u32_e32 v3, 0x100, v3
.LBB50_11:
	s_or_b64 exec, exec, s[4:5]
	v_cmp_gt_i32_e64 s[0:1], s6, v3
	v_mov_b32_e32 v13, 0
	v_mov_b32_e32 v8, 0
	v_mov_b32_e32 v14, 0
	s_and_saveexec_b64 s[4:5], s[0:1]
	s_cbranch_execz .LBB50_13
; %bb.12:
	v_add_u32_e32 v12, s2, v3
	v_mov_b32_e32 v13, 0
	v_lshlrev_b64 v[12:13], 1, v[12:13]
	v_mov_b32_e32 v14, s13
	v_add_co_u32_e64 v16, s[0:1], s12, v12
	v_addc_co_u32_e64 v17, s[0:1], v14, v13, s[0:1]
	v_mov_b32_e32 v14, s11
	v_add_co_u32_e64 v18, s[0:1], s10, v12
	v_addc_co_u32_e64 v19, s[0:1], v14, v13, s[0:1]
	global_load_ushort v13, v[18:19], off
	global_load_ushort v14, v[16:17], off
	v_add_u32_e32 v3, 0x100, v3
.LBB50_13:
	;; [unrolled: 40-line block ×3, first 2 shown]
	s_or_b64 exec, exec, s[4:5]
	v_cmp_gt_i32_e64 s[0:1], s6, v3
	v_mov_b32_e32 v18, 0
	s_and_saveexec_b64 s[4:5], s[0:1]
	s_cbranch_execnz .LBB50_28
; %bb.18:
	s_or_b64 exec, exec, s[4:5]
	s_and_saveexec_b64 s[0:1], vcc
	s_cbranch_execnz .LBB50_29
.LBB50_19:
	s_or_b64 exec, exec, s[0:1]
	v_cmp_gt_i32_e32 vcc, s6, v0
	s_and_saveexec_b64 s[0:1], vcc
	s_cbranch_execnz .LBB50_30
.LBB50_20:
	s_or_b64 exec, exec, s[0:1]
	v_cmp_gt_i32_e32 vcc, s6, v0
	s_and_saveexec_b64 s[0:1], vcc
	s_cbranch_execnz .LBB50_31
.LBB50_21:
	s_or_b64 exec, exec, s[0:1]
	v_cmp_gt_i32_e32 vcc, s6, v0
	s_and_saveexec_b64 s[0:1], vcc
	s_cbranch_execnz .LBB50_32
.LBB50_22:
	s_or_b64 exec, exec, s[0:1]
	v_cmp_gt_i32_e32 vcc, s6, v0
	s_and_saveexec_b64 s[0:1], vcc
	s_cbranch_execnz .LBB50_33
.LBB50_23:
	s_or_b64 exec, exec, s[0:1]
	v_cmp_gt_i32_e32 vcc, s6, v0
	s_and_saveexec_b64 s[0:1], vcc
	s_cbranch_execnz .LBB50_34
.LBB50_24:
	s_or_b64 exec, exec, s[0:1]
	v_cmp_gt_i32_e32 vcc, s6, v0
	s_and_saveexec_b64 s[0:1], vcc
	s_cbranch_execnz .LBB50_35
.LBB50_25:
	s_or_b64 exec, exec, s[0:1]
	v_cmp_gt_i32_e32 vcc, s6, v0
	s_and_saveexec_b64 s[0:1], vcc
	s_cbranch_execz .LBB50_27
.LBB50_26:
	s_waitcnt vmcnt(0)
	v_mul_f16_e32 v1, v18, v12
	v_cmp_lt_f16_e32 vcc, 0, v12
	v_cndmask_b32_e32 v2, v1, v12, vcc
	v_add_u32_e32 v0, s2, v0
	v_mov_b32_e32 v1, 0
	v_lshlrev_b64 v[0:1], 1, v[0:1]
	v_mov_b32_e32 v3, s9
	v_add_co_u32_e32 v0, vcc, s8, v0
	v_addc_co_u32_e32 v1, vcc, v3, v1, vcc
	global_store_short v[0:1], v2, off
.LBB50_27:
	s_endpgm
.LBB50_28:
	v_add_u32_e32 v18, s2, v3
	v_mov_b32_e32 v19, 0
	v_lshlrev_b64 v[18:19], 1, v[18:19]
	v_mov_b32_e32 v3, s13
	v_add_co_u32_e64 v20, s[0:1], s12, v18
	v_addc_co_u32_e64 v21, s[0:1], v3, v19, s[0:1]
	v_mov_b32_e32 v3, s11
	v_add_co_u32_e64 v22, s[0:1], s10, v18
	v_addc_co_u32_e64 v23, s[0:1], v3, v19, s[0:1]
	global_load_ushort v12, v[22:23], off
	global_load_ushort v18, v[20:21], off
	s_or_b64 exec, exec, s[4:5]
	s_and_saveexec_b64 s[0:1], vcc
	s_cbranch_execz .LBB50_19
.LBB50_29:
	v_mov_b32_e32 v3, 0
	v_lshlrev_b64 v[2:3], 1, v[2:3]
	v_mov_b32_e32 v19, s9
	v_add_co_u32_e32 v2, vcc, s8, v2
	v_addc_co_u32_e32 v3, vcc, v19, v3, vcc
	s_waitcnt vmcnt(0)
	v_mul_f16_e32 v5, v5, v4
	v_cmp_lt_f16_e32 vcc, 0, v4
	v_or_b32_e32 v0, 0x100, v0
	v_cndmask_b32_e32 v4, v5, v4, vcc
	global_store_short v[2:3], v4, off
	s_or_b64 exec, exec, s[0:1]
	v_cmp_gt_i32_e32 vcc, s6, v0
	s_and_saveexec_b64 s[0:1], vcc
	s_cbranch_execz .LBB50_20
.LBB50_30:
	s_waitcnt vmcnt(0)
	v_mul_f16_e32 v2, v7, v1
	v_cmp_lt_f16_e32 vcc, 0, v1
	v_cndmask_b32_e32 v1, v2, v1, vcc
	v_add_u32_e32 v2, s2, v0
	v_mov_b32_e32 v3, 0
	v_lshlrev_b64 v[2:3], 1, v[2:3]
	v_mov_b32_e32 v4, s9
	v_add_co_u32_e32 v2, vcc, s8, v2
	v_addc_co_u32_e32 v3, vcc, v4, v3, vcc
	v_add_u32_e32 v0, 0x100, v0
	global_store_short v[2:3], v1, off
	s_or_b64 exec, exec, s[0:1]
	v_cmp_gt_i32_e32 vcc, s6, v0
	s_and_saveexec_b64 s[0:1], vcc
	s_cbranch_execz .LBB50_21
.LBB50_31:
	v_add_u32_e32 v2, s2, v0
	v_mov_b32_e32 v3, 0
	s_waitcnt vmcnt(0)
	v_mul_f16_e32 v1, v10, v9
	v_cmp_lt_f16_e32 vcc, 0, v9
	v_lshlrev_b64 v[2:3], 1, v[2:3]
	v_cndmask_b32_e32 v1, v1, v9, vcc
	v_mov_b32_e32 v4, s9
	v_add_co_u32_e32 v2, vcc, s8, v2
	v_addc_co_u32_e32 v3, vcc, v4, v3, vcc
	v_add_u32_e32 v0, 0x100, v0
	global_store_short v[2:3], v1, off
	s_or_b64 exec, exec, s[0:1]
	v_cmp_gt_i32_e32 vcc, s6, v0
	s_and_saveexec_b64 s[0:1], vcc
	s_cbranch_execz .LBB50_22
.LBB50_32:
	v_add_u32_e32 v2, s2, v0
	v_mov_b32_e32 v3, 0
	s_waitcnt vmcnt(0)
	v_mul_f16_e32 v1, v11, v6
	v_cmp_lt_f16_e32 vcc, 0, v6
	v_lshlrev_b64 v[2:3], 1, v[2:3]
	v_cndmask_b32_e32 v1, v1, v6, vcc
	v_mov_b32_e32 v4, s9
	v_add_co_u32_e32 v2, vcc, s8, v2
	v_addc_co_u32_e32 v3, vcc, v4, v3, vcc
	v_add_u32_e32 v0, 0x100, v0
	global_store_short v[2:3], v1, off
	s_or_b64 exec, exec, s[0:1]
	v_cmp_gt_i32_e32 vcc, s6, v0
	s_and_saveexec_b64 s[0:1], vcc
	s_cbranch_execz .LBB50_23
.LBB50_33:
	v_add_u32_e32 v2, s2, v0
	v_mov_b32_e32 v3, 0
	s_waitcnt vmcnt(0)
	v_mul_f16_e32 v1, v14, v13
	v_cmp_lt_f16_e32 vcc, 0, v13
	v_lshlrev_b64 v[2:3], 1, v[2:3]
	v_cndmask_b32_e32 v1, v1, v13, vcc
	v_mov_b32_e32 v4, s9
	v_add_co_u32_e32 v2, vcc, s8, v2
	v_addc_co_u32_e32 v3, vcc, v4, v3, vcc
	v_add_u32_e32 v0, 0x100, v0
	global_store_short v[2:3], v1, off
	s_or_b64 exec, exec, s[0:1]
	v_cmp_gt_i32_e32 vcc, s6, v0
	s_and_saveexec_b64 s[0:1], vcc
	s_cbranch_execz .LBB50_24
.LBB50_34:
	v_add_u32_e32 v2, s2, v0
	v_mov_b32_e32 v3, 0
	s_waitcnt vmcnt(0)
	v_mul_f16_e32 v1, v15, v8
	v_cmp_lt_f16_e32 vcc, 0, v8
	v_lshlrev_b64 v[2:3], 1, v[2:3]
	v_cndmask_b32_e32 v1, v1, v8, vcc
	v_mov_b32_e32 v4, s9
	v_add_co_u32_e32 v2, vcc, s8, v2
	v_addc_co_u32_e32 v3, vcc, v4, v3, vcc
	v_add_u32_e32 v0, 0x100, v0
	global_store_short v[2:3], v1, off
	s_or_b64 exec, exec, s[0:1]
	v_cmp_gt_i32_e32 vcc, s6, v0
	s_and_saveexec_b64 s[0:1], vcc
	s_cbranch_execz .LBB50_25
.LBB50_35:
	v_add_u32_e32 v2, s2, v0
	v_mov_b32_e32 v3, 0
	s_waitcnt vmcnt(0)
	v_mul_f16_e32 v1, v17, v16
	v_cmp_lt_f16_e32 vcc, 0, v16
	v_lshlrev_b64 v[2:3], 1, v[2:3]
	v_cndmask_b32_e32 v1, v1, v16, vcc
	v_mov_b32_e32 v4, s9
	v_add_co_u32_e32 v2, vcc, s8, v2
	v_addc_co_u32_e32 v3, vcc, v4, v3, vcc
	v_add_u32_e32 v0, 0x100, v0
	global_store_short v[2:3], v1, off
	s_or_b64 exec, exec, s[0:1]
	v_cmp_gt_i32_e32 vcc, s6, v0
	s_and_saveexec_b64 s[0:1], vcc
	s_cbranch_execnz .LBB50_26
	s_branch .LBB50_27
	.section	.rodata,"a",@progbits
	.p2align	6, 0x0
	.amdhsa_kernel _ZN2at6native29vectorized_elementwise_kernelILi8EZZZNS0_12prelu_kernelERNS_14TensorIteratorEENKUlvE_clEvENKUlvE2_clEvEUlN3c104HalfES7_E_St5arrayIPcLm3EEEEviT0_T1_
		.amdhsa_group_segment_fixed_size 0
		.amdhsa_private_segment_fixed_size 0
		.amdhsa_kernarg_size 32
		.amdhsa_user_sgpr_count 6
		.amdhsa_user_sgpr_private_segment_buffer 1
		.amdhsa_user_sgpr_dispatch_ptr 0
		.amdhsa_user_sgpr_queue_ptr 0
		.amdhsa_user_sgpr_kernarg_segment_ptr 1
		.amdhsa_user_sgpr_dispatch_id 0
		.amdhsa_user_sgpr_flat_scratch_init 0
		.amdhsa_user_sgpr_kernarg_preload_length 0
		.amdhsa_user_sgpr_kernarg_preload_offset 0
		.amdhsa_user_sgpr_private_segment_size 0
		.amdhsa_uses_dynamic_stack 0
		.amdhsa_system_sgpr_private_segment_wavefront_offset 0
		.amdhsa_system_sgpr_workgroup_id_x 1
		.amdhsa_system_sgpr_workgroup_id_y 0
		.amdhsa_system_sgpr_workgroup_id_z 0
		.amdhsa_system_sgpr_workgroup_info 0
		.amdhsa_system_vgpr_workitem_id 0
		.amdhsa_next_free_vgpr 24
		.amdhsa_next_free_sgpr 14
		.amdhsa_accum_offset 24
		.amdhsa_reserve_vcc 1
		.amdhsa_reserve_flat_scratch 0
		.amdhsa_float_round_mode_32 0
		.amdhsa_float_round_mode_16_64 0
		.amdhsa_float_denorm_mode_32 3
		.amdhsa_float_denorm_mode_16_64 3
		.amdhsa_dx10_clamp 1
		.amdhsa_ieee_mode 1
		.amdhsa_fp16_overflow 0
		.amdhsa_tg_split 0
		.amdhsa_exception_fp_ieee_invalid_op 0
		.amdhsa_exception_fp_denorm_src 0
		.amdhsa_exception_fp_ieee_div_zero 0
		.amdhsa_exception_fp_ieee_overflow 0
		.amdhsa_exception_fp_ieee_underflow 0
		.amdhsa_exception_fp_ieee_inexact 0
		.amdhsa_exception_int_div_zero 0
	.end_amdhsa_kernel
	.section	.text._ZN2at6native29vectorized_elementwise_kernelILi8EZZZNS0_12prelu_kernelERNS_14TensorIteratorEENKUlvE_clEvENKUlvE2_clEvEUlN3c104HalfES7_E_St5arrayIPcLm3EEEEviT0_T1_,"axG",@progbits,_ZN2at6native29vectorized_elementwise_kernelILi8EZZZNS0_12prelu_kernelERNS_14TensorIteratorEENKUlvE_clEvENKUlvE2_clEvEUlN3c104HalfES7_E_St5arrayIPcLm3EEEEviT0_T1_,comdat
.Lfunc_end50:
	.size	_ZN2at6native29vectorized_elementwise_kernelILi8EZZZNS0_12prelu_kernelERNS_14TensorIteratorEENKUlvE_clEvENKUlvE2_clEvEUlN3c104HalfES7_E_St5arrayIPcLm3EEEEviT0_T1_, .Lfunc_end50-_ZN2at6native29vectorized_elementwise_kernelILi8EZZZNS0_12prelu_kernelERNS_14TensorIteratorEENKUlvE_clEvENKUlvE2_clEvEUlN3c104HalfES7_E_St5arrayIPcLm3EEEEviT0_T1_
                                        ; -- End function
	.section	.AMDGPU.csdata,"",@progbits
; Kernel info:
; codeLenInByte = 1872
; NumSgprs: 18
; NumVgprs: 24
; NumAgprs: 0
; TotalNumVgprs: 24
; ScratchSize: 0
; MemoryBound: 0
; FloatMode: 240
; IeeeMode: 1
; LDSByteSize: 0 bytes/workgroup (compile time only)
; SGPRBlocks: 2
; VGPRBlocks: 2
; NumSGPRsForWavesPerEU: 18
; NumVGPRsForWavesPerEU: 24
; AccumOffset: 24
; Occupancy: 8
; WaveLimiterHint : 0
; COMPUTE_PGM_RSRC2:SCRATCH_EN: 0
; COMPUTE_PGM_RSRC2:USER_SGPR: 6
; COMPUTE_PGM_RSRC2:TRAP_HANDLER: 0
; COMPUTE_PGM_RSRC2:TGID_X_EN: 1
; COMPUTE_PGM_RSRC2:TGID_Y_EN: 0
; COMPUTE_PGM_RSRC2:TGID_Z_EN: 0
; COMPUTE_PGM_RSRC2:TIDIG_COMP_CNT: 0
; COMPUTE_PGM_RSRC3_GFX90A:ACCUM_OFFSET: 5
; COMPUTE_PGM_RSRC3_GFX90A:TG_SPLIT: 0
	.section	.text._ZN2at6native29vectorized_elementwise_kernelILi4EZZZNS0_12prelu_kernelERNS_14TensorIteratorEENKUlvE_clEvENKUlvE2_clEvEUlN3c104HalfES7_E_St5arrayIPcLm3EEEEviT0_T1_,"axG",@progbits,_ZN2at6native29vectorized_elementwise_kernelILi4EZZZNS0_12prelu_kernelERNS_14TensorIteratorEENKUlvE_clEvENKUlvE2_clEvEUlN3c104HalfES7_E_St5arrayIPcLm3EEEEviT0_T1_,comdat
	.globl	_ZN2at6native29vectorized_elementwise_kernelILi4EZZZNS0_12prelu_kernelERNS_14TensorIteratorEENKUlvE_clEvENKUlvE2_clEvEUlN3c104HalfES7_E_St5arrayIPcLm3EEEEviT0_T1_ ; -- Begin function _ZN2at6native29vectorized_elementwise_kernelILi4EZZZNS0_12prelu_kernelERNS_14TensorIteratorEENKUlvE_clEvENKUlvE2_clEvEUlN3c104HalfES7_E_St5arrayIPcLm3EEEEviT0_T1_
	.p2align	8
	.type	_ZN2at6native29vectorized_elementwise_kernelILi4EZZZNS0_12prelu_kernelERNS_14TensorIteratorEENKUlvE_clEvENKUlvE2_clEvEUlN3c104HalfES7_E_St5arrayIPcLm3EEEEviT0_T1_,@function
_ZN2at6native29vectorized_elementwise_kernelILi4EZZZNS0_12prelu_kernelERNS_14TensorIteratorEENKUlvE_clEvENKUlvE2_clEvEUlN3c104HalfES7_E_St5arrayIPcLm3EEEEviT0_T1_: ; @_ZN2at6native29vectorized_elementwise_kernelILi4EZZZNS0_12prelu_kernelERNS_14TensorIteratorEENKUlvE_clEvENKUlvE2_clEvEUlN3c104HalfES7_E_St5arrayIPcLm3EEEEviT0_T1_
; %bb.0:
	s_load_dword s0, s[4:5], 0x0
	s_load_dwordx4 s[8:11], s[4:5], 0x8
	s_load_dwordx2 s[12:13], s[4:5], 0x18
	s_lshl_b32 s2, s6, 11
	s_waitcnt lgkmcnt(0)
	s_sub_i32 s6, s0, s2
	s_cmpk_gt_i32 s6, 0x7ff
	s_mov_b64 s[0:1], -1
	s_cbranch_scc0 .LBB51_2
; %bb.1:
	s_ashr_i32 s3, s2, 31
	s_lshl_b64 s[0:1], s[2:3], 1
	s_add_u32 s4, s10, s0
	s_addc_u32 s5, s11, s1
	v_lshlrev_b32_e32 v1, 3, v0
	s_add_u32 s14, s12, s0
	global_load_dwordx2 v[2:3], v1, s[4:5]
	global_load_dwordx2 v[4:5], v1, s[4:5] offset:2048
	s_addc_u32 s15, s13, s1
	global_load_dwordx2 v[6:7], v1, s[14:15]
	global_load_dwordx2 v[8:9], v1, s[14:15] offset:2048
	s_add_u32 s0, s8, s0
	s_addc_u32 s1, s9, s1
	s_waitcnt vmcnt(3)
	v_lshrrev_b32_e32 v10, 16, v2
	v_cmp_lt_f16_e32 vcc, 0, v2
	s_waitcnt vmcnt(1)
	v_mul_f16_e32 v14, v2, v6
	v_mul_f16_sdwa v6, v10, v6 dst_sel:DWORD dst_unused:UNUSED_PAD src0_sel:DWORD src1_sel:WORD_1
	v_cndmask_b32_e32 v2, v14, v2, vcc
	v_cmp_lt_f16_e32 vcc, 0, v10
	v_lshrrev_b32_e32 v11, 16, v3
	v_mul_f16_e32 v15, v3, v7
	v_cndmask_b32_e32 v6, v6, v10, vcc
	v_cmp_lt_f16_e32 vcc, 0, v3
	v_mul_f16_sdwa v7, v11, v7 dst_sel:DWORD dst_unused:UNUSED_PAD src0_sel:DWORD src1_sel:WORD_1
	v_cndmask_b32_e32 v3, v15, v3, vcc
	v_cmp_lt_f16_e32 vcc, 0, v11
	v_lshrrev_b32_e32 v12, 16, v4
	s_waitcnt vmcnt(0)
	v_mul_f16_e32 v16, v4, v8
	v_cndmask_b32_e32 v7, v7, v11, vcc
	v_cmp_lt_f16_e32 vcc, 0, v4
	v_mul_f16_sdwa v8, v12, v8 dst_sel:DWORD dst_unused:UNUSED_PAD src0_sel:DWORD src1_sel:WORD_1
	v_cndmask_b32_e32 v4, v16, v4, vcc
	v_cmp_lt_f16_e32 vcc, 0, v12
	v_lshrrev_b32_e32 v13, 16, v5
	v_mul_f16_e32 v17, v5, v9
	v_cndmask_b32_e32 v8, v8, v12, vcc
	v_cmp_lt_f16_e32 vcc, 0, v5
	v_mul_f16_sdwa v9, v13, v9 dst_sel:DWORD dst_unused:UNUSED_PAD src0_sel:DWORD src1_sel:WORD_1
	v_cndmask_b32_e32 v5, v17, v5, vcc
	v_cmp_lt_f16_e32 vcc, 0, v13
	v_lshlrev_b32_e32 v6, 16, v6
	v_and_b32_e32 v2, 0xffff, v2
	v_cndmask_b32_e32 v9, v9, v13, vcc
	v_lshlrev_b32_e32 v7, 16, v7
	v_and_b32_e32 v3, 0xffff, v3
	v_lshlrev_b32_e32 v8, 16, v8
	v_and_b32_e32 v4, 0xffff, v4
	v_or_b32_e32 v2, v6, v2
	v_lshlrev_b32_e32 v9, 16, v9
	v_and_b32_e32 v5, 0xffff, v5
	v_or3_b32 v3, 0, v3, v7
	v_or_b32_e32 v4, v8, v4
	v_or3_b32 v2, v2, 0, 0
	v_or3_b32 v5, 0, v5, v9
	v_or3_b32 v4, v4, 0, 0
	global_store_dwordx2 v1, v[2:3], s[0:1]
	global_store_dwordx2 v1, v[4:5], s[0:1] offset:2048
	s_mov_b64 s[0:1], 0
.LBB51_2:
	s_andn2_b64 vcc, exec, s[0:1]
	s_cbranch_vccnz .LBB51_27
; %bb.3:
	v_cmp_gt_i32_e32 vcc, s6, v0
	v_mov_b32_e32 v4, 0
	v_mov_b32_e32 v1, 0
	v_or_b32_e32 v2, s2, v0
	v_mov_b32_e32 v5, 0
	v_mov_b32_e32 v3, v0
	s_and_saveexec_b64 s[4:5], vcc
	s_cbranch_execz .LBB51_5
; %bb.4:
	v_mov_b32_e32 v3, 0
	v_lshlrev_b64 v[4:5], 1, v[2:3]
	v_mov_b32_e32 v3, s13
	v_add_co_u32_e64 v6, s[0:1], s12, v4
	v_addc_co_u32_e64 v7, s[0:1], v3, v5, s[0:1]
	v_mov_b32_e32 v3, s11
	v_add_co_u32_e64 v8, s[0:1], s10, v4
	v_addc_co_u32_e64 v9, s[0:1], v3, v5, s[0:1]
	global_load_ushort v4, v[8:9], off
	global_load_ushort v5, v[6:7], off
	v_or_b32_e32 v3, 0x100, v0
.LBB51_5:
	s_or_b64 exec, exec, s[4:5]
	v_cmp_gt_i32_e64 s[0:1], s6, v3
	v_mov_b32_e32 v7, 0
	s_and_saveexec_b64 s[4:5], s[0:1]
	s_cbranch_execz .LBB51_7
; %bb.6:
	v_add_u32_e32 v6, s2, v3
	v_mov_b32_e32 v7, 0
	v_lshlrev_b64 v[6:7], 1, v[6:7]
	v_mov_b32_e32 v1, s13
	v_add_co_u32_e64 v8, s[0:1], s12, v6
	v_addc_co_u32_e64 v9, s[0:1], v1, v7, s[0:1]
	v_mov_b32_e32 v1, s11
	v_add_co_u32_e64 v10, s[0:1], s10, v6
	v_addc_co_u32_e64 v11, s[0:1], v1, v7, s[0:1]
	global_load_ushort v1, v[10:11], off
	global_load_ushort v7, v[8:9], off
	v_add_u32_e32 v3, 0x100, v3
.LBB51_7:
	s_or_b64 exec, exec, s[4:5]
	v_cmp_gt_i32_e64 s[0:1], s6, v3
	v_mov_b32_e32 v9, 0
	v_mov_b32_e32 v6, 0
	v_mov_b32_e32 v10, 0
	s_and_saveexec_b64 s[4:5], s[0:1]
	s_cbranch_execz .LBB51_9
; %bb.8:
	v_add_u32_e32 v8, s2, v3
	v_mov_b32_e32 v9, 0
	v_lshlrev_b64 v[8:9], 1, v[8:9]
	v_mov_b32_e32 v10, s13
	v_add_co_u32_e64 v12, s[0:1], s12, v8
	v_addc_co_u32_e64 v13, s[0:1], v10, v9, s[0:1]
	v_mov_b32_e32 v10, s11
	v_add_co_u32_e64 v14, s[0:1], s10, v8
	v_addc_co_u32_e64 v15, s[0:1], v10, v9, s[0:1]
	global_load_ushort v9, v[14:15], off
	global_load_ushort v10, v[12:13], off
	v_add_u32_e32 v3, 0x100, v3
.LBB51_9:
	s_or_b64 exec, exec, s[4:5]
	v_cmp_gt_i32_e64 s[0:1], s6, v3
	v_mov_b32_e32 v11, 0
	s_and_saveexec_b64 s[4:5], s[0:1]
	s_cbranch_execz .LBB51_11
; %bb.10:
	v_add_u32_e32 v12, s2, v3
	v_mov_b32_e32 v13, 0
	v_lshlrev_b64 v[12:13], 1, v[12:13]
	v_mov_b32_e32 v6, s13
	v_add_co_u32_e64 v14, s[0:1], s12, v12
	v_addc_co_u32_e64 v15, s[0:1], v6, v13, s[0:1]
	v_mov_b32_e32 v6, s11
	v_add_co_u32_e64 v12, s[0:1], s10, v12
	v_addc_co_u32_e64 v13, s[0:1], v6, v13, s[0:1]
	global_load_ushort v6, v[12:13], off
	global_load_ushort v11, v[14:15], off
	v_add_u32_e32 v3, 0x100, v3
.LBB51_11:
	s_or_b64 exec, exec, s[4:5]
	v_cmp_gt_i32_e64 s[0:1], s6, v3
	v_mov_b32_e32 v13, 0
	v_mov_b32_e32 v8, 0
	v_mov_b32_e32 v14, 0
	s_and_saveexec_b64 s[4:5], s[0:1]
	s_cbranch_execz .LBB51_13
; %bb.12:
	v_add_u32_e32 v12, s2, v3
	v_mov_b32_e32 v13, 0
	v_lshlrev_b64 v[12:13], 1, v[12:13]
	v_mov_b32_e32 v14, s13
	v_add_co_u32_e64 v16, s[0:1], s12, v12
	v_addc_co_u32_e64 v17, s[0:1], v14, v13, s[0:1]
	v_mov_b32_e32 v14, s11
	v_add_co_u32_e64 v18, s[0:1], s10, v12
	v_addc_co_u32_e64 v19, s[0:1], v14, v13, s[0:1]
	global_load_ushort v13, v[18:19], off
	global_load_ushort v14, v[16:17], off
	v_add_u32_e32 v3, 0x100, v3
.LBB51_13:
	;; [unrolled: 40-line block ×3, first 2 shown]
	s_or_b64 exec, exec, s[4:5]
	v_cmp_gt_i32_e64 s[0:1], s6, v3
	v_mov_b32_e32 v18, 0
	s_and_saveexec_b64 s[4:5], s[0:1]
	s_cbranch_execnz .LBB51_28
; %bb.18:
	s_or_b64 exec, exec, s[4:5]
	s_and_saveexec_b64 s[0:1], vcc
	s_cbranch_execnz .LBB51_29
.LBB51_19:
	s_or_b64 exec, exec, s[0:1]
	v_cmp_gt_i32_e32 vcc, s6, v0
	s_and_saveexec_b64 s[0:1], vcc
	s_cbranch_execnz .LBB51_30
.LBB51_20:
	s_or_b64 exec, exec, s[0:1]
	v_cmp_gt_i32_e32 vcc, s6, v0
	s_and_saveexec_b64 s[0:1], vcc
	s_cbranch_execnz .LBB51_31
.LBB51_21:
	s_or_b64 exec, exec, s[0:1]
	v_cmp_gt_i32_e32 vcc, s6, v0
	s_and_saveexec_b64 s[0:1], vcc
	s_cbranch_execnz .LBB51_32
.LBB51_22:
	s_or_b64 exec, exec, s[0:1]
	v_cmp_gt_i32_e32 vcc, s6, v0
	s_and_saveexec_b64 s[0:1], vcc
	s_cbranch_execnz .LBB51_33
.LBB51_23:
	s_or_b64 exec, exec, s[0:1]
	v_cmp_gt_i32_e32 vcc, s6, v0
	s_and_saveexec_b64 s[0:1], vcc
	s_cbranch_execnz .LBB51_34
.LBB51_24:
	s_or_b64 exec, exec, s[0:1]
	v_cmp_gt_i32_e32 vcc, s6, v0
	s_and_saveexec_b64 s[0:1], vcc
	s_cbranch_execnz .LBB51_35
.LBB51_25:
	s_or_b64 exec, exec, s[0:1]
	v_cmp_gt_i32_e32 vcc, s6, v0
	s_and_saveexec_b64 s[0:1], vcc
	s_cbranch_execz .LBB51_27
.LBB51_26:
	s_waitcnt vmcnt(0)
	v_mul_f16_e32 v1, v18, v12
	v_cmp_lt_f16_e32 vcc, 0, v12
	v_cndmask_b32_e32 v2, v1, v12, vcc
	v_add_u32_e32 v0, s2, v0
	v_mov_b32_e32 v1, 0
	v_lshlrev_b64 v[0:1], 1, v[0:1]
	v_mov_b32_e32 v3, s9
	v_add_co_u32_e32 v0, vcc, s8, v0
	v_addc_co_u32_e32 v1, vcc, v3, v1, vcc
	global_store_short v[0:1], v2, off
.LBB51_27:
	s_endpgm
.LBB51_28:
	v_add_u32_e32 v18, s2, v3
	v_mov_b32_e32 v19, 0
	v_lshlrev_b64 v[18:19], 1, v[18:19]
	v_mov_b32_e32 v3, s13
	v_add_co_u32_e64 v20, s[0:1], s12, v18
	v_addc_co_u32_e64 v21, s[0:1], v3, v19, s[0:1]
	v_mov_b32_e32 v3, s11
	v_add_co_u32_e64 v22, s[0:1], s10, v18
	v_addc_co_u32_e64 v23, s[0:1], v3, v19, s[0:1]
	global_load_ushort v12, v[22:23], off
	global_load_ushort v18, v[20:21], off
	s_or_b64 exec, exec, s[4:5]
	s_and_saveexec_b64 s[0:1], vcc
	s_cbranch_execz .LBB51_19
.LBB51_29:
	v_mov_b32_e32 v3, 0
	v_lshlrev_b64 v[2:3], 1, v[2:3]
	v_mov_b32_e32 v19, s9
	v_add_co_u32_e32 v2, vcc, s8, v2
	v_addc_co_u32_e32 v3, vcc, v19, v3, vcc
	s_waitcnt vmcnt(0)
	v_mul_f16_e32 v5, v5, v4
	v_cmp_lt_f16_e32 vcc, 0, v4
	v_or_b32_e32 v0, 0x100, v0
	v_cndmask_b32_e32 v4, v5, v4, vcc
	global_store_short v[2:3], v4, off
	s_or_b64 exec, exec, s[0:1]
	v_cmp_gt_i32_e32 vcc, s6, v0
	s_and_saveexec_b64 s[0:1], vcc
	s_cbranch_execz .LBB51_20
.LBB51_30:
	s_waitcnt vmcnt(0)
	v_mul_f16_e32 v2, v7, v1
	v_cmp_lt_f16_e32 vcc, 0, v1
	v_cndmask_b32_e32 v1, v2, v1, vcc
	v_add_u32_e32 v2, s2, v0
	v_mov_b32_e32 v3, 0
	v_lshlrev_b64 v[2:3], 1, v[2:3]
	v_mov_b32_e32 v4, s9
	v_add_co_u32_e32 v2, vcc, s8, v2
	v_addc_co_u32_e32 v3, vcc, v4, v3, vcc
	v_add_u32_e32 v0, 0x100, v0
	global_store_short v[2:3], v1, off
	s_or_b64 exec, exec, s[0:1]
	v_cmp_gt_i32_e32 vcc, s6, v0
	s_and_saveexec_b64 s[0:1], vcc
	s_cbranch_execz .LBB51_21
.LBB51_31:
	v_add_u32_e32 v2, s2, v0
	v_mov_b32_e32 v3, 0
	s_waitcnt vmcnt(0)
	v_mul_f16_e32 v1, v10, v9
	v_cmp_lt_f16_e32 vcc, 0, v9
	v_lshlrev_b64 v[2:3], 1, v[2:3]
	v_cndmask_b32_e32 v1, v1, v9, vcc
	v_mov_b32_e32 v4, s9
	v_add_co_u32_e32 v2, vcc, s8, v2
	v_addc_co_u32_e32 v3, vcc, v4, v3, vcc
	v_add_u32_e32 v0, 0x100, v0
	global_store_short v[2:3], v1, off
	s_or_b64 exec, exec, s[0:1]
	v_cmp_gt_i32_e32 vcc, s6, v0
	s_and_saveexec_b64 s[0:1], vcc
	s_cbranch_execz .LBB51_22
.LBB51_32:
	v_add_u32_e32 v2, s2, v0
	v_mov_b32_e32 v3, 0
	s_waitcnt vmcnt(0)
	v_mul_f16_e32 v1, v11, v6
	v_cmp_lt_f16_e32 vcc, 0, v6
	v_lshlrev_b64 v[2:3], 1, v[2:3]
	v_cndmask_b32_e32 v1, v1, v6, vcc
	v_mov_b32_e32 v4, s9
	v_add_co_u32_e32 v2, vcc, s8, v2
	v_addc_co_u32_e32 v3, vcc, v4, v3, vcc
	v_add_u32_e32 v0, 0x100, v0
	global_store_short v[2:3], v1, off
	s_or_b64 exec, exec, s[0:1]
	v_cmp_gt_i32_e32 vcc, s6, v0
	s_and_saveexec_b64 s[0:1], vcc
	s_cbranch_execz .LBB51_23
.LBB51_33:
	v_add_u32_e32 v2, s2, v0
	v_mov_b32_e32 v3, 0
	s_waitcnt vmcnt(0)
	v_mul_f16_e32 v1, v14, v13
	v_cmp_lt_f16_e32 vcc, 0, v13
	v_lshlrev_b64 v[2:3], 1, v[2:3]
	v_cndmask_b32_e32 v1, v1, v13, vcc
	v_mov_b32_e32 v4, s9
	v_add_co_u32_e32 v2, vcc, s8, v2
	v_addc_co_u32_e32 v3, vcc, v4, v3, vcc
	v_add_u32_e32 v0, 0x100, v0
	global_store_short v[2:3], v1, off
	s_or_b64 exec, exec, s[0:1]
	v_cmp_gt_i32_e32 vcc, s6, v0
	s_and_saveexec_b64 s[0:1], vcc
	s_cbranch_execz .LBB51_24
.LBB51_34:
	v_add_u32_e32 v2, s2, v0
	v_mov_b32_e32 v3, 0
	s_waitcnt vmcnt(0)
	v_mul_f16_e32 v1, v15, v8
	v_cmp_lt_f16_e32 vcc, 0, v8
	v_lshlrev_b64 v[2:3], 1, v[2:3]
	v_cndmask_b32_e32 v1, v1, v8, vcc
	v_mov_b32_e32 v4, s9
	v_add_co_u32_e32 v2, vcc, s8, v2
	v_addc_co_u32_e32 v3, vcc, v4, v3, vcc
	v_add_u32_e32 v0, 0x100, v0
	global_store_short v[2:3], v1, off
	s_or_b64 exec, exec, s[0:1]
	v_cmp_gt_i32_e32 vcc, s6, v0
	s_and_saveexec_b64 s[0:1], vcc
	s_cbranch_execz .LBB51_25
.LBB51_35:
	v_add_u32_e32 v2, s2, v0
	v_mov_b32_e32 v3, 0
	s_waitcnt vmcnt(0)
	v_mul_f16_e32 v1, v17, v16
	v_cmp_lt_f16_e32 vcc, 0, v16
	v_lshlrev_b64 v[2:3], 1, v[2:3]
	v_cndmask_b32_e32 v1, v1, v16, vcc
	v_mov_b32_e32 v4, s9
	v_add_co_u32_e32 v2, vcc, s8, v2
	v_addc_co_u32_e32 v3, vcc, v4, v3, vcc
	v_add_u32_e32 v0, 0x100, v0
	global_store_short v[2:3], v1, off
	s_or_b64 exec, exec, s[0:1]
	v_cmp_gt_i32_e32 vcc, s6, v0
	s_and_saveexec_b64 s[0:1], vcc
	s_cbranch_execnz .LBB51_26
	s_branch .LBB51_27
	.section	.rodata,"a",@progbits
	.p2align	6, 0x0
	.amdhsa_kernel _ZN2at6native29vectorized_elementwise_kernelILi4EZZZNS0_12prelu_kernelERNS_14TensorIteratorEENKUlvE_clEvENKUlvE2_clEvEUlN3c104HalfES7_E_St5arrayIPcLm3EEEEviT0_T1_
		.amdhsa_group_segment_fixed_size 0
		.amdhsa_private_segment_fixed_size 0
		.amdhsa_kernarg_size 32
		.amdhsa_user_sgpr_count 6
		.amdhsa_user_sgpr_private_segment_buffer 1
		.amdhsa_user_sgpr_dispatch_ptr 0
		.amdhsa_user_sgpr_queue_ptr 0
		.amdhsa_user_sgpr_kernarg_segment_ptr 1
		.amdhsa_user_sgpr_dispatch_id 0
		.amdhsa_user_sgpr_flat_scratch_init 0
		.amdhsa_user_sgpr_kernarg_preload_length 0
		.amdhsa_user_sgpr_kernarg_preload_offset 0
		.amdhsa_user_sgpr_private_segment_size 0
		.amdhsa_uses_dynamic_stack 0
		.amdhsa_system_sgpr_private_segment_wavefront_offset 0
		.amdhsa_system_sgpr_workgroup_id_x 1
		.amdhsa_system_sgpr_workgroup_id_y 0
		.amdhsa_system_sgpr_workgroup_id_z 0
		.amdhsa_system_sgpr_workgroup_info 0
		.amdhsa_system_vgpr_workitem_id 0
		.amdhsa_next_free_vgpr 24
		.amdhsa_next_free_sgpr 16
		.amdhsa_accum_offset 24
		.amdhsa_reserve_vcc 1
		.amdhsa_reserve_flat_scratch 0
		.amdhsa_float_round_mode_32 0
		.amdhsa_float_round_mode_16_64 0
		.amdhsa_float_denorm_mode_32 3
		.amdhsa_float_denorm_mode_16_64 3
		.amdhsa_dx10_clamp 1
		.amdhsa_ieee_mode 1
		.amdhsa_fp16_overflow 0
		.amdhsa_tg_split 0
		.amdhsa_exception_fp_ieee_invalid_op 0
		.amdhsa_exception_fp_denorm_src 0
		.amdhsa_exception_fp_ieee_div_zero 0
		.amdhsa_exception_fp_ieee_overflow 0
		.amdhsa_exception_fp_ieee_underflow 0
		.amdhsa_exception_fp_ieee_inexact 0
		.amdhsa_exception_int_div_zero 0
	.end_amdhsa_kernel
	.section	.text._ZN2at6native29vectorized_elementwise_kernelILi4EZZZNS0_12prelu_kernelERNS_14TensorIteratorEENKUlvE_clEvENKUlvE2_clEvEUlN3c104HalfES7_E_St5arrayIPcLm3EEEEviT0_T1_,"axG",@progbits,_ZN2at6native29vectorized_elementwise_kernelILi4EZZZNS0_12prelu_kernelERNS_14TensorIteratorEENKUlvE_clEvENKUlvE2_clEvEUlN3c104HalfES7_E_St5arrayIPcLm3EEEEviT0_T1_,comdat
.Lfunc_end51:
	.size	_ZN2at6native29vectorized_elementwise_kernelILi4EZZZNS0_12prelu_kernelERNS_14TensorIteratorEENKUlvE_clEvENKUlvE2_clEvEUlN3c104HalfES7_E_St5arrayIPcLm3EEEEviT0_T1_, .Lfunc_end51-_ZN2at6native29vectorized_elementwise_kernelILi4EZZZNS0_12prelu_kernelERNS_14TensorIteratorEENKUlvE_clEvENKUlvE2_clEvEUlN3c104HalfES7_E_St5arrayIPcLm3EEEEviT0_T1_
                                        ; -- End function
	.section	.AMDGPU.csdata,"",@progbits
; Kernel info:
; codeLenInByte = 1948
; NumSgprs: 20
; NumVgprs: 24
; NumAgprs: 0
; TotalNumVgprs: 24
; ScratchSize: 0
; MemoryBound: 0
; FloatMode: 240
; IeeeMode: 1
; LDSByteSize: 0 bytes/workgroup (compile time only)
; SGPRBlocks: 2
; VGPRBlocks: 2
; NumSGPRsForWavesPerEU: 20
; NumVGPRsForWavesPerEU: 24
; AccumOffset: 24
; Occupancy: 8
; WaveLimiterHint : 1
; COMPUTE_PGM_RSRC2:SCRATCH_EN: 0
; COMPUTE_PGM_RSRC2:USER_SGPR: 6
; COMPUTE_PGM_RSRC2:TRAP_HANDLER: 0
; COMPUTE_PGM_RSRC2:TGID_X_EN: 1
; COMPUTE_PGM_RSRC2:TGID_Y_EN: 0
; COMPUTE_PGM_RSRC2:TGID_Z_EN: 0
; COMPUTE_PGM_RSRC2:TIDIG_COMP_CNT: 0
; COMPUTE_PGM_RSRC3_GFX90A:ACCUM_OFFSET: 5
; COMPUTE_PGM_RSRC3_GFX90A:TG_SPLIT: 0
	.section	.text._ZN2at6native29vectorized_elementwise_kernelILi2EZZZNS0_12prelu_kernelERNS_14TensorIteratorEENKUlvE_clEvENKUlvE2_clEvEUlN3c104HalfES7_E_St5arrayIPcLm3EEEEviT0_T1_,"axG",@progbits,_ZN2at6native29vectorized_elementwise_kernelILi2EZZZNS0_12prelu_kernelERNS_14TensorIteratorEENKUlvE_clEvENKUlvE2_clEvEUlN3c104HalfES7_E_St5arrayIPcLm3EEEEviT0_T1_,comdat
	.globl	_ZN2at6native29vectorized_elementwise_kernelILi2EZZZNS0_12prelu_kernelERNS_14TensorIteratorEENKUlvE_clEvENKUlvE2_clEvEUlN3c104HalfES7_E_St5arrayIPcLm3EEEEviT0_T1_ ; -- Begin function _ZN2at6native29vectorized_elementwise_kernelILi2EZZZNS0_12prelu_kernelERNS_14TensorIteratorEENKUlvE_clEvENKUlvE2_clEvEUlN3c104HalfES7_E_St5arrayIPcLm3EEEEviT0_T1_
	.p2align	8
	.type	_ZN2at6native29vectorized_elementwise_kernelILi2EZZZNS0_12prelu_kernelERNS_14TensorIteratorEENKUlvE_clEvENKUlvE2_clEvEUlN3c104HalfES7_E_St5arrayIPcLm3EEEEviT0_T1_,@function
_ZN2at6native29vectorized_elementwise_kernelILi2EZZZNS0_12prelu_kernelERNS_14TensorIteratorEENKUlvE_clEvENKUlvE2_clEvEUlN3c104HalfES7_E_St5arrayIPcLm3EEEEviT0_T1_: ; @_ZN2at6native29vectorized_elementwise_kernelILi2EZZZNS0_12prelu_kernelERNS_14TensorIteratorEENKUlvE_clEvENKUlvE2_clEvEUlN3c104HalfES7_E_St5arrayIPcLm3EEEEviT0_T1_
; %bb.0:
	s_load_dword s0, s[4:5], 0x0
	s_load_dwordx4 s[8:11], s[4:5], 0x8
	s_load_dwordx2 s[12:13], s[4:5], 0x18
	s_lshl_b32 s2, s6, 11
	s_waitcnt lgkmcnt(0)
	s_sub_i32 s6, s0, s2
	s_cmpk_gt_i32 s6, 0x7ff
	s_mov_b64 s[0:1], -1
	s_cbranch_scc0 .LBB52_2
; %bb.1:
	s_ashr_i32 s3, s2, 31
	s_lshl_b64 s[0:1], s[2:3], 1
	s_add_u32 s4, s10, s0
	s_addc_u32 s5, s11, s1
	v_lshlrev_b32_e32 v1, 2, v0
	s_add_u32 s14, s12, s0
	s_addc_u32 s15, s13, s1
	global_load_dword v2, v1, s[4:5]
	global_load_dword v3, v1, s[4:5] offset:1024
	global_load_dword v4, v1, s[4:5] offset:2048
	;; [unrolled: 1-line block ×3, first 2 shown]
	global_load_dword v6, v1, s[14:15]
	global_load_dword v7, v1, s[14:15] offset:1024
	global_load_dword v8, v1, s[14:15] offset:2048
	;; [unrolled: 1-line block ×3, first 2 shown]
	s_add_u32 s0, s8, s0
	s_addc_u32 s1, s9, s1
	s_waitcnt vmcnt(7)
	v_lshrrev_b32_e32 v10, 16, v2
	v_cmp_lt_f16_e32 vcc, 0, v2
	s_waitcnt vmcnt(6)
	v_lshrrev_b32_e32 v11, 16, v3
	s_waitcnt vmcnt(5)
	v_lshrrev_b32_e32 v12, 16, v4
	s_waitcnt vmcnt(3)
	v_mul_f16_e32 v14, v2, v6
	v_mul_f16_sdwa v6, v10, v6 dst_sel:DWORD dst_unused:UNUSED_PAD src0_sel:DWORD src1_sel:WORD_1
	v_cndmask_b32_e32 v2, v14, v2, vcc
	v_cmp_lt_f16_e32 vcc, 0, v10
	s_waitcnt vmcnt(2)
	v_mul_f16_e32 v15, v3, v7
	v_cndmask_b32_e32 v6, v6, v10, vcc
	v_cmp_lt_f16_e32 vcc, 0, v3
	v_mul_f16_sdwa v7, v11, v7 dst_sel:DWORD dst_unused:UNUSED_PAD src0_sel:DWORD src1_sel:WORD_1
	v_cndmask_b32_e32 v3, v15, v3, vcc
	v_cmp_lt_f16_e32 vcc, 0, v11
	s_waitcnt vmcnt(1)
	v_mul_f16_e32 v16, v4, v8
	v_cndmask_b32_e32 v7, v7, v11, vcc
	v_cmp_lt_f16_e32 vcc, 0, v4
	v_mul_f16_sdwa v8, v12, v8 dst_sel:DWORD dst_unused:UNUSED_PAD src0_sel:DWORD src1_sel:WORD_1
	v_cndmask_b32_e32 v4, v16, v4, vcc
	v_cmp_lt_f16_e32 vcc, 0, v12
	v_lshrrev_b32_e32 v13, 16, v5
	s_waitcnt vmcnt(0)
	v_mul_f16_e32 v17, v5, v9
	v_cndmask_b32_e32 v8, v8, v12, vcc
	v_cmp_lt_f16_e32 vcc, 0, v5
	v_mul_f16_sdwa v9, v13, v9 dst_sel:DWORD dst_unused:UNUSED_PAD src0_sel:DWORD src1_sel:WORD_1
	v_cndmask_b32_e32 v5, v17, v5, vcc
	v_cmp_lt_f16_e32 vcc, 0, v13
	v_cndmask_b32_e32 v9, v9, v13, vcc
	v_lshlrev_b32_e32 v6, 16, v6
	v_lshlrev_b32_e32 v7, 16, v7
	;; [unrolled: 1-line block ×4, first 2 shown]
	v_or_b32_sdwa v2, v6, v2 dst_sel:DWORD dst_unused:UNUSED_PAD src0_sel:DWORD src1_sel:WORD_0
	v_or_b32_sdwa v3, v7, v3 dst_sel:DWORD dst_unused:UNUSED_PAD src0_sel:DWORD src1_sel:WORD_0
	;; [unrolled: 1-line block ×4, first 2 shown]
	global_store_dword v1, v2, s[0:1]
	global_store_dword v1, v3, s[0:1] offset:1024
	global_store_dword v1, v4, s[0:1] offset:2048
	;; [unrolled: 1-line block ×3, first 2 shown]
	s_mov_b64 s[0:1], 0
.LBB52_2:
	s_andn2_b64 vcc, exec, s[0:1]
	s_cbranch_vccnz .LBB52_27
; %bb.3:
	v_cmp_gt_i32_e32 vcc, s6, v0
	v_mov_b32_e32 v4, 0
	v_mov_b32_e32 v1, 0
	v_or_b32_e32 v2, s2, v0
	v_mov_b32_e32 v5, 0
	v_mov_b32_e32 v3, v0
	s_and_saveexec_b64 s[4:5], vcc
	s_cbranch_execz .LBB52_5
; %bb.4:
	v_mov_b32_e32 v3, 0
	v_lshlrev_b64 v[4:5], 1, v[2:3]
	v_mov_b32_e32 v3, s13
	v_add_co_u32_e64 v6, s[0:1], s12, v4
	v_addc_co_u32_e64 v7, s[0:1], v3, v5, s[0:1]
	v_mov_b32_e32 v3, s11
	v_add_co_u32_e64 v8, s[0:1], s10, v4
	v_addc_co_u32_e64 v9, s[0:1], v3, v5, s[0:1]
	global_load_ushort v4, v[8:9], off
	global_load_ushort v5, v[6:7], off
	v_or_b32_e32 v3, 0x100, v0
.LBB52_5:
	s_or_b64 exec, exec, s[4:5]
	v_cmp_gt_i32_e64 s[0:1], s6, v3
	v_mov_b32_e32 v7, 0
	s_and_saveexec_b64 s[4:5], s[0:1]
	s_cbranch_execz .LBB52_7
; %bb.6:
	v_add_u32_e32 v6, s2, v3
	v_mov_b32_e32 v7, 0
	v_lshlrev_b64 v[6:7], 1, v[6:7]
	v_mov_b32_e32 v1, s13
	v_add_co_u32_e64 v8, s[0:1], s12, v6
	v_addc_co_u32_e64 v9, s[0:1], v1, v7, s[0:1]
	v_mov_b32_e32 v1, s11
	v_add_co_u32_e64 v10, s[0:1], s10, v6
	v_addc_co_u32_e64 v11, s[0:1], v1, v7, s[0:1]
	global_load_ushort v1, v[10:11], off
	global_load_ushort v7, v[8:9], off
	v_add_u32_e32 v3, 0x100, v3
.LBB52_7:
	s_or_b64 exec, exec, s[4:5]
	v_cmp_gt_i32_e64 s[0:1], s6, v3
	v_mov_b32_e32 v9, 0
	v_mov_b32_e32 v6, 0
	v_mov_b32_e32 v10, 0
	s_and_saveexec_b64 s[4:5], s[0:1]
	s_cbranch_execz .LBB52_9
; %bb.8:
	v_add_u32_e32 v8, s2, v3
	v_mov_b32_e32 v9, 0
	v_lshlrev_b64 v[8:9], 1, v[8:9]
	v_mov_b32_e32 v10, s13
	v_add_co_u32_e64 v12, s[0:1], s12, v8
	v_addc_co_u32_e64 v13, s[0:1], v10, v9, s[0:1]
	v_mov_b32_e32 v10, s11
	v_add_co_u32_e64 v14, s[0:1], s10, v8
	v_addc_co_u32_e64 v15, s[0:1], v10, v9, s[0:1]
	global_load_ushort v9, v[14:15], off
	global_load_ushort v10, v[12:13], off
	v_add_u32_e32 v3, 0x100, v3
.LBB52_9:
	s_or_b64 exec, exec, s[4:5]
	v_cmp_gt_i32_e64 s[0:1], s6, v3
	v_mov_b32_e32 v11, 0
	s_and_saveexec_b64 s[4:5], s[0:1]
	s_cbranch_execz .LBB52_11
; %bb.10:
	v_add_u32_e32 v12, s2, v3
	v_mov_b32_e32 v13, 0
	v_lshlrev_b64 v[12:13], 1, v[12:13]
	v_mov_b32_e32 v6, s13
	v_add_co_u32_e64 v14, s[0:1], s12, v12
	v_addc_co_u32_e64 v15, s[0:1], v6, v13, s[0:1]
	v_mov_b32_e32 v6, s11
	v_add_co_u32_e64 v12, s[0:1], s10, v12
	v_addc_co_u32_e64 v13, s[0:1], v6, v13, s[0:1]
	global_load_ushort v6, v[12:13], off
	global_load_ushort v11, v[14:15], off
	v_add_u32_e32 v3, 0x100, v3
.LBB52_11:
	s_or_b64 exec, exec, s[4:5]
	v_cmp_gt_i32_e64 s[0:1], s6, v3
	v_mov_b32_e32 v13, 0
	v_mov_b32_e32 v8, 0
	v_mov_b32_e32 v14, 0
	s_and_saveexec_b64 s[4:5], s[0:1]
	s_cbranch_execz .LBB52_13
; %bb.12:
	v_add_u32_e32 v12, s2, v3
	v_mov_b32_e32 v13, 0
	v_lshlrev_b64 v[12:13], 1, v[12:13]
	v_mov_b32_e32 v14, s13
	v_add_co_u32_e64 v16, s[0:1], s12, v12
	v_addc_co_u32_e64 v17, s[0:1], v14, v13, s[0:1]
	v_mov_b32_e32 v14, s11
	v_add_co_u32_e64 v18, s[0:1], s10, v12
	v_addc_co_u32_e64 v19, s[0:1], v14, v13, s[0:1]
	global_load_ushort v13, v[18:19], off
	global_load_ushort v14, v[16:17], off
	v_add_u32_e32 v3, 0x100, v3
.LBB52_13:
	;; [unrolled: 40-line block ×3, first 2 shown]
	s_or_b64 exec, exec, s[4:5]
	v_cmp_gt_i32_e64 s[0:1], s6, v3
	v_mov_b32_e32 v18, 0
	s_and_saveexec_b64 s[4:5], s[0:1]
	s_cbranch_execnz .LBB52_28
; %bb.18:
	s_or_b64 exec, exec, s[4:5]
	s_and_saveexec_b64 s[0:1], vcc
	s_cbranch_execnz .LBB52_29
.LBB52_19:
	s_or_b64 exec, exec, s[0:1]
	v_cmp_gt_i32_e32 vcc, s6, v0
	s_and_saveexec_b64 s[0:1], vcc
	s_cbranch_execnz .LBB52_30
.LBB52_20:
	s_or_b64 exec, exec, s[0:1]
	v_cmp_gt_i32_e32 vcc, s6, v0
	s_and_saveexec_b64 s[0:1], vcc
	s_cbranch_execnz .LBB52_31
.LBB52_21:
	s_or_b64 exec, exec, s[0:1]
	v_cmp_gt_i32_e32 vcc, s6, v0
	s_and_saveexec_b64 s[0:1], vcc
	s_cbranch_execnz .LBB52_32
.LBB52_22:
	s_or_b64 exec, exec, s[0:1]
	v_cmp_gt_i32_e32 vcc, s6, v0
	s_and_saveexec_b64 s[0:1], vcc
	s_cbranch_execnz .LBB52_33
.LBB52_23:
	s_or_b64 exec, exec, s[0:1]
	v_cmp_gt_i32_e32 vcc, s6, v0
	s_and_saveexec_b64 s[0:1], vcc
	s_cbranch_execnz .LBB52_34
.LBB52_24:
	s_or_b64 exec, exec, s[0:1]
	v_cmp_gt_i32_e32 vcc, s6, v0
	s_and_saveexec_b64 s[0:1], vcc
	s_cbranch_execnz .LBB52_35
.LBB52_25:
	s_or_b64 exec, exec, s[0:1]
	v_cmp_gt_i32_e32 vcc, s6, v0
	s_and_saveexec_b64 s[0:1], vcc
	s_cbranch_execz .LBB52_27
.LBB52_26:
	s_waitcnt vmcnt(0)
	v_mul_f16_e32 v1, v18, v12
	v_cmp_lt_f16_e32 vcc, 0, v12
	v_cndmask_b32_e32 v2, v1, v12, vcc
	v_add_u32_e32 v0, s2, v0
	v_mov_b32_e32 v1, 0
	v_lshlrev_b64 v[0:1], 1, v[0:1]
	v_mov_b32_e32 v3, s9
	v_add_co_u32_e32 v0, vcc, s8, v0
	v_addc_co_u32_e32 v1, vcc, v3, v1, vcc
	global_store_short v[0:1], v2, off
.LBB52_27:
	s_endpgm
.LBB52_28:
	v_add_u32_e32 v18, s2, v3
	v_mov_b32_e32 v19, 0
	v_lshlrev_b64 v[18:19], 1, v[18:19]
	v_mov_b32_e32 v3, s13
	v_add_co_u32_e64 v20, s[0:1], s12, v18
	v_addc_co_u32_e64 v21, s[0:1], v3, v19, s[0:1]
	v_mov_b32_e32 v3, s11
	v_add_co_u32_e64 v22, s[0:1], s10, v18
	v_addc_co_u32_e64 v23, s[0:1], v3, v19, s[0:1]
	global_load_ushort v12, v[22:23], off
	global_load_ushort v18, v[20:21], off
	s_or_b64 exec, exec, s[4:5]
	s_and_saveexec_b64 s[0:1], vcc
	s_cbranch_execz .LBB52_19
.LBB52_29:
	v_mov_b32_e32 v3, 0
	v_lshlrev_b64 v[2:3], 1, v[2:3]
	v_mov_b32_e32 v19, s9
	v_add_co_u32_e32 v2, vcc, s8, v2
	v_addc_co_u32_e32 v3, vcc, v19, v3, vcc
	s_waitcnt vmcnt(0)
	v_mul_f16_e32 v5, v5, v4
	v_cmp_lt_f16_e32 vcc, 0, v4
	v_or_b32_e32 v0, 0x100, v0
	v_cndmask_b32_e32 v4, v5, v4, vcc
	global_store_short v[2:3], v4, off
	s_or_b64 exec, exec, s[0:1]
	v_cmp_gt_i32_e32 vcc, s6, v0
	s_and_saveexec_b64 s[0:1], vcc
	s_cbranch_execz .LBB52_20
.LBB52_30:
	s_waitcnt vmcnt(0)
	v_mul_f16_e32 v2, v7, v1
	v_cmp_lt_f16_e32 vcc, 0, v1
	v_cndmask_b32_e32 v1, v2, v1, vcc
	v_add_u32_e32 v2, s2, v0
	v_mov_b32_e32 v3, 0
	v_lshlrev_b64 v[2:3], 1, v[2:3]
	v_mov_b32_e32 v4, s9
	v_add_co_u32_e32 v2, vcc, s8, v2
	v_addc_co_u32_e32 v3, vcc, v4, v3, vcc
	v_add_u32_e32 v0, 0x100, v0
	global_store_short v[2:3], v1, off
	s_or_b64 exec, exec, s[0:1]
	v_cmp_gt_i32_e32 vcc, s6, v0
	s_and_saveexec_b64 s[0:1], vcc
	s_cbranch_execz .LBB52_21
.LBB52_31:
	v_add_u32_e32 v2, s2, v0
	v_mov_b32_e32 v3, 0
	s_waitcnt vmcnt(0)
	v_mul_f16_e32 v1, v10, v9
	v_cmp_lt_f16_e32 vcc, 0, v9
	v_lshlrev_b64 v[2:3], 1, v[2:3]
	v_cndmask_b32_e32 v1, v1, v9, vcc
	v_mov_b32_e32 v4, s9
	v_add_co_u32_e32 v2, vcc, s8, v2
	v_addc_co_u32_e32 v3, vcc, v4, v3, vcc
	v_add_u32_e32 v0, 0x100, v0
	global_store_short v[2:3], v1, off
	s_or_b64 exec, exec, s[0:1]
	v_cmp_gt_i32_e32 vcc, s6, v0
	s_and_saveexec_b64 s[0:1], vcc
	s_cbranch_execz .LBB52_22
.LBB52_32:
	v_add_u32_e32 v2, s2, v0
	v_mov_b32_e32 v3, 0
	s_waitcnt vmcnt(0)
	v_mul_f16_e32 v1, v11, v6
	v_cmp_lt_f16_e32 vcc, 0, v6
	v_lshlrev_b64 v[2:3], 1, v[2:3]
	v_cndmask_b32_e32 v1, v1, v6, vcc
	v_mov_b32_e32 v4, s9
	v_add_co_u32_e32 v2, vcc, s8, v2
	v_addc_co_u32_e32 v3, vcc, v4, v3, vcc
	v_add_u32_e32 v0, 0x100, v0
	global_store_short v[2:3], v1, off
	s_or_b64 exec, exec, s[0:1]
	v_cmp_gt_i32_e32 vcc, s6, v0
	s_and_saveexec_b64 s[0:1], vcc
	s_cbranch_execz .LBB52_23
.LBB52_33:
	v_add_u32_e32 v2, s2, v0
	v_mov_b32_e32 v3, 0
	s_waitcnt vmcnt(0)
	v_mul_f16_e32 v1, v14, v13
	v_cmp_lt_f16_e32 vcc, 0, v13
	v_lshlrev_b64 v[2:3], 1, v[2:3]
	v_cndmask_b32_e32 v1, v1, v13, vcc
	v_mov_b32_e32 v4, s9
	v_add_co_u32_e32 v2, vcc, s8, v2
	v_addc_co_u32_e32 v3, vcc, v4, v3, vcc
	v_add_u32_e32 v0, 0x100, v0
	global_store_short v[2:3], v1, off
	s_or_b64 exec, exec, s[0:1]
	v_cmp_gt_i32_e32 vcc, s6, v0
	s_and_saveexec_b64 s[0:1], vcc
	s_cbranch_execz .LBB52_24
.LBB52_34:
	v_add_u32_e32 v2, s2, v0
	v_mov_b32_e32 v3, 0
	s_waitcnt vmcnt(0)
	v_mul_f16_e32 v1, v15, v8
	v_cmp_lt_f16_e32 vcc, 0, v8
	v_lshlrev_b64 v[2:3], 1, v[2:3]
	v_cndmask_b32_e32 v1, v1, v8, vcc
	v_mov_b32_e32 v4, s9
	v_add_co_u32_e32 v2, vcc, s8, v2
	v_addc_co_u32_e32 v3, vcc, v4, v3, vcc
	v_add_u32_e32 v0, 0x100, v0
	global_store_short v[2:3], v1, off
	s_or_b64 exec, exec, s[0:1]
	v_cmp_gt_i32_e32 vcc, s6, v0
	s_and_saveexec_b64 s[0:1], vcc
	s_cbranch_execz .LBB52_25
.LBB52_35:
	v_add_u32_e32 v2, s2, v0
	v_mov_b32_e32 v3, 0
	s_waitcnt vmcnt(0)
	v_mul_f16_e32 v1, v17, v16
	v_cmp_lt_f16_e32 vcc, 0, v16
	v_lshlrev_b64 v[2:3], 1, v[2:3]
	v_cndmask_b32_e32 v1, v1, v16, vcc
	v_mov_b32_e32 v4, s9
	v_add_co_u32_e32 v2, vcc, s8, v2
	v_addc_co_u32_e32 v3, vcc, v4, v3, vcc
	v_add_u32_e32 v0, 0x100, v0
	global_store_short v[2:3], v1, off
	s_or_b64 exec, exec, s[0:1]
	v_cmp_gt_i32_e32 vcc, s6, v0
	s_and_saveexec_b64 s[0:1], vcc
	s_cbranch_execnz .LBB52_26
	s_branch .LBB52_27
	.section	.rodata,"a",@progbits
	.p2align	6, 0x0
	.amdhsa_kernel _ZN2at6native29vectorized_elementwise_kernelILi2EZZZNS0_12prelu_kernelERNS_14TensorIteratorEENKUlvE_clEvENKUlvE2_clEvEUlN3c104HalfES7_E_St5arrayIPcLm3EEEEviT0_T1_
		.amdhsa_group_segment_fixed_size 0
		.amdhsa_private_segment_fixed_size 0
		.amdhsa_kernarg_size 32
		.amdhsa_user_sgpr_count 6
		.amdhsa_user_sgpr_private_segment_buffer 1
		.amdhsa_user_sgpr_dispatch_ptr 0
		.amdhsa_user_sgpr_queue_ptr 0
		.amdhsa_user_sgpr_kernarg_segment_ptr 1
		.amdhsa_user_sgpr_dispatch_id 0
		.amdhsa_user_sgpr_flat_scratch_init 0
		.amdhsa_user_sgpr_kernarg_preload_length 0
		.amdhsa_user_sgpr_kernarg_preload_offset 0
		.amdhsa_user_sgpr_private_segment_size 0
		.amdhsa_uses_dynamic_stack 0
		.amdhsa_system_sgpr_private_segment_wavefront_offset 0
		.amdhsa_system_sgpr_workgroup_id_x 1
		.amdhsa_system_sgpr_workgroup_id_y 0
		.amdhsa_system_sgpr_workgroup_id_z 0
		.amdhsa_system_sgpr_workgroup_info 0
		.amdhsa_system_vgpr_workitem_id 0
		.amdhsa_next_free_vgpr 24
		.amdhsa_next_free_sgpr 16
		.amdhsa_accum_offset 24
		.amdhsa_reserve_vcc 1
		.amdhsa_reserve_flat_scratch 0
		.amdhsa_float_round_mode_32 0
		.amdhsa_float_round_mode_16_64 0
		.amdhsa_float_denorm_mode_32 3
		.amdhsa_float_denorm_mode_16_64 3
		.amdhsa_dx10_clamp 1
		.amdhsa_ieee_mode 1
		.amdhsa_fp16_overflow 0
		.amdhsa_tg_split 0
		.amdhsa_exception_fp_ieee_invalid_op 0
		.amdhsa_exception_fp_denorm_src 0
		.amdhsa_exception_fp_ieee_div_zero 0
		.amdhsa_exception_fp_ieee_overflow 0
		.amdhsa_exception_fp_ieee_underflow 0
		.amdhsa_exception_fp_ieee_inexact 0
		.amdhsa_exception_int_div_zero 0
	.end_amdhsa_kernel
	.section	.text._ZN2at6native29vectorized_elementwise_kernelILi2EZZZNS0_12prelu_kernelERNS_14TensorIteratorEENKUlvE_clEvENKUlvE2_clEvEUlN3c104HalfES7_E_St5arrayIPcLm3EEEEviT0_T1_,"axG",@progbits,_ZN2at6native29vectorized_elementwise_kernelILi2EZZZNS0_12prelu_kernelERNS_14TensorIteratorEENKUlvE_clEvENKUlvE2_clEvEUlN3c104HalfES7_E_St5arrayIPcLm3EEEEviT0_T1_,comdat
.Lfunc_end52:
	.size	_ZN2at6native29vectorized_elementwise_kernelILi2EZZZNS0_12prelu_kernelERNS_14TensorIteratorEENKUlvE_clEvENKUlvE2_clEvEUlN3c104HalfES7_E_St5arrayIPcLm3EEEEviT0_T1_, .Lfunc_end52-_ZN2at6native29vectorized_elementwise_kernelILi2EZZZNS0_12prelu_kernelERNS_14TensorIteratorEENKUlvE_clEvENKUlvE2_clEvEUlN3c104HalfES7_E_St5arrayIPcLm3EEEEviT0_T1_
                                        ; -- End function
	.section	.AMDGPU.csdata,"",@progbits
; Kernel info:
; codeLenInByte = 1972
; NumSgprs: 20
; NumVgprs: 24
; NumAgprs: 0
; TotalNumVgprs: 24
; ScratchSize: 0
; MemoryBound: 0
; FloatMode: 240
; IeeeMode: 1
; LDSByteSize: 0 bytes/workgroup (compile time only)
; SGPRBlocks: 2
; VGPRBlocks: 2
; NumSGPRsForWavesPerEU: 20
; NumVGPRsForWavesPerEU: 24
; AccumOffset: 24
; Occupancy: 8
; WaveLimiterHint : 1
; COMPUTE_PGM_RSRC2:SCRATCH_EN: 0
; COMPUTE_PGM_RSRC2:USER_SGPR: 6
; COMPUTE_PGM_RSRC2:TRAP_HANDLER: 0
; COMPUTE_PGM_RSRC2:TGID_X_EN: 1
; COMPUTE_PGM_RSRC2:TGID_Y_EN: 0
; COMPUTE_PGM_RSRC2:TGID_Z_EN: 0
; COMPUTE_PGM_RSRC2:TIDIG_COMP_CNT: 0
; COMPUTE_PGM_RSRC3_GFX90A:ACCUM_OFFSET: 5
; COMPUTE_PGM_RSRC3_GFX90A:TG_SPLIT: 0
	.section	.text._ZN2at6native27unrolled_elementwise_kernelIZZZNS0_12prelu_kernelERNS_14TensorIteratorEENKUlvE_clEvENKUlvE2_clEvEUlN3c104HalfES7_E_St5arrayIPcLm3EELi4E23TrivialOffsetCalculatorILi2EjESC_ILi1EjENS0_6memory15LoadWithoutCastENSF_16StoreWithoutCastEEEviT_T0_T2_T3_T4_T5_,"axG",@progbits,_ZN2at6native27unrolled_elementwise_kernelIZZZNS0_12prelu_kernelERNS_14TensorIteratorEENKUlvE_clEvENKUlvE2_clEvEUlN3c104HalfES7_E_St5arrayIPcLm3EELi4E23TrivialOffsetCalculatorILi2EjESC_ILi1EjENS0_6memory15LoadWithoutCastENSF_16StoreWithoutCastEEEviT_T0_T2_T3_T4_T5_,comdat
	.globl	_ZN2at6native27unrolled_elementwise_kernelIZZZNS0_12prelu_kernelERNS_14TensorIteratorEENKUlvE_clEvENKUlvE2_clEvEUlN3c104HalfES7_E_St5arrayIPcLm3EELi4E23TrivialOffsetCalculatorILi2EjESC_ILi1EjENS0_6memory15LoadWithoutCastENSF_16StoreWithoutCastEEEviT_T0_T2_T3_T4_T5_ ; -- Begin function _ZN2at6native27unrolled_elementwise_kernelIZZZNS0_12prelu_kernelERNS_14TensorIteratorEENKUlvE_clEvENKUlvE2_clEvEUlN3c104HalfES7_E_St5arrayIPcLm3EELi4E23TrivialOffsetCalculatorILi2EjESC_ILi1EjENS0_6memory15LoadWithoutCastENSF_16StoreWithoutCastEEEviT_T0_T2_T3_T4_T5_
	.p2align	8
	.type	_ZN2at6native27unrolled_elementwise_kernelIZZZNS0_12prelu_kernelERNS_14TensorIteratorEENKUlvE_clEvENKUlvE2_clEvEUlN3c104HalfES7_E_St5arrayIPcLm3EELi4E23TrivialOffsetCalculatorILi2EjESC_ILi1EjENS0_6memory15LoadWithoutCastENSF_16StoreWithoutCastEEEviT_T0_T2_T3_T4_T5_,@function
_ZN2at6native27unrolled_elementwise_kernelIZZZNS0_12prelu_kernelERNS_14TensorIteratorEENKUlvE_clEvENKUlvE2_clEvEUlN3c104HalfES7_E_St5arrayIPcLm3EELi4E23TrivialOffsetCalculatorILi2EjESC_ILi1EjENS0_6memory15LoadWithoutCastENSF_16StoreWithoutCastEEEviT_T0_T2_T3_T4_T5_: ; @_ZN2at6native27unrolled_elementwise_kernelIZZZNS0_12prelu_kernelERNS_14TensorIteratorEENKUlvE_clEvENKUlvE2_clEvEUlN3c104HalfES7_E_St5arrayIPcLm3EELi4E23TrivialOffsetCalculatorILi2EjESC_ILi1EjENS0_6memory15LoadWithoutCastENSF_16StoreWithoutCastEEEviT_T0_T2_T3_T4_T5_
; %bb.0:
	s_load_dword s0, s[4:5], 0x0
	s_load_dwordx4 s[8:11], s[4:5], 0x8
	s_load_dwordx2 s[2:3], s[4:5], 0x18
	s_lshl_b32 s6, s6, 10
	v_mov_b32_e32 v4, 0
	s_waitcnt lgkmcnt(0)
	s_sub_i32 s7, s0, s6
	v_cmp_gt_i32_e32 vcc, s7, v0
	v_mov_b32_e32 v1, 0
	v_or_b32_e32 v2, s6, v0
	v_mov_b32_e32 v5, 0
	v_mov_b32_e32 v3, v0
	s_and_saveexec_b64 s[4:5], vcc
	s_cbranch_execz .LBB53_2
; %bb.1:
	v_mov_b32_e32 v3, 0
	v_lshlrev_b64 v[4:5], 1, v[2:3]
	v_mov_b32_e32 v3, s11
	v_add_co_u32_e64 v6, s[0:1], s10, v4
	v_addc_co_u32_e64 v7, s[0:1], v3, v5, s[0:1]
	v_mov_b32_e32 v3, s3
	v_add_co_u32_e64 v8, s[0:1], s2, v4
	v_addc_co_u32_e64 v9, s[0:1], v3, v5, s[0:1]
	global_load_ushort v4, v[6:7], off
	global_load_ushort v5, v[8:9], off
	v_or_b32_e32 v3, 0x100, v0
.LBB53_2:
	s_or_b64 exec, exec, s[4:5]
	v_cmp_gt_i32_e64 s[0:1], s7, v3
	v_mov_b32_e32 v7, 0
	s_and_saveexec_b64 s[4:5], s[0:1]
	s_cbranch_execz .LBB53_4
; %bb.3:
	v_add_u32_e32 v6, s6, v3
	v_mov_b32_e32 v7, 0
	v_lshlrev_b64 v[6:7], 1, v[6:7]
	v_mov_b32_e32 v1, s11
	v_add_co_u32_e64 v8, s[0:1], s10, v6
	v_addc_co_u32_e64 v9, s[0:1], v1, v7, s[0:1]
	v_mov_b32_e32 v1, s3
	v_add_co_u32_e64 v10, s[0:1], s2, v6
	v_addc_co_u32_e64 v11, s[0:1], v1, v7, s[0:1]
	global_load_ushort v1, v[8:9], off
	global_load_ushort v7, v[10:11], off
	v_add_u32_e32 v3, 0x100, v3
.LBB53_4:
	s_or_b64 exec, exec, s[4:5]
	v_cmp_gt_i32_e64 s[0:1], s7, v3
	v_mov_b32_e32 v8, 0
	v_mov_b32_e32 v6, 0
	;; [unrolled: 1-line block ×3, first 2 shown]
	s_and_saveexec_b64 s[4:5], s[0:1]
	s_cbranch_execz .LBB53_6
; %bb.5:
	v_add_u32_e32 v8, s6, v3
	v_mov_b32_e32 v9, 0
	v_lshlrev_b64 v[8:9], 1, v[8:9]
	v_mov_b32_e32 v11, s11
	v_add_co_u32_e64 v10, s[0:1], s10, v8
	v_addc_co_u32_e64 v11, s[0:1], v11, v9, s[0:1]
	v_mov_b32_e32 v13, s3
	v_add_co_u32_e64 v12, s[0:1], s2, v8
	v_addc_co_u32_e64 v13, s[0:1], v13, v9, s[0:1]
	global_load_ushort v8, v[10:11], off
	global_load_ushort v9, v[12:13], off
	v_add_u32_e32 v3, 0x100, v3
.LBB53_6:
	s_or_b64 exec, exec, s[4:5]
	v_cmp_gt_i32_e64 s[0:1], s7, v3
	v_mov_b32_e32 v10, 0
	s_and_saveexec_b64 s[4:5], s[0:1]
	s_cbranch_execnz .LBB53_12
; %bb.7:
	s_or_b64 exec, exec, s[4:5]
	s_and_saveexec_b64 s[0:1], vcc
	s_cbranch_execnz .LBB53_13
.LBB53_8:
	s_or_b64 exec, exec, s[0:1]
	v_cmp_gt_i32_e32 vcc, s7, v0
	s_and_saveexec_b64 s[0:1], vcc
	s_cbranch_execnz .LBB53_14
.LBB53_9:
	s_or_b64 exec, exec, s[0:1]
	v_cmp_gt_i32_e32 vcc, s7, v0
	s_and_saveexec_b64 s[0:1], vcc
	s_cbranch_execnz .LBB53_15
.LBB53_10:
	s_or_b64 exec, exec, s[0:1]
	v_cmp_gt_i32_e32 vcc, s7, v0
	s_and_saveexec_b64 s[0:1], vcc
	s_cbranch_execnz .LBB53_16
.LBB53_11:
	s_endpgm
.LBB53_12:
	v_add_u32_e32 v10, s6, v3
	v_mov_b32_e32 v11, 0
	v_lshlrev_b64 v[10:11], 1, v[10:11]
	v_mov_b32_e32 v3, s11
	v_add_co_u32_e64 v12, s[0:1], s10, v10
	v_addc_co_u32_e64 v13, s[0:1], v3, v11, s[0:1]
	v_mov_b32_e32 v3, s3
	v_add_co_u32_e64 v14, s[0:1], s2, v10
	v_addc_co_u32_e64 v15, s[0:1], v3, v11, s[0:1]
	global_load_ushort v6, v[12:13], off
	global_load_ushort v10, v[14:15], off
	s_or_b64 exec, exec, s[4:5]
	s_and_saveexec_b64 s[0:1], vcc
	s_cbranch_execz .LBB53_8
.LBB53_13:
	v_mov_b32_e32 v3, 0
	v_lshlrev_b64 v[2:3], 1, v[2:3]
	v_mov_b32_e32 v11, s9
	v_add_co_u32_e32 v2, vcc, s8, v2
	v_addc_co_u32_e32 v3, vcc, v11, v3, vcc
	s_waitcnt vmcnt(0)
	v_mul_f16_e32 v5, v5, v4
	v_cmp_lt_f16_e32 vcc, 0, v4
	v_or_b32_e32 v0, 0x100, v0
	v_cndmask_b32_e32 v4, v5, v4, vcc
	global_store_short v[2:3], v4, off
	s_or_b64 exec, exec, s[0:1]
	v_cmp_gt_i32_e32 vcc, s7, v0
	s_and_saveexec_b64 s[0:1], vcc
	s_cbranch_execz .LBB53_9
.LBB53_14:
	s_waitcnt vmcnt(0)
	v_mul_f16_e32 v2, v7, v1
	v_cmp_lt_f16_e32 vcc, 0, v1
	v_cndmask_b32_e32 v2, v2, v1, vcc
	v_add_u32_e32 v3, 0x100, v0
	v_add_u32_e32 v0, s6, v0
	v_mov_b32_e32 v1, 0
	v_lshlrev_b64 v[0:1], 1, v[0:1]
	v_mov_b32_e32 v4, s9
	v_add_co_u32_e32 v0, vcc, s8, v0
	v_addc_co_u32_e32 v1, vcc, v4, v1, vcc
	global_store_short v[0:1], v2, off
	v_mov_b32_e32 v0, v3
	s_or_b64 exec, exec, s[0:1]
	v_cmp_gt_i32_e32 vcc, s7, v0
	s_and_saveexec_b64 s[0:1], vcc
	s_cbranch_execz .LBB53_10
.LBB53_15:
	s_waitcnt vmcnt(0)
	v_mul_f16_e32 v1, v9, v8
	v_cmp_lt_f16_e32 vcc, 0, v8
	v_cndmask_b32_e32 v2, v1, v8, vcc
	v_add_u32_e32 v3, 0x100, v0
	v_add_u32_e32 v0, s6, v0
	v_mov_b32_e32 v1, 0
	v_lshlrev_b64 v[0:1], 1, v[0:1]
	v_mov_b32_e32 v4, s9
	v_add_co_u32_e32 v0, vcc, s8, v0
	v_addc_co_u32_e32 v1, vcc, v4, v1, vcc
	global_store_short v[0:1], v2, off
	v_mov_b32_e32 v0, v3
	s_or_b64 exec, exec, s[0:1]
	v_cmp_gt_i32_e32 vcc, s7, v0
	s_and_saveexec_b64 s[0:1], vcc
	s_cbranch_execz .LBB53_11
.LBB53_16:
	s_waitcnt vmcnt(0)
	v_mul_f16_e32 v1, v10, v6
	v_cmp_lt_f16_e32 vcc, 0, v6
	v_cndmask_b32_e32 v2, v1, v6, vcc
	v_add_u32_e32 v0, s6, v0
	v_mov_b32_e32 v1, 0
	v_lshlrev_b64 v[0:1], 1, v[0:1]
	v_mov_b32_e32 v3, s9
	v_add_co_u32_e32 v0, vcc, s8, v0
	v_addc_co_u32_e32 v1, vcc, v3, v1, vcc
	global_store_short v[0:1], v2, off
	s_endpgm
	.section	.rodata,"a",@progbits
	.p2align	6, 0x0
	.amdhsa_kernel _ZN2at6native27unrolled_elementwise_kernelIZZZNS0_12prelu_kernelERNS_14TensorIteratorEENKUlvE_clEvENKUlvE2_clEvEUlN3c104HalfES7_E_St5arrayIPcLm3EELi4E23TrivialOffsetCalculatorILi2EjESC_ILi1EjENS0_6memory15LoadWithoutCastENSF_16StoreWithoutCastEEEviT_T0_T2_T3_T4_T5_
		.amdhsa_group_segment_fixed_size 0
		.amdhsa_private_segment_fixed_size 0
		.amdhsa_kernarg_size 36
		.amdhsa_user_sgpr_count 6
		.amdhsa_user_sgpr_private_segment_buffer 1
		.amdhsa_user_sgpr_dispatch_ptr 0
		.amdhsa_user_sgpr_queue_ptr 0
		.amdhsa_user_sgpr_kernarg_segment_ptr 1
		.amdhsa_user_sgpr_dispatch_id 0
		.amdhsa_user_sgpr_flat_scratch_init 0
		.amdhsa_user_sgpr_kernarg_preload_length 0
		.amdhsa_user_sgpr_kernarg_preload_offset 0
		.amdhsa_user_sgpr_private_segment_size 0
		.amdhsa_uses_dynamic_stack 0
		.amdhsa_system_sgpr_private_segment_wavefront_offset 0
		.amdhsa_system_sgpr_workgroup_id_x 1
		.amdhsa_system_sgpr_workgroup_id_y 0
		.amdhsa_system_sgpr_workgroup_id_z 0
		.amdhsa_system_sgpr_workgroup_info 0
		.amdhsa_system_vgpr_workitem_id 0
		.amdhsa_next_free_vgpr 16
		.amdhsa_next_free_sgpr 12
		.amdhsa_accum_offset 16
		.amdhsa_reserve_vcc 1
		.amdhsa_reserve_flat_scratch 0
		.amdhsa_float_round_mode_32 0
		.amdhsa_float_round_mode_16_64 0
		.amdhsa_float_denorm_mode_32 3
		.amdhsa_float_denorm_mode_16_64 3
		.amdhsa_dx10_clamp 1
		.amdhsa_ieee_mode 1
		.amdhsa_fp16_overflow 0
		.amdhsa_tg_split 0
		.amdhsa_exception_fp_ieee_invalid_op 0
		.amdhsa_exception_fp_denorm_src 0
		.amdhsa_exception_fp_ieee_div_zero 0
		.amdhsa_exception_fp_ieee_overflow 0
		.amdhsa_exception_fp_ieee_underflow 0
		.amdhsa_exception_fp_ieee_inexact 0
		.amdhsa_exception_int_div_zero 0
	.end_amdhsa_kernel
	.section	.text._ZN2at6native27unrolled_elementwise_kernelIZZZNS0_12prelu_kernelERNS_14TensorIteratorEENKUlvE_clEvENKUlvE2_clEvEUlN3c104HalfES7_E_St5arrayIPcLm3EELi4E23TrivialOffsetCalculatorILi2EjESC_ILi1EjENS0_6memory15LoadWithoutCastENSF_16StoreWithoutCastEEEviT_T0_T2_T3_T4_T5_,"axG",@progbits,_ZN2at6native27unrolled_elementwise_kernelIZZZNS0_12prelu_kernelERNS_14TensorIteratorEENKUlvE_clEvENKUlvE2_clEvEUlN3c104HalfES7_E_St5arrayIPcLm3EELi4E23TrivialOffsetCalculatorILi2EjESC_ILi1EjENS0_6memory15LoadWithoutCastENSF_16StoreWithoutCastEEEviT_T0_T2_T3_T4_T5_,comdat
.Lfunc_end53:
	.size	_ZN2at6native27unrolled_elementwise_kernelIZZZNS0_12prelu_kernelERNS_14TensorIteratorEENKUlvE_clEvENKUlvE2_clEvEUlN3c104HalfES7_E_St5arrayIPcLm3EELi4E23TrivialOffsetCalculatorILi2EjESC_ILi1EjENS0_6memory15LoadWithoutCastENSF_16StoreWithoutCastEEEviT_T0_T2_T3_T4_T5_, .Lfunc_end53-_ZN2at6native27unrolled_elementwise_kernelIZZZNS0_12prelu_kernelERNS_14TensorIteratorEENKUlvE_clEvENKUlvE2_clEvEUlN3c104HalfES7_E_St5arrayIPcLm3EELi4E23TrivialOffsetCalculatorILi2EjESC_ILi1EjENS0_6memory15LoadWithoutCastENSF_16StoreWithoutCastEEEviT_T0_T2_T3_T4_T5_
                                        ; -- End function
	.section	.AMDGPU.csdata,"",@progbits
; Kernel info:
; codeLenInByte = 820
; NumSgprs: 16
; NumVgprs: 16
; NumAgprs: 0
; TotalNumVgprs: 16
; ScratchSize: 0
; MemoryBound: 0
; FloatMode: 240
; IeeeMode: 1
; LDSByteSize: 0 bytes/workgroup (compile time only)
; SGPRBlocks: 1
; VGPRBlocks: 1
; NumSGPRsForWavesPerEU: 16
; NumVGPRsForWavesPerEU: 16
; AccumOffset: 16
; Occupancy: 8
; WaveLimiterHint : 0
; COMPUTE_PGM_RSRC2:SCRATCH_EN: 0
; COMPUTE_PGM_RSRC2:USER_SGPR: 6
; COMPUTE_PGM_RSRC2:TRAP_HANDLER: 0
; COMPUTE_PGM_RSRC2:TGID_X_EN: 1
; COMPUTE_PGM_RSRC2:TGID_Y_EN: 0
; COMPUTE_PGM_RSRC2:TGID_Z_EN: 0
; COMPUTE_PGM_RSRC2:TIDIG_COMP_CNT: 0
; COMPUTE_PGM_RSRC3_GFX90A:ACCUM_OFFSET: 3
; COMPUTE_PGM_RSRC3_GFX90A:TG_SPLIT: 0
	.section	.text._ZN2at6native32elementwise_kernel_manual_unrollILi128ELi8EZNS0_22gpu_kernel_impl_nocastIZZZNS0_12prelu_kernelERNS_14TensorIteratorEENKUlvE_clEvENKUlvE2_clEvEUlN3c104HalfES8_E_EEvRNS_18TensorIteratorBaseERKT_EUlibE_EEviT1_,"axG",@progbits,_ZN2at6native32elementwise_kernel_manual_unrollILi128ELi8EZNS0_22gpu_kernel_impl_nocastIZZZNS0_12prelu_kernelERNS_14TensorIteratorEENKUlvE_clEvENKUlvE2_clEvEUlN3c104HalfES8_E_EEvRNS_18TensorIteratorBaseERKT_EUlibE_EEviT1_,comdat
	.globl	_ZN2at6native32elementwise_kernel_manual_unrollILi128ELi8EZNS0_22gpu_kernel_impl_nocastIZZZNS0_12prelu_kernelERNS_14TensorIteratorEENKUlvE_clEvENKUlvE2_clEvEUlN3c104HalfES8_E_EEvRNS_18TensorIteratorBaseERKT_EUlibE_EEviT1_ ; -- Begin function _ZN2at6native32elementwise_kernel_manual_unrollILi128ELi8EZNS0_22gpu_kernel_impl_nocastIZZZNS0_12prelu_kernelERNS_14TensorIteratorEENKUlvE_clEvENKUlvE2_clEvEUlN3c104HalfES8_E_EEvRNS_18TensorIteratorBaseERKT_EUlibE_EEviT1_
	.p2align	8
	.type	_ZN2at6native32elementwise_kernel_manual_unrollILi128ELi8EZNS0_22gpu_kernel_impl_nocastIZZZNS0_12prelu_kernelERNS_14TensorIteratorEENKUlvE_clEvENKUlvE2_clEvEUlN3c104HalfES8_E_EEvRNS_18TensorIteratorBaseERKT_EUlibE_EEviT1_,@function
_ZN2at6native32elementwise_kernel_manual_unrollILi128ELi8EZNS0_22gpu_kernel_impl_nocastIZZZNS0_12prelu_kernelERNS_14TensorIteratorEENKUlvE_clEvENKUlvE2_clEvEUlN3c104HalfES8_E_EEvRNS_18TensorIteratorBaseERKT_EUlibE_EEviT1_: ; @_ZN2at6native32elementwise_kernel_manual_unrollILi128ELi8EZNS0_22gpu_kernel_impl_nocastIZZZNS0_12prelu_kernelERNS_14TensorIteratorEENKUlvE_clEvENKUlvE2_clEvEUlN3c104HalfES8_E_EEvRNS_18TensorIteratorBaseERKT_EUlibE_EEviT1_
; %bb.0:
	s_load_dword s36, s[4:5], 0x0
	s_load_dword s33, s[4:5], 0x8
	s_or_b32 s4, s4, 8
	v_lshl_or_b32 v36, s6, 10, v0
	v_or_b32_e32 v48, 0x380, v36
	s_waitcnt lgkmcnt(0)
	v_cmp_le_i32_e32 vcc, s36, v48
	s_add_i32 s34, s33, -1
	s_cmp_gt_u32 s34, 1
	s_cselect_b64 s[6:7], -1, 0
	s_and_saveexec_b64 s[0:1], vcc
	s_xor_b64 s[16:17], exec, s[0:1]
	s_cbranch_execz .LBB54_98
; %bb.1:
	s_load_dwordx4 s[12:15], s[4:5], 0x4
	s_load_dwordx2 s[22:23], s[4:5], 0x14
	s_load_dwordx4 s[8:11], s[4:5], 0xc4
	s_load_dwordx2 s[20:21], s[4:5], 0xd4
	s_load_dwordx2 s[18:19], s[4:5], 0x198
	s_load_dwordx4 s[0:3], s[4:5], 0x188
	s_cmp_lg_u32 s33, 0
	s_cselect_b64 s[26:27], -1, 0
	s_min_u32 s35, s34, 15
	s_cmp_gt_u32 s33, 1
	s_cselect_b64 s[24:25], -1, 0
	v_cmp_gt_i32_e32 vcc, s36, v36
	s_and_saveexec_b64 s[28:29], vcc
	s_cbranch_execnz .LBB54_9
; %bb.2:
	s_or_b64 exec, exec, s[28:29]
	v_cmp_gt_i32_e32 vcc, s36, v36
	s_and_saveexec_b64 s[28:29], vcc
	s_cbranch_execnz .LBB54_20
.LBB54_3:
	s_or_b64 exec, exec, s[28:29]
	v_cmp_gt_i32_e32 vcc, s36, v36
	s_and_saveexec_b64 s[28:29], vcc
	s_cbranch_execnz .LBB54_31
.LBB54_4:
	s_or_b64 exec, exec, s[28:29]
	v_cmp_gt_i32_e32 vcc, s36, v36
	s_and_saveexec_b64 s[28:29], vcc
	s_cbranch_execnz .LBB54_42
.LBB54_5:
	s_or_b64 exec, exec, s[28:29]
	v_cmp_gt_i32_e32 vcc, s36, v36
	s_and_saveexec_b64 s[28:29], vcc
	s_cbranch_execnz .LBB54_53
.LBB54_6:
	s_or_b64 exec, exec, s[28:29]
	v_cmp_gt_i32_e32 vcc, s36, v36
	s_and_saveexec_b64 s[28:29], vcc
	s_cbranch_execnz .LBB54_64
.LBB54_7:
	s_or_b64 exec, exec, s[28:29]
	v_cmp_gt_i32_e32 vcc, s36, v36
	s_and_saveexec_b64 s[28:29], vcc
	s_cbranch_execnz .LBB54_75
.LBB54_8:
	s_or_b64 exec, exec, s[28:29]
	v_cmp_gt_i32_e32 vcc, s36, v36
	s_and_saveexec_b64 s[28:29], vcc
	s_cbranch_execnz .LBB54_86
	s_branch .LBB54_97
.LBB54_9:
	s_andn2_b64 vcc, exec, s[6:7]
	s_cbranch_vccnz .LBB54_16
; %bb.10:
	s_andn2_b64 vcc, exec, s[26:27]
	v_mov_b32_e32 v2, 0
	v_mov_b32_e32 v4, 0
	;; [unrolled: 1-line block ×3, first 2 shown]
	s_cbranch_vccnz .LBB54_15
; %bb.11:
	s_add_i32 s30, s35, 1
	s_and_b32 s37, s30, 30
	s_add_u32 s30, s4, 0xffffffec
	s_addc_u32 s31, s5, -1
	v_mov_b32_e32 v0, 0
	v_mov_b32_e32 v1, v36
	;; [unrolled: 1-line block ×4, first 2 shown]
.LBB54_12:                              ; =>This Inner Loop Header: Depth=1
	s_mov_b64 s[38:39], s[30:31]
	s_load_dwordx4 s[40:43], s[38:39], 0x18
	s_load_dwordx2 s[48:49], s[38:39], 0x28
	s_load_dwordx2 s[50:51], s[38:39], 0xe8
	s_load_dwordx4 s[44:47], s[38:39], 0xd8
	s_add_u32 s30, s38, 24
	s_waitcnt lgkmcnt(0)
	v_mul_hi_u32 v3, s41, v1
	v_add_u32_e32 v3, v1, v3
	v_lshrrev_b32_e32 v3, s42, v3
	v_mul_lo_u32 v5, v3, s40
	v_mul_hi_u32 v6, s48, v3
	v_sub_u32_e32 v1, v1, v5
	v_add_u32_e32 v5, v3, v6
	v_mul_lo_u32 v6, v1, s44
	v_mul_lo_u32 v7, v1, s45
	;; [unrolled: 1-line block ×3, first 2 shown]
	v_lshrrev_b32_e32 v1, s49, v5
	v_mul_lo_u32 v5, v1, s43
	v_sub_u32_e32 v3, v3, v5
	s_addc_u32 s31, s39, 0
	s_add_i32 s37, s37, -2
	v_mul_lo_u32 v5, v3, s47
	v_mul_lo_u32 v9, v3, s50
	;; [unrolled: 1-line block ×3, first 2 shown]
	s_cmp_lg_u32 s37, 0
	v_add3_u32 v0, v6, v0, v5
	v_add3_u32 v2, v8, v2, v3
	;; [unrolled: 1-line block ×3, first 2 shown]
	s_cbranch_scc1 .LBB54_12
; %bb.13:
	s_bitcmp1_b32 s35, 0
	s_cselect_b64 s[38:39], -1, 0
	s_and_b64 vcc, exec, s[38:39]
	s_cbranch_vccnz .LBB54_15
; %bb.14:
	s_load_dwordx2 s[38:39], s[30:31], 0x18
	s_load_dword s37, s[30:31], 0x20
	s_load_dword s42, s[30:31], 0xe0
	s_load_dwordx2 s[40:41], s[30:31], 0xd8
	s_waitcnt lgkmcnt(0)
	v_mul_hi_u32 v3, s39, v1
	v_add_u32_e32 v3, v1, v3
	v_lshrrev_b32_e32 v3, s37, v3
	v_mul_lo_u32 v3, v3, s38
	v_sub_u32_e32 v3, v1, v3
	v_mad_u64_u32 v[0:1], s[30:31], v3, s40, v[0:1]
	v_mad_u64_u32 v[4:5], s[30:31], v3, s41, v[4:5]
	;; [unrolled: 1-line block ×3, first 2 shown]
.LBB54_15:
	s_cbranch_execz .LBB54_17
	s_branch .LBB54_19
.LBB54_16:
                                        ; implicit-def: $vgpr2
                                        ; implicit-def: $vgpr4
                                        ; implicit-def: $vgpr0
.LBB54_17:
	s_waitcnt lgkmcnt(0)
	v_mul_hi_u32 v0, s13, v36
	v_add_u32_e32 v0, v36, v0
	v_lshrrev_b32_e32 v1, s14, v0
	v_mul_lo_u32 v0, v1, s12
	v_sub_u32_e32 v3, v36, v0
	v_mul_lo_u32 v0, v3, s8
	v_mul_lo_u32 v2, v3, s10
	s_andn2_b64 vcc, exec, s[24:25]
	v_mul_lo_u32 v4, v3, s9
	s_cbranch_vccnz .LBB54_19
; %bb.18:
	v_mul_hi_u32 v3, s22, v1
	v_add_u32_e32 v3, v1, v3
	v_lshrrev_b32_e32 v3, s23, v3
	v_mul_lo_u32 v3, v3, s15
	v_sub_u32_e32 v3, v1, v3
	v_mad_u64_u32 v[0:1], s[30:31], v3, s11, v[0:1]
	v_mad_u64_u32 v[4:5], s[30:31], v3, s20, v[4:5]
	;; [unrolled: 1-line block ×3, first 2 shown]
.LBB54_19:
	s_waitcnt lgkmcnt(0)
	global_load_ushort v1, v4, s[2:3]
	global_load_ushort v3, v2, s[18:19]
	v_add_u32_e32 v36, 0x80, v36
	s_waitcnt vmcnt(1)
	v_cmp_lt_f16_e32 vcc, 0, v1
	s_waitcnt vmcnt(0)
	v_mul_f16_e32 v2, v3, v1
	v_cndmask_b32_e32 v1, v2, v1, vcc
	global_store_short v0, v1, s[0:1]
	s_or_b64 exec, exec, s[28:29]
	v_cmp_gt_i32_e32 vcc, s36, v36
	s_and_saveexec_b64 s[28:29], vcc
	s_cbranch_execz .LBB54_3
.LBB54_20:
	s_andn2_b64 vcc, exec, s[6:7]
	s_cbranch_vccnz .LBB54_27
; %bb.21:
	s_andn2_b64 vcc, exec, s[26:27]
	v_mov_b32_e32 v2, 0
	v_mov_b32_e32 v4, 0
	;; [unrolled: 1-line block ×3, first 2 shown]
	s_cbranch_vccnz .LBB54_26
; %bb.22:
	s_add_i32 s30, s35, 1
	s_and_b32 s37, s30, 30
	s_add_u32 s30, s4, 0xffffffec
	s_addc_u32 s31, s5, -1
	v_mov_b32_e32 v0, 0
	v_mov_b32_e32 v1, v36
	;; [unrolled: 1-line block ×4, first 2 shown]
.LBB54_23:                              ; =>This Inner Loop Header: Depth=1
	s_mov_b64 s[38:39], s[30:31]
	s_load_dwordx4 s[40:43], s[38:39], 0x18
	s_load_dwordx2 s[48:49], s[38:39], 0x28
	s_load_dwordx2 s[50:51], s[38:39], 0xe8
	s_load_dwordx4 s[44:47], s[38:39], 0xd8
	s_add_u32 s30, s38, 24
	s_waitcnt lgkmcnt(0)
	v_mul_hi_u32 v3, s41, v1
	v_add_u32_e32 v3, v1, v3
	v_lshrrev_b32_e32 v3, s42, v3
	v_mul_lo_u32 v5, v3, s40
	v_mul_hi_u32 v6, s48, v3
	v_sub_u32_e32 v1, v1, v5
	v_add_u32_e32 v5, v3, v6
	v_mul_lo_u32 v6, v1, s44
	v_mul_lo_u32 v7, v1, s45
	v_mul_lo_u32 v8, v1, s46
	v_lshrrev_b32_e32 v1, s49, v5
	v_mul_lo_u32 v5, v1, s43
	v_sub_u32_e32 v3, v3, v5
	s_addc_u32 s31, s39, 0
	s_add_i32 s37, s37, -2
	v_mul_lo_u32 v5, v3, s47
	v_mul_lo_u32 v9, v3, s50
	;; [unrolled: 1-line block ×3, first 2 shown]
	s_cmp_eq_u32 s37, 0
	v_add3_u32 v0, v6, v0, v5
	v_add3_u32 v2, v8, v2, v3
	;; [unrolled: 1-line block ×3, first 2 shown]
	s_cbranch_scc0 .LBB54_23
; %bb.24:
	s_bitcmp1_b32 s35, 0
	s_cselect_b64 s[38:39], -1, 0
	s_and_b64 vcc, exec, s[38:39]
	s_cbranch_vccnz .LBB54_26
; %bb.25:
	s_load_dwordx2 s[38:39], s[30:31], 0x18
	s_load_dword s37, s[30:31], 0x20
	s_load_dword s42, s[30:31], 0xe0
	s_load_dwordx2 s[40:41], s[30:31], 0xd8
	s_waitcnt lgkmcnt(0)
	v_mul_hi_u32 v3, s39, v1
	v_add_u32_e32 v3, v1, v3
	v_lshrrev_b32_e32 v3, s37, v3
	v_mul_lo_u32 v3, v3, s38
	v_sub_u32_e32 v3, v1, v3
	v_mad_u64_u32 v[0:1], s[30:31], v3, s40, v[0:1]
	v_mad_u64_u32 v[4:5], s[30:31], v3, s41, v[4:5]
	;; [unrolled: 1-line block ×3, first 2 shown]
.LBB54_26:
	s_cbranch_execz .LBB54_28
	s_branch .LBB54_30
.LBB54_27:
                                        ; implicit-def: $vgpr2
                                        ; implicit-def: $vgpr4
                                        ; implicit-def: $vgpr0
.LBB54_28:
	s_waitcnt lgkmcnt(0)
	v_mul_hi_u32 v0, s13, v36
	v_add_u32_e32 v0, v36, v0
	v_lshrrev_b32_e32 v1, s14, v0
	v_mul_lo_u32 v0, v1, s12
	v_sub_u32_e32 v3, v36, v0
	v_mul_lo_u32 v0, v3, s8
	v_mul_lo_u32 v2, v3, s10
	s_andn2_b64 vcc, exec, s[24:25]
	v_mul_lo_u32 v4, v3, s9
	s_cbranch_vccnz .LBB54_30
; %bb.29:
	v_mul_hi_u32 v3, s22, v1
	v_add_u32_e32 v3, v1, v3
	v_lshrrev_b32_e32 v3, s23, v3
	v_mul_lo_u32 v3, v3, s15
	v_sub_u32_e32 v3, v1, v3
	v_mad_u64_u32 v[0:1], s[30:31], v3, s11, v[0:1]
	v_mad_u64_u32 v[4:5], s[30:31], v3, s20, v[4:5]
	;; [unrolled: 1-line block ×3, first 2 shown]
.LBB54_30:
	s_waitcnt lgkmcnt(0)
	global_load_ushort v1, v4, s[2:3]
	global_load_ushort v3, v2, s[18:19]
	v_add_u32_e32 v36, 0x80, v36
	s_waitcnt vmcnt(1)
	v_cmp_lt_f16_e32 vcc, 0, v1
	s_waitcnt vmcnt(0)
	v_mul_f16_e32 v2, v3, v1
	v_cndmask_b32_e32 v1, v2, v1, vcc
	global_store_short v0, v1, s[0:1]
	s_or_b64 exec, exec, s[28:29]
	v_cmp_gt_i32_e32 vcc, s36, v36
	s_and_saveexec_b64 s[28:29], vcc
	s_cbranch_execz .LBB54_4
.LBB54_31:
	s_andn2_b64 vcc, exec, s[6:7]
	s_cbranch_vccnz .LBB54_38
; %bb.32:
	s_andn2_b64 vcc, exec, s[26:27]
	v_mov_b32_e32 v2, 0
	v_mov_b32_e32 v4, 0
	;; [unrolled: 1-line block ×3, first 2 shown]
	s_cbranch_vccnz .LBB54_37
; %bb.33:
	s_add_i32 s30, s35, 1
	s_and_b32 s37, s30, 30
	s_add_u32 s30, s4, 0xffffffec
	s_addc_u32 s31, s5, -1
	v_mov_b32_e32 v0, 0
	v_mov_b32_e32 v1, v36
	;; [unrolled: 1-line block ×4, first 2 shown]
.LBB54_34:                              ; =>This Inner Loop Header: Depth=1
	s_mov_b64 s[38:39], s[30:31]
	s_load_dwordx4 s[40:43], s[38:39], 0x18
	s_load_dwordx2 s[48:49], s[38:39], 0x28
	s_load_dwordx2 s[50:51], s[38:39], 0xe8
	s_load_dwordx4 s[44:47], s[38:39], 0xd8
	s_add_u32 s30, s38, 24
	s_waitcnt lgkmcnt(0)
	v_mul_hi_u32 v3, s41, v1
	v_add_u32_e32 v3, v1, v3
	v_lshrrev_b32_e32 v3, s42, v3
	v_mul_lo_u32 v5, v3, s40
	v_mul_hi_u32 v6, s48, v3
	v_sub_u32_e32 v1, v1, v5
	v_add_u32_e32 v5, v3, v6
	v_mul_lo_u32 v6, v1, s44
	v_mul_lo_u32 v7, v1, s45
	;; [unrolled: 1-line block ×3, first 2 shown]
	v_lshrrev_b32_e32 v1, s49, v5
	v_mul_lo_u32 v5, v1, s43
	v_sub_u32_e32 v3, v3, v5
	s_addc_u32 s31, s39, 0
	s_add_i32 s37, s37, -2
	v_mul_lo_u32 v5, v3, s47
	v_mul_lo_u32 v9, v3, s50
	v_mul_lo_u32 v3, v3, s51
	s_cmp_eq_u32 s37, 0
	v_add3_u32 v0, v6, v0, v5
	v_add3_u32 v2, v8, v2, v3
	v_add3_u32 v4, v7, v4, v9
	s_cbranch_scc0 .LBB54_34
; %bb.35:
	s_bitcmp1_b32 s35, 0
	s_cselect_b64 s[38:39], -1, 0
	s_and_b64 vcc, exec, s[38:39]
	s_cbranch_vccnz .LBB54_37
; %bb.36:
	s_load_dwordx2 s[38:39], s[30:31], 0x18
	s_load_dword s37, s[30:31], 0x20
	s_load_dword s42, s[30:31], 0xe0
	s_load_dwordx2 s[40:41], s[30:31], 0xd8
	s_waitcnt lgkmcnt(0)
	v_mul_hi_u32 v3, s39, v1
	v_add_u32_e32 v3, v1, v3
	v_lshrrev_b32_e32 v3, s37, v3
	v_mul_lo_u32 v3, v3, s38
	v_sub_u32_e32 v3, v1, v3
	v_mad_u64_u32 v[0:1], s[30:31], v3, s40, v[0:1]
	v_mad_u64_u32 v[4:5], s[30:31], v3, s41, v[4:5]
	;; [unrolled: 1-line block ×3, first 2 shown]
.LBB54_37:
	s_cbranch_execz .LBB54_39
	s_branch .LBB54_41
.LBB54_38:
                                        ; implicit-def: $vgpr2
                                        ; implicit-def: $vgpr4
                                        ; implicit-def: $vgpr0
.LBB54_39:
	s_waitcnt lgkmcnt(0)
	v_mul_hi_u32 v0, s13, v36
	v_add_u32_e32 v0, v36, v0
	v_lshrrev_b32_e32 v1, s14, v0
	v_mul_lo_u32 v0, v1, s12
	v_sub_u32_e32 v3, v36, v0
	v_mul_lo_u32 v0, v3, s8
	v_mul_lo_u32 v2, v3, s10
	s_andn2_b64 vcc, exec, s[24:25]
	v_mul_lo_u32 v4, v3, s9
	s_cbranch_vccnz .LBB54_41
; %bb.40:
	v_mul_hi_u32 v3, s22, v1
	v_add_u32_e32 v3, v1, v3
	v_lshrrev_b32_e32 v3, s23, v3
	v_mul_lo_u32 v3, v3, s15
	v_sub_u32_e32 v3, v1, v3
	v_mad_u64_u32 v[0:1], s[30:31], v3, s11, v[0:1]
	v_mad_u64_u32 v[4:5], s[30:31], v3, s20, v[4:5]
	v_mad_u64_u32 v[2:3], s[30:31], v3, s21, v[2:3]
.LBB54_41:
	s_waitcnt lgkmcnt(0)
	global_load_ushort v1, v4, s[2:3]
	global_load_ushort v3, v2, s[18:19]
	v_add_u32_e32 v36, 0x80, v36
	s_waitcnt vmcnt(1)
	v_cmp_lt_f16_e32 vcc, 0, v1
	s_waitcnt vmcnt(0)
	v_mul_f16_e32 v2, v3, v1
	v_cndmask_b32_e32 v1, v2, v1, vcc
	global_store_short v0, v1, s[0:1]
	s_or_b64 exec, exec, s[28:29]
	v_cmp_gt_i32_e32 vcc, s36, v36
	s_and_saveexec_b64 s[28:29], vcc
	s_cbranch_execz .LBB54_5
.LBB54_42:
	s_andn2_b64 vcc, exec, s[6:7]
	s_cbranch_vccnz .LBB54_49
; %bb.43:
	s_andn2_b64 vcc, exec, s[26:27]
	v_mov_b32_e32 v2, 0
	v_mov_b32_e32 v4, 0
	;; [unrolled: 1-line block ×3, first 2 shown]
	s_cbranch_vccnz .LBB54_48
; %bb.44:
	s_add_i32 s30, s35, 1
	s_and_b32 s37, s30, 30
	s_add_u32 s30, s4, 0xffffffec
	s_addc_u32 s31, s5, -1
	v_mov_b32_e32 v0, 0
	v_mov_b32_e32 v1, v36
	;; [unrolled: 1-line block ×4, first 2 shown]
.LBB54_45:                              ; =>This Inner Loop Header: Depth=1
	s_mov_b64 s[38:39], s[30:31]
	s_load_dwordx4 s[40:43], s[38:39], 0x18
	s_load_dwordx2 s[48:49], s[38:39], 0x28
	s_load_dwordx2 s[50:51], s[38:39], 0xe8
	s_load_dwordx4 s[44:47], s[38:39], 0xd8
	s_add_u32 s30, s38, 24
	s_waitcnt lgkmcnt(0)
	v_mul_hi_u32 v3, s41, v1
	v_add_u32_e32 v3, v1, v3
	v_lshrrev_b32_e32 v3, s42, v3
	v_mul_lo_u32 v5, v3, s40
	v_mul_hi_u32 v6, s48, v3
	v_sub_u32_e32 v1, v1, v5
	v_add_u32_e32 v5, v3, v6
	v_mul_lo_u32 v6, v1, s44
	v_mul_lo_u32 v7, v1, s45
	;; [unrolled: 1-line block ×3, first 2 shown]
	v_lshrrev_b32_e32 v1, s49, v5
	v_mul_lo_u32 v5, v1, s43
	v_sub_u32_e32 v3, v3, v5
	s_addc_u32 s31, s39, 0
	s_add_i32 s37, s37, -2
	v_mul_lo_u32 v5, v3, s47
	v_mul_lo_u32 v9, v3, s50
	;; [unrolled: 1-line block ×3, first 2 shown]
	s_cmp_eq_u32 s37, 0
	v_add3_u32 v0, v6, v0, v5
	v_add3_u32 v2, v8, v2, v3
	;; [unrolled: 1-line block ×3, first 2 shown]
	s_cbranch_scc0 .LBB54_45
; %bb.46:
	s_bitcmp1_b32 s35, 0
	s_cselect_b64 s[38:39], -1, 0
	s_and_b64 vcc, exec, s[38:39]
	s_cbranch_vccnz .LBB54_48
; %bb.47:
	s_load_dwordx2 s[38:39], s[30:31], 0x18
	s_load_dword s37, s[30:31], 0x20
	s_load_dword s42, s[30:31], 0xe0
	s_load_dwordx2 s[40:41], s[30:31], 0xd8
	s_waitcnt lgkmcnt(0)
	v_mul_hi_u32 v3, s39, v1
	v_add_u32_e32 v3, v1, v3
	v_lshrrev_b32_e32 v3, s37, v3
	v_mul_lo_u32 v3, v3, s38
	v_sub_u32_e32 v3, v1, v3
	v_mad_u64_u32 v[0:1], s[30:31], v3, s40, v[0:1]
	v_mad_u64_u32 v[4:5], s[30:31], v3, s41, v[4:5]
	;; [unrolled: 1-line block ×3, first 2 shown]
.LBB54_48:
	s_cbranch_execz .LBB54_50
	s_branch .LBB54_52
.LBB54_49:
                                        ; implicit-def: $vgpr2
                                        ; implicit-def: $vgpr4
                                        ; implicit-def: $vgpr0
.LBB54_50:
	s_waitcnt lgkmcnt(0)
	v_mul_hi_u32 v0, s13, v36
	v_add_u32_e32 v0, v36, v0
	v_lshrrev_b32_e32 v1, s14, v0
	v_mul_lo_u32 v0, v1, s12
	v_sub_u32_e32 v3, v36, v0
	v_mul_lo_u32 v0, v3, s8
	v_mul_lo_u32 v2, v3, s10
	s_andn2_b64 vcc, exec, s[24:25]
	v_mul_lo_u32 v4, v3, s9
	s_cbranch_vccnz .LBB54_52
; %bb.51:
	v_mul_hi_u32 v3, s22, v1
	v_add_u32_e32 v3, v1, v3
	v_lshrrev_b32_e32 v3, s23, v3
	v_mul_lo_u32 v3, v3, s15
	v_sub_u32_e32 v3, v1, v3
	v_mad_u64_u32 v[0:1], s[30:31], v3, s11, v[0:1]
	v_mad_u64_u32 v[4:5], s[30:31], v3, s20, v[4:5]
	v_mad_u64_u32 v[2:3], s[30:31], v3, s21, v[2:3]
.LBB54_52:
	s_waitcnt lgkmcnt(0)
	global_load_ushort v1, v4, s[2:3]
	global_load_ushort v3, v2, s[18:19]
	v_add_u32_e32 v36, 0x80, v36
	s_waitcnt vmcnt(1)
	v_cmp_lt_f16_e32 vcc, 0, v1
	s_waitcnt vmcnt(0)
	v_mul_f16_e32 v2, v3, v1
	v_cndmask_b32_e32 v1, v2, v1, vcc
	global_store_short v0, v1, s[0:1]
	s_or_b64 exec, exec, s[28:29]
	v_cmp_gt_i32_e32 vcc, s36, v36
	s_and_saveexec_b64 s[28:29], vcc
	s_cbranch_execz .LBB54_6
.LBB54_53:
	s_andn2_b64 vcc, exec, s[6:7]
	s_cbranch_vccnz .LBB54_60
; %bb.54:
	s_andn2_b64 vcc, exec, s[26:27]
	v_mov_b32_e32 v2, 0
	v_mov_b32_e32 v4, 0
	;; [unrolled: 1-line block ×3, first 2 shown]
	s_cbranch_vccnz .LBB54_59
; %bb.55:
	s_add_i32 s30, s35, 1
	s_and_b32 s37, s30, 30
	s_add_u32 s30, s4, 0xffffffec
	s_addc_u32 s31, s5, -1
	v_mov_b32_e32 v0, 0
	v_mov_b32_e32 v1, v36
	;; [unrolled: 1-line block ×4, first 2 shown]
.LBB54_56:                              ; =>This Inner Loop Header: Depth=1
	s_mov_b64 s[38:39], s[30:31]
	s_load_dwordx4 s[40:43], s[38:39], 0x18
	s_load_dwordx2 s[48:49], s[38:39], 0x28
	s_load_dwordx2 s[50:51], s[38:39], 0xe8
	s_load_dwordx4 s[44:47], s[38:39], 0xd8
	s_add_u32 s30, s38, 24
	s_waitcnt lgkmcnt(0)
	v_mul_hi_u32 v3, s41, v1
	v_add_u32_e32 v3, v1, v3
	v_lshrrev_b32_e32 v3, s42, v3
	v_mul_lo_u32 v5, v3, s40
	v_mul_hi_u32 v6, s48, v3
	v_sub_u32_e32 v1, v1, v5
	v_add_u32_e32 v5, v3, v6
	v_mul_lo_u32 v6, v1, s44
	v_mul_lo_u32 v7, v1, s45
	;; [unrolled: 1-line block ×3, first 2 shown]
	v_lshrrev_b32_e32 v1, s49, v5
	v_mul_lo_u32 v5, v1, s43
	v_sub_u32_e32 v3, v3, v5
	s_addc_u32 s31, s39, 0
	s_add_i32 s37, s37, -2
	v_mul_lo_u32 v5, v3, s47
	v_mul_lo_u32 v9, v3, s50
	;; [unrolled: 1-line block ×3, first 2 shown]
	s_cmp_eq_u32 s37, 0
	v_add3_u32 v0, v6, v0, v5
	v_add3_u32 v2, v8, v2, v3
	;; [unrolled: 1-line block ×3, first 2 shown]
	s_cbranch_scc0 .LBB54_56
; %bb.57:
	s_bitcmp1_b32 s35, 0
	s_cselect_b64 s[38:39], -1, 0
	s_and_b64 vcc, exec, s[38:39]
	s_cbranch_vccnz .LBB54_59
; %bb.58:
	s_load_dwordx2 s[38:39], s[30:31], 0x18
	s_load_dword s37, s[30:31], 0x20
	s_load_dword s42, s[30:31], 0xe0
	s_load_dwordx2 s[40:41], s[30:31], 0xd8
	s_waitcnt lgkmcnt(0)
	v_mul_hi_u32 v3, s39, v1
	v_add_u32_e32 v3, v1, v3
	v_lshrrev_b32_e32 v3, s37, v3
	v_mul_lo_u32 v3, v3, s38
	v_sub_u32_e32 v3, v1, v3
	v_mad_u64_u32 v[0:1], s[30:31], v3, s40, v[0:1]
	v_mad_u64_u32 v[4:5], s[30:31], v3, s41, v[4:5]
	;; [unrolled: 1-line block ×3, first 2 shown]
.LBB54_59:
	s_cbranch_execz .LBB54_61
	s_branch .LBB54_63
.LBB54_60:
                                        ; implicit-def: $vgpr2
                                        ; implicit-def: $vgpr4
                                        ; implicit-def: $vgpr0
.LBB54_61:
	s_waitcnt lgkmcnt(0)
	v_mul_hi_u32 v0, s13, v36
	v_add_u32_e32 v0, v36, v0
	v_lshrrev_b32_e32 v1, s14, v0
	v_mul_lo_u32 v0, v1, s12
	v_sub_u32_e32 v3, v36, v0
	v_mul_lo_u32 v0, v3, s8
	v_mul_lo_u32 v2, v3, s10
	s_andn2_b64 vcc, exec, s[24:25]
	v_mul_lo_u32 v4, v3, s9
	s_cbranch_vccnz .LBB54_63
; %bb.62:
	v_mul_hi_u32 v3, s22, v1
	v_add_u32_e32 v3, v1, v3
	v_lshrrev_b32_e32 v3, s23, v3
	v_mul_lo_u32 v3, v3, s15
	v_sub_u32_e32 v3, v1, v3
	v_mad_u64_u32 v[0:1], s[30:31], v3, s11, v[0:1]
	v_mad_u64_u32 v[4:5], s[30:31], v3, s20, v[4:5]
	;; [unrolled: 1-line block ×3, first 2 shown]
.LBB54_63:
	s_waitcnt lgkmcnt(0)
	global_load_ushort v1, v4, s[2:3]
	global_load_ushort v3, v2, s[18:19]
	v_add_u32_e32 v36, 0x80, v36
	s_waitcnt vmcnt(1)
	v_cmp_lt_f16_e32 vcc, 0, v1
	s_waitcnt vmcnt(0)
	v_mul_f16_e32 v2, v3, v1
	v_cndmask_b32_e32 v1, v2, v1, vcc
	global_store_short v0, v1, s[0:1]
	s_or_b64 exec, exec, s[28:29]
	v_cmp_gt_i32_e32 vcc, s36, v36
	s_and_saveexec_b64 s[28:29], vcc
	s_cbranch_execz .LBB54_7
.LBB54_64:
	s_andn2_b64 vcc, exec, s[6:7]
	s_cbranch_vccnz .LBB54_71
; %bb.65:
	s_andn2_b64 vcc, exec, s[26:27]
	v_mov_b32_e32 v2, 0
	v_mov_b32_e32 v4, 0
	;; [unrolled: 1-line block ×3, first 2 shown]
	s_cbranch_vccnz .LBB54_70
; %bb.66:
	s_add_i32 s30, s35, 1
	s_and_b32 s37, s30, 30
	s_add_u32 s30, s4, 0xffffffec
	s_addc_u32 s31, s5, -1
	v_mov_b32_e32 v0, 0
	v_mov_b32_e32 v1, v36
	v_mov_b32_e32 v4, 0
	v_mov_b32_e32 v2, 0
.LBB54_67:                              ; =>This Inner Loop Header: Depth=1
	s_mov_b64 s[38:39], s[30:31]
	s_load_dwordx4 s[40:43], s[38:39], 0x18
	s_load_dwordx2 s[48:49], s[38:39], 0x28
	s_load_dwordx2 s[50:51], s[38:39], 0xe8
	s_load_dwordx4 s[44:47], s[38:39], 0xd8
	s_add_u32 s30, s38, 24
	s_waitcnt lgkmcnt(0)
	v_mul_hi_u32 v3, s41, v1
	v_add_u32_e32 v3, v1, v3
	v_lshrrev_b32_e32 v3, s42, v3
	v_mul_lo_u32 v5, v3, s40
	v_mul_hi_u32 v6, s48, v3
	v_sub_u32_e32 v1, v1, v5
	v_add_u32_e32 v5, v3, v6
	v_mul_lo_u32 v6, v1, s44
	v_mul_lo_u32 v7, v1, s45
	;; [unrolled: 1-line block ×3, first 2 shown]
	v_lshrrev_b32_e32 v1, s49, v5
	v_mul_lo_u32 v5, v1, s43
	v_sub_u32_e32 v3, v3, v5
	s_addc_u32 s31, s39, 0
	s_add_i32 s37, s37, -2
	v_mul_lo_u32 v5, v3, s47
	v_mul_lo_u32 v9, v3, s50
	v_mul_lo_u32 v3, v3, s51
	s_cmp_eq_u32 s37, 0
	v_add3_u32 v0, v6, v0, v5
	v_add3_u32 v2, v8, v2, v3
	;; [unrolled: 1-line block ×3, first 2 shown]
	s_cbranch_scc0 .LBB54_67
; %bb.68:
	s_bitcmp1_b32 s35, 0
	s_cselect_b64 s[38:39], -1, 0
	s_and_b64 vcc, exec, s[38:39]
	s_cbranch_vccnz .LBB54_70
; %bb.69:
	s_load_dwordx2 s[38:39], s[30:31], 0x18
	s_load_dword s37, s[30:31], 0x20
	s_load_dword s42, s[30:31], 0xe0
	s_load_dwordx2 s[40:41], s[30:31], 0xd8
	s_waitcnt lgkmcnt(0)
	v_mul_hi_u32 v3, s39, v1
	v_add_u32_e32 v3, v1, v3
	v_lshrrev_b32_e32 v3, s37, v3
	v_mul_lo_u32 v3, v3, s38
	v_sub_u32_e32 v3, v1, v3
	v_mad_u64_u32 v[0:1], s[30:31], v3, s40, v[0:1]
	v_mad_u64_u32 v[4:5], s[30:31], v3, s41, v[4:5]
	;; [unrolled: 1-line block ×3, first 2 shown]
.LBB54_70:
	s_cbranch_execz .LBB54_72
	s_branch .LBB54_74
.LBB54_71:
                                        ; implicit-def: $vgpr2
                                        ; implicit-def: $vgpr4
                                        ; implicit-def: $vgpr0
.LBB54_72:
	s_waitcnt lgkmcnt(0)
	v_mul_hi_u32 v0, s13, v36
	v_add_u32_e32 v0, v36, v0
	v_lshrrev_b32_e32 v1, s14, v0
	v_mul_lo_u32 v0, v1, s12
	v_sub_u32_e32 v3, v36, v0
	v_mul_lo_u32 v0, v3, s8
	v_mul_lo_u32 v2, v3, s10
	s_andn2_b64 vcc, exec, s[24:25]
	v_mul_lo_u32 v4, v3, s9
	s_cbranch_vccnz .LBB54_74
; %bb.73:
	v_mul_hi_u32 v3, s22, v1
	v_add_u32_e32 v3, v1, v3
	v_lshrrev_b32_e32 v3, s23, v3
	v_mul_lo_u32 v3, v3, s15
	v_sub_u32_e32 v3, v1, v3
	v_mad_u64_u32 v[0:1], s[30:31], v3, s11, v[0:1]
	v_mad_u64_u32 v[4:5], s[30:31], v3, s20, v[4:5]
	;; [unrolled: 1-line block ×3, first 2 shown]
.LBB54_74:
	s_waitcnt lgkmcnt(0)
	global_load_ushort v1, v4, s[2:3]
	global_load_ushort v3, v2, s[18:19]
	v_add_u32_e32 v36, 0x80, v36
	s_waitcnt vmcnt(1)
	v_cmp_lt_f16_e32 vcc, 0, v1
	s_waitcnt vmcnt(0)
	v_mul_f16_e32 v2, v3, v1
	v_cndmask_b32_e32 v1, v2, v1, vcc
	global_store_short v0, v1, s[0:1]
	s_or_b64 exec, exec, s[28:29]
	v_cmp_gt_i32_e32 vcc, s36, v36
	s_and_saveexec_b64 s[28:29], vcc
	s_cbranch_execz .LBB54_8
.LBB54_75:
	s_andn2_b64 vcc, exec, s[6:7]
	s_cbranch_vccnz .LBB54_82
; %bb.76:
	s_andn2_b64 vcc, exec, s[26:27]
	v_mov_b32_e32 v2, 0
	v_mov_b32_e32 v4, 0
	v_mov_b32_e32 v0, 0
	s_cbranch_vccnz .LBB54_81
; %bb.77:
	s_add_i32 s30, s35, 1
	s_and_b32 s37, s30, 30
	s_add_u32 s30, s4, 0xffffffec
	s_addc_u32 s31, s5, -1
	v_mov_b32_e32 v0, 0
	v_mov_b32_e32 v1, v36
	;; [unrolled: 1-line block ×4, first 2 shown]
.LBB54_78:                              ; =>This Inner Loop Header: Depth=1
	s_mov_b64 s[38:39], s[30:31]
	s_load_dwordx4 s[40:43], s[38:39], 0x18
	s_load_dwordx2 s[48:49], s[38:39], 0x28
	s_load_dwordx2 s[50:51], s[38:39], 0xe8
	s_load_dwordx4 s[44:47], s[38:39], 0xd8
	s_add_u32 s30, s38, 24
	s_waitcnt lgkmcnt(0)
	v_mul_hi_u32 v3, s41, v1
	v_add_u32_e32 v3, v1, v3
	v_lshrrev_b32_e32 v3, s42, v3
	v_mul_lo_u32 v5, v3, s40
	v_mul_hi_u32 v6, s48, v3
	v_sub_u32_e32 v1, v1, v5
	v_add_u32_e32 v5, v3, v6
	v_mul_lo_u32 v6, v1, s44
	v_mul_lo_u32 v7, v1, s45
	;; [unrolled: 1-line block ×3, first 2 shown]
	v_lshrrev_b32_e32 v1, s49, v5
	v_mul_lo_u32 v5, v1, s43
	v_sub_u32_e32 v3, v3, v5
	s_addc_u32 s31, s39, 0
	s_add_i32 s37, s37, -2
	v_mul_lo_u32 v5, v3, s47
	v_mul_lo_u32 v9, v3, s50
	;; [unrolled: 1-line block ×3, first 2 shown]
	s_cmp_eq_u32 s37, 0
	v_add3_u32 v0, v6, v0, v5
	v_add3_u32 v2, v8, v2, v3
	;; [unrolled: 1-line block ×3, first 2 shown]
	s_cbranch_scc0 .LBB54_78
; %bb.79:
	s_bitcmp1_b32 s35, 0
	s_cselect_b64 s[38:39], -1, 0
	s_and_b64 vcc, exec, s[38:39]
	s_cbranch_vccnz .LBB54_81
; %bb.80:
	s_load_dwordx2 s[38:39], s[30:31], 0x18
	s_load_dword s37, s[30:31], 0x20
	s_load_dword s42, s[30:31], 0xe0
	s_load_dwordx2 s[40:41], s[30:31], 0xd8
	s_waitcnt lgkmcnt(0)
	v_mul_hi_u32 v3, s39, v1
	v_add_u32_e32 v3, v1, v3
	v_lshrrev_b32_e32 v3, s37, v3
	v_mul_lo_u32 v3, v3, s38
	v_sub_u32_e32 v3, v1, v3
	v_mad_u64_u32 v[0:1], s[30:31], v3, s40, v[0:1]
	v_mad_u64_u32 v[4:5], s[30:31], v3, s41, v[4:5]
	;; [unrolled: 1-line block ×3, first 2 shown]
.LBB54_81:
	s_cbranch_execz .LBB54_83
	s_branch .LBB54_85
.LBB54_82:
                                        ; implicit-def: $vgpr2
                                        ; implicit-def: $vgpr4
                                        ; implicit-def: $vgpr0
.LBB54_83:
	s_waitcnt lgkmcnt(0)
	v_mul_hi_u32 v0, s13, v36
	v_add_u32_e32 v0, v36, v0
	v_lshrrev_b32_e32 v1, s14, v0
	v_mul_lo_u32 v0, v1, s12
	v_sub_u32_e32 v3, v36, v0
	v_mul_lo_u32 v0, v3, s8
	v_mul_lo_u32 v2, v3, s10
	s_andn2_b64 vcc, exec, s[24:25]
	v_mul_lo_u32 v4, v3, s9
	s_cbranch_vccnz .LBB54_85
; %bb.84:
	v_mul_hi_u32 v3, s22, v1
	v_add_u32_e32 v3, v1, v3
	v_lshrrev_b32_e32 v3, s23, v3
	v_mul_lo_u32 v3, v3, s15
	v_sub_u32_e32 v3, v1, v3
	v_mad_u64_u32 v[0:1], s[30:31], v3, s11, v[0:1]
	v_mad_u64_u32 v[4:5], s[30:31], v3, s20, v[4:5]
	;; [unrolled: 1-line block ×3, first 2 shown]
.LBB54_85:
	s_waitcnt lgkmcnt(0)
	global_load_ushort v1, v4, s[2:3]
	global_load_ushort v3, v2, s[18:19]
	v_add_u32_e32 v36, 0x80, v36
	s_waitcnt vmcnt(1)
	v_cmp_lt_f16_e32 vcc, 0, v1
	s_waitcnt vmcnt(0)
	v_mul_f16_e32 v2, v3, v1
	v_cndmask_b32_e32 v1, v2, v1, vcc
	global_store_short v0, v1, s[0:1]
	s_or_b64 exec, exec, s[28:29]
	v_cmp_gt_i32_e32 vcc, s36, v36
	s_and_saveexec_b64 s[28:29], vcc
	s_cbranch_execz .LBB54_97
.LBB54_86:
	s_andn2_b64 vcc, exec, s[6:7]
	s_cbranch_vccnz .LBB54_93
; %bb.87:
	s_andn2_b64 vcc, exec, s[26:27]
	v_mov_b32_e32 v2, 0
	v_mov_b32_e32 v4, 0
	v_mov_b32_e32 v0, 0
	s_cbranch_vccnz .LBB54_92
; %bb.88:
	s_add_i32 s26, s35, 1
	s_and_b32 s30, s26, 30
	s_add_u32 s26, s4, 0xffffffec
	s_addc_u32 s27, s5, -1
	v_mov_b32_e32 v0, 0
	v_mov_b32_e32 v1, v36
	;; [unrolled: 1-line block ×4, first 2 shown]
.LBB54_89:                              ; =>This Inner Loop Header: Depth=1
	s_mov_b64 s[44:45], s[26:27]
	s_load_dwordx4 s[36:39], s[44:45], 0x18
	s_load_dwordx2 s[46:47], s[44:45], 0x28
	s_load_dwordx2 s[48:49], s[44:45], 0xe8
	s_load_dwordx4 s[40:43], s[44:45], 0xd8
	s_add_u32 s26, s44, 24
	s_waitcnt lgkmcnt(0)
	v_mul_hi_u32 v3, s37, v1
	v_add_u32_e32 v3, v1, v3
	v_lshrrev_b32_e32 v3, s38, v3
	v_mul_lo_u32 v5, v3, s36
	v_mul_hi_u32 v6, s46, v3
	v_sub_u32_e32 v1, v1, v5
	v_add_u32_e32 v5, v3, v6
	v_mul_lo_u32 v6, v1, s40
	v_mul_lo_u32 v7, v1, s41
	v_mul_lo_u32 v8, v1, s42
	v_lshrrev_b32_e32 v1, s47, v5
	v_mul_lo_u32 v5, v1, s39
	v_sub_u32_e32 v3, v3, v5
	s_addc_u32 s27, s45, 0
	s_add_i32 s30, s30, -2
	v_mul_lo_u32 v5, v3, s43
	v_mul_lo_u32 v9, v3, s48
	;; [unrolled: 1-line block ×3, first 2 shown]
	s_cmp_eq_u32 s30, 0
	v_add3_u32 v0, v6, v0, v5
	v_add3_u32 v2, v8, v2, v3
	;; [unrolled: 1-line block ×3, first 2 shown]
	s_cbranch_scc0 .LBB54_89
; %bb.90:
	s_bitcmp1_b32 s35, 0
	s_cselect_b64 s[30:31], -1, 0
	s_and_b64 vcc, exec, s[30:31]
	s_cbranch_vccnz .LBB54_92
; %bb.91:
	s_load_dwordx2 s[30:31], s[26:27], 0x18
	s_load_dword s35, s[26:27], 0x20
	s_load_dword s38, s[26:27], 0xe0
	s_load_dwordx2 s[36:37], s[26:27], 0xd8
	s_waitcnt lgkmcnt(0)
	v_mul_hi_u32 v3, s31, v1
	v_add_u32_e32 v3, v1, v3
	v_lshrrev_b32_e32 v3, s35, v3
	v_mul_lo_u32 v3, v3, s30
	v_sub_u32_e32 v3, v1, v3
	v_mad_u64_u32 v[0:1], s[26:27], v3, s36, v[0:1]
	v_mad_u64_u32 v[4:5], s[26:27], v3, s37, v[4:5]
	;; [unrolled: 1-line block ×3, first 2 shown]
.LBB54_92:
	s_cbranch_execz .LBB54_94
	s_branch .LBB54_96
.LBB54_93:
                                        ; implicit-def: $vgpr2
                                        ; implicit-def: $vgpr4
                                        ; implicit-def: $vgpr0
.LBB54_94:
	s_waitcnt lgkmcnt(0)
	v_mul_hi_u32 v0, s13, v36
	v_add_u32_e32 v0, v36, v0
	v_lshrrev_b32_e32 v1, s14, v0
	v_mul_lo_u32 v0, v1, s12
	v_sub_u32_e32 v3, v36, v0
	v_mul_lo_u32 v0, v3, s8
	v_mul_lo_u32 v2, v3, s10
	s_andn2_b64 vcc, exec, s[24:25]
	v_mul_lo_u32 v4, v3, s9
	s_cbranch_vccnz .LBB54_96
; %bb.95:
	v_mul_hi_u32 v3, s22, v1
	v_add_u32_e32 v3, v1, v3
	v_lshrrev_b32_e32 v3, s23, v3
	v_mul_lo_u32 v3, v3, s15
	v_sub_u32_e32 v3, v1, v3
	v_mad_u64_u32 v[0:1], s[8:9], v3, s11, v[0:1]
	v_mad_u64_u32 v[4:5], s[8:9], v3, s20, v[4:5]
	v_mad_u64_u32 v[2:3], s[8:9], v3, s21, v[2:3]
.LBB54_96:
	s_waitcnt lgkmcnt(0)
	global_load_ushort v1, v4, s[2:3]
	global_load_ushort v3, v2, s[18:19]
	s_waitcnt vmcnt(1)
	v_cmp_lt_f16_e32 vcc, 0, v1
	s_waitcnt vmcnt(0)
	v_mul_f16_e32 v2, v3, v1
	v_cndmask_b32_e32 v1, v2, v1, vcc
	global_store_short v0, v1, s[0:1]
.LBB54_97:
	s_or_b64 exec, exec, s[28:29]
                                        ; implicit-def: $vgpr48
                                        ; implicit-def: $vgpr36
.LBB54_98:
	s_waitcnt lgkmcnt(0)
	s_andn2_saveexec_b64 s[0:1], s[16:17]
	s_cbranch_execz .LBB54_105
; %bb.99:
	v_cndmask_b32_e64 v0, 0, 1, s[6:7]
	v_cmp_ne_u32_e64 s[0:1], 1, v0
	s_andn2_b64 vcc, exec, s[6:7]
	s_cbranch_vccnz .LBB54_106
; %bb.100:
	s_cmp_lg_u32 s33, 0
	v_mov_b32_e32 v2, 0
	v_mov_b32_e32 v4, 0
	;; [unrolled: 1-line block ×3, first 2 shown]
	s_cbranch_scc0 .LBB54_107
; %bb.101:
	s_min_u32 s6, s34, 15
	s_add_i32 s2, s6, 1
	s_and_b32 s7, s2, 30
	s_add_u32 s2, s4, 0xffffffec
	s_addc_u32 s3, s5, -1
	v_mov_b32_e32 v0, 0
	v_mov_b32_e32 v1, v36
	;; [unrolled: 1-line block ×4, first 2 shown]
.LBB54_102:                             ; =>This Inner Loop Header: Depth=1
	s_mov_b64 s[16:17], s[2:3]
	s_load_dwordx4 s[8:11], s[16:17], 0x18
	s_load_dwordx2 s[18:19], s[16:17], 0x28
	s_load_dwordx2 s[20:21], s[16:17], 0xe8
	s_load_dwordx4 s[12:15], s[16:17], 0xd8
	s_add_u32 s2, s16, 24
	s_waitcnt lgkmcnt(0)
	v_mul_hi_u32 v3, s9, v1
	v_add_u32_e32 v3, v1, v3
	v_lshrrev_b32_e32 v3, s10, v3
	v_mul_lo_u32 v5, v3, s8
	v_mul_hi_u32 v6, s18, v3
	v_sub_u32_e32 v1, v1, v5
	v_add_u32_e32 v5, v3, v6
	v_mul_lo_u32 v6, v1, s12
	v_mul_lo_u32 v7, v1, s13
	;; [unrolled: 1-line block ×3, first 2 shown]
	v_lshrrev_b32_e32 v1, s19, v5
	v_mul_lo_u32 v5, v1, s11
	v_sub_u32_e32 v3, v3, v5
	s_addc_u32 s3, s17, 0
	s_add_i32 s7, s7, -2
	v_mul_lo_u32 v5, v3, s15
	v_mul_lo_u32 v9, v3, s20
	v_mul_lo_u32 v3, v3, s21
	s_cmp_lg_u32 s7, 0
	v_add3_u32 v0, v6, v0, v5
	v_add3_u32 v2, v8, v2, v3
	;; [unrolled: 1-line block ×3, first 2 shown]
	s_cbranch_scc1 .LBB54_102
; %bb.103:
	s_bitcmp1_b32 s6, 0
	s_cselect_b64 s[6:7], -1, 0
	s_and_b64 vcc, exec, s[6:7]
	s_cbranch_vccnz .LBB54_107
; %bb.104:
	s_load_dwordx2 s[6:7], s[2:3], 0x18
	s_load_dword s10, s[2:3], 0x20
	s_load_dword s11, s[2:3], 0xe0
	s_load_dwordx2 s[8:9], s[2:3], 0xd8
	s_waitcnt lgkmcnt(0)
	v_mul_hi_u32 v3, s7, v1
	v_add_u32_e32 v3, v1, v3
	v_lshrrev_b32_e32 v3, s10, v3
	v_mul_lo_u32 v3, v3, s6
	v_sub_u32_e32 v3, v1, v3
	v_mad_u64_u32 v[0:1], s[2:3], v3, s8, v[0:1]
	v_mad_u64_u32 v[4:5], s[2:3], v3, s9, v[4:5]
	;; [unrolled: 1-line block ×3, first 2 shown]
	s_cbranch_execz .LBB54_108
	s_branch .LBB54_110
.LBB54_105:
	s_endpgm
.LBB54_106:
                                        ; implicit-def: $vgpr2
                                        ; implicit-def: $vgpr4
                                        ; implicit-def: $vgpr0
	s_branch .LBB54_108
.LBB54_107:
	s_cbranch_execnz .LBB54_110
.LBB54_108:
	s_load_dwordx4 s[8:11], s[4:5], 0x4
	s_load_dwordx4 s[12:15], s[4:5], 0xc4
	s_cmp_lt_u32 s33, 2
	s_waitcnt lgkmcnt(0)
	v_mul_hi_u32 v0, s9, v36
	v_add_u32_e32 v0, v36, v0
	v_lshrrev_b32_e32 v1, s10, v0
	v_mul_lo_u32 v0, v1, s8
	v_sub_u32_e32 v3, v36, v0
	v_mul_lo_u32 v0, v3, s12
	v_mul_lo_u32 v2, v3, s14
	;; [unrolled: 1-line block ×3, first 2 shown]
	s_cbranch_scc1 .LBB54_110
; %bb.109:
	s_load_dwordx4 s[8:11], s[4:5], 0x10
	s_load_dwordx4 s[12:15], s[4:5], 0xd0
	s_waitcnt lgkmcnt(0)
	v_mul_hi_u32 v3, s9, v1
	v_add_u32_e32 v3, v1, v3
	v_lshrrev_b32_e32 v3, s10, v3
	v_mul_lo_u32 v3, v3, s8
	v_sub_u32_e32 v3, v1, v3
	v_mad_u64_u32 v[0:1], s[2:3], v3, s12, v[0:1]
	v_mad_u64_u32 v[4:5], s[2:3], v3, s13, v[4:5]
	;; [unrolled: 1-line block ×3, first 2 shown]
.LBB54_110:
	s_and_b64 vcc, exec, s[0:1]
	v_add_u32_e32 v1, 0x80, v36
	s_cbranch_vccnz .LBB54_116
; %bb.111:
	s_cmp_lg_u32 s33, 0
	v_mov_b32_e32 v8, 0
	v_mov_b32_e32 v10, 0
	;; [unrolled: 1-line block ×3, first 2 shown]
	s_cbranch_scc0 .LBB54_117
; %bb.112:
	s_min_u32 s6, s34, 15
	s_add_i32 s2, s6, 1
	s_and_b32 s7, s2, 30
	s_add_u32 s2, s4, 0xffffffec
	s_addc_u32 s3, s5, -1
	v_mov_b32_e32 v6, 0
	v_mov_b32_e32 v3, v1
	;; [unrolled: 1-line block ×4, first 2 shown]
.LBB54_113:                             ; =>This Inner Loop Header: Depth=1
	s_mov_b64 s[16:17], s[2:3]
	s_load_dwordx4 s[8:11], s[16:17], 0x18
	s_load_dwordx2 s[18:19], s[16:17], 0x28
	s_load_dwordx2 s[20:21], s[16:17], 0xe8
	s_load_dwordx4 s[12:15], s[16:17], 0xd8
	s_add_u32 s2, s16, 24
	s_waitcnt lgkmcnt(0)
	v_mul_hi_u32 v5, s9, v3
	v_add_u32_e32 v5, v3, v5
	v_lshrrev_b32_e32 v5, s10, v5
	v_mul_lo_u32 v7, v5, s8
	v_mul_hi_u32 v9, s18, v5
	v_sub_u32_e32 v3, v3, v7
	v_add_u32_e32 v7, v5, v9
	v_mul_lo_u32 v9, v3, s12
	v_mul_lo_u32 v11, v3, s13
	;; [unrolled: 1-line block ×3, first 2 shown]
	v_lshrrev_b32_e32 v3, s19, v7
	v_mul_lo_u32 v7, v3, s11
	v_sub_u32_e32 v5, v5, v7
	s_addc_u32 s3, s17, 0
	s_add_i32 s7, s7, -2
	v_mul_lo_u32 v7, v5, s15
	v_mul_lo_u32 v13, v5, s20
	;; [unrolled: 1-line block ×3, first 2 shown]
	s_cmp_lg_u32 s7, 0
	v_add3_u32 v6, v9, v6, v7
	v_add3_u32 v8, v12, v8, v5
	;; [unrolled: 1-line block ×3, first 2 shown]
	s_cbranch_scc1 .LBB54_113
; %bb.114:
	s_bitcmp1_b32 s6, 0
	s_cselect_b64 s[6:7], -1, 0
	s_and_b64 vcc, exec, s[6:7]
	s_cbranch_vccnz .LBB54_117
; %bb.115:
	s_load_dwordx2 s[6:7], s[2:3], 0x18
	s_load_dword s10, s[2:3], 0x20
	s_load_dword s11, s[2:3], 0xe0
	s_load_dwordx2 s[8:9], s[2:3], 0xd8
	s_waitcnt lgkmcnt(0)
	v_mul_hi_u32 v5, s7, v3
	v_add_u32_e32 v5, v3, v5
	v_lshrrev_b32_e32 v5, s10, v5
	v_mul_lo_u32 v5, v5, s6
	v_sub_u32_e32 v3, v3, v5
	v_mad_u64_u32 v[6:7], s[2:3], v3, s8, v[6:7]
	v_mad_u64_u32 v[10:11], s[2:3], v3, s9, v[10:11]
	;; [unrolled: 1-line block ×3, first 2 shown]
	s_cbranch_execz .LBB54_118
	s_branch .LBB54_120
.LBB54_116:
                                        ; implicit-def: $vgpr8
                                        ; implicit-def: $vgpr10
                                        ; implicit-def: $vgpr6
	s_branch .LBB54_118
.LBB54_117:
	s_cbranch_execnz .LBB54_120
.LBB54_118:
	s_load_dwordx4 s[8:11], s[4:5], 0x4
	s_load_dwordx4 s[12:15], s[4:5], 0xc4
	s_cmp_lt_u32 s33, 2
	s_waitcnt lgkmcnt(0)
	v_mul_hi_u32 v3, s9, v1
	v_add_u32_e32 v3, v1, v3
	v_lshrrev_b32_e32 v3, s10, v3
	v_mul_lo_u32 v5, v3, s8
	v_sub_u32_e32 v1, v1, v5
	v_mul_lo_u32 v6, v1, s12
	v_mul_lo_u32 v8, v1, s14
	;; [unrolled: 1-line block ×3, first 2 shown]
	s_cbranch_scc1 .LBB54_120
; %bb.119:
	s_load_dwordx4 s[8:11], s[4:5], 0x10
	s_load_dwordx4 s[12:15], s[4:5], 0xd0
	s_waitcnt lgkmcnt(0)
	v_mul_hi_u32 v1, s9, v3
	v_add_u32_e32 v1, v3, v1
	v_lshrrev_b32_e32 v1, s10, v1
	v_mul_lo_u32 v1, v1, s8
	v_sub_u32_e32 v1, v3, v1
	v_mad_u64_u32 v[6:7], s[2:3], v1, s12, v[6:7]
	v_mad_u64_u32 v[10:11], s[2:3], v1, s13, v[10:11]
	;; [unrolled: 1-line block ×3, first 2 shown]
.LBB54_120:
	s_and_b64 vcc, exec, s[0:1]
	v_add_u32_e32 v1, 0x100, v36
	s_cbranch_vccnz .LBB54_126
; %bb.121:
	s_cmp_lg_u32 s33, 0
	v_mov_b32_e32 v16, 0
	v_mov_b32_e32 v14, 0
	;; [unrolled: 1-line block ×3, first 2 shown]
	s_cbranch_scc0 .LBB54_127
; %bb.122:
	s_min_u32 s6, s34, 15
	s_add_i32 s2, s6, 1
	s_and_b32 s7, s2, 30
	s_add_u32 s2, s4, 0xffffffec
	s_addc_u32 s3, s5, -1
	v_mov_b32_e32 v12, 0
	v_mov_b32_e32 v3, v1
	;; [unrolled: 1-line block ×4, first 2 shown]
.LBB54_123:                             ; =>This Inner Loop Header: Depth=1
	s_mov_b64 s[16:17], s[2:3]
	s_load_dwordx4 s[8:11], s[16:17], 0x18
	s_load_dwordx2 s[18:19], s[16:17], 0x28
	s_load_dwordx2 s[20:21], s[16:17], 0xe8
	s_load_dwordx4 s[12:15], s[16:17], 0xd8
	s_add_u32 s2, s16, 24
	s_waitcnt lgkmcnt(0)
	v_mul_hi_u32 v5, s9, v3
	v_add_u32_e32 v5, v3, v5
	v_lshrrev_b32_e32 v5, s10, v5
	v_mul_lo_u32 v7, v5, s8
	v_mul_hi_u32 v9, s18, v5
	v_sub_u32_e32 v3, v3, v7
	v_add_u32_e32 v7, v5, v9
	v_mul_lo_u32 v9, v3, s12
	v_mul_lo_u32 v11, v3, s13
	;; [unrolled: 1-line block ×3, first 2 shown]
	v_lshrrev_b32_e32 v3, s19, v7
	v_mul_lo_u32 v7, v3, s11
	v_sub_u32_e32 v5, v5, v7
	s_addc_u32 s3, s17, 0
	s_add_i32 s7, s7, -2
	v_mul_lo_u32 v7, v5, s15
	v_mul_lo_u32 v15, v5, s20
	;; [unrolled: 1-line block ×3, first 2 shown]
	s_cmp_lg_u32 s7, 0
	v_add3_u32 v12, v9, v12, v7
	v_add3_u32 v16, v13, v16, v5
	;; [unrolled: 1-line block ×3, first 2 shown]
	s_cbranch_scc1 .LBB54_123
; %bb.124:
	s_bitcmp1_b32 s6, 0
	s_cselect_b64 s[6:7], -1, 0
	s_and_b64 vcc, exec, s[6:7]
	s_cbranch_vccnz .LBB54_127
; %bb.125:
	s_load_dwordx2 s[6:7], s[2:3], 0x18
	s_load_dword s10, s[2:3], 0x20
	s_load_dword s11, s[2:3], 0xe0
	s_load_dwordx2 s[8:9], s[2:3], 0xd8
	s_waitcnt lgkmcnt(0)
	v_mul_hi_u32 v5, s7, v3
	v_add_u32_e32 v5, v3, v5
	v_lshrrev_b32_e32 v5, s10, v5
	v_mul_lo_u32 v5, v5, s6
	v_sub_u32_e32 v3, v3, v5
	v_mad_u64_u32 v[12:13], s[2:3], v3, s8, v[12:13]
	v_mad_u64_u32 v[14:15], s[2:3], v3, s9, v[14:15]
	;; [unrolled: 1-line block ×3, first 2 shown]
	s_cbranch_execz .LBB54_128
	s_branch .LBB54_130
.LBB54_126:
                                        ; implicit-def: $vgpr16
                                        ; implicit-def: $vgpr14
                                        ; implicit-def: $vgpr12
	s_branch .LBB54_128
.LBB54_127:
	s_cbranch_execnz .LBB54_130
.LBB54_128:
	s_load_dwordx4 s[8:11], s[4:5], 0x4
	s_load_dwordx4 s[12:15], s[4:5], 0xc4
	s_cmp_lt_u32 s33, 2
	s_waitcnt lgkmcnt(0)
	v_mul_hi_u32 v3, s9, v1
	v_add_u32_e32 v3, v1, v3
	v_lshrrev_b32_e32 v3, s10, v3
	v_mul_lo_u32 v5, v3, s8
	v_sub_u32_e32 v1, v1, v5
	v_mul_lo_u32 v12, v1, s12
	v_mul_lo_u32 v16, v1, s14
	;; [unrolled: 1-line block ×3, first 2 shown]
	s_cbranch_scc1 .LBB54_130
; %bb.129:
	s_load_dwordx4 s[8:11], s[4:5], 0x10
	s_load_dwordx4 s[12:15], s[4:5], 0xd0
	s_waitcnt lgkmcnt(0)
	v_mul_hi_u32 v1, s9, v3
	v_add_u32_e32 v1, v3, v1
	v_lshrrev_b32_e32 v1, s10, v1
	v_mul_lo_u32 v1, v1, s8
	v_sub_u32_e32 v1, v3, v1
	v_mad_u64_u32 v[12:13], s[2:3], v1, s12, v[12:13]
	v_mad_u64_u32 v[14:15], s[2:3], v1, s13, v[14:15]
	;; [unrolled: 1-line block ×3, first 2 shown]
.LBB54_130:
	s_and_b64 vcc, exec, s[0:1]
	v_add_u32_e32 v1, 0x180, v36
	s_cbranch_vccnz .LBB54_136
; %bb.131:
	s_cmp_lg_u32 s33, 0
	v_mov_b32_e32 v20, 0
	v_mov_b32_e32 v22, 0
	;; [unrolled: 1-line block ×3, first 2 shown]
	s_cbranch_scc0 .LBB54_137
; %bb.132:
	s_min_u32 s6, s34, 15
	s_add_i32 s2, s6, 1
	s_and_b32 s7, s2, 30
	s_add_u32 s2, s4, 0xffffffec
	s_addc_u32 s3, s5, -1
	v_mov_b32_e32 v18, 0
	v_mov_b32_e32 v3, v1
	;; [unrolled: 1-line block ×4, first 2 shown]
.LBB54_133:                             ; =>This Inner Loop Header: Depth=1
	s_mov_b64 s[16:17], s[2:3]
	s_load_dwordx4 s[8:11], s[16:17], 0x18
	s_load_dwordx2 s[18:19], s[16:17], 0x28
	s_load_dwordx2 s[20:21], s[16:17], 0xe8
	s_load_dwordx4 s[12:15], s[16:17], 0xd8
	s_add_u32 s2, s16, 24
	s_waitcnt lgkmcnt(0)
	v_mul_hi_u32 v5, s9, v3
	v_add_u32_e32 v5, v3, v5
	v_lshrrev_b32_e32 v5, s10, v5
	v_mul_lo_u32 v7, v5, s8
	v_mul_hi_u32 v9, s18, v5
	v_sub_u32_e32 v3, v3, v7
	v_add_u32_e32 v7, v5, v9
	v_mul_lo_u32 v9, v3, s12
	v_mul_lo_u32 v11, v3, s13
	;; [unrolled: 1-line block ×3, first 2 shown]
	v_lshrrev_b32_e32 v3, s19, v7
	v_mul_lo_u32 v7, v3, s11
	v_sub_u32_e32 v5, v5, v7
	s_addc_u32 s3, s17, 0
	s_add_i32 s7, s7, -2
	v_mul_lo_u32 v7, v5, s15
	v_mul_lo_u32 v15, v5, s20
	;; [unrolled: 1-line block ×3, first 2 shown]
	s_cmp_lg_u32 s7, 0
	v_add3_u32 v18, v9, v18, v7
	v_add3_u32 v20, v13, v20, v5
	;; [unrolled: 1-line block ×3, first 2 shown]
	s_cbranch_scc1 .LBB54_133
; %bb.134:
	s_bitcmp1_b32 s6, 0
	s_cselect_b64 s[6:7], -1, 0
	s_and_b64 vcc, exec, s[6:7]
	s_cbranch_vccnz .LBB54_137
; %bb.135:
	s_load_dwordx2 s[6:7], s[2:3], 0x18
	s_load_dword s10, s[2:3], 0x20
	s_load_dword s11, s[2:3], 0xe0
	s_load_dwordx2 s[8:9], s[2:3], 0xd8
	s_waitcnt lgkmcnt(0)
	v_mul_hi_u32 v5, s7, v3
	v_add_u32_e32 v5, v3, v5
	v_lshrrev_b32_e32 v5, s10, v5
	v_mul_lo_u32 v5, v5, s6
	v_sub_u32_e32 v3, v3, v5
	v_mad_u64_u32 v[18:19], s[2:3], v3, s8, v[18:19]
	v_mad_u64_u32 v[22:23], s[2:3], v3, s9, v[22:23]
	;; [unrolled: 1-line block ×3, first 2 shown]
	s_cbranch_execz .LBB54_138
	s_branch .LBB54_140
.LBB54_136:
                                        ; implicit-def: $vgpr20
                                        ; implicit-def: $vgpr22
                                        ; implicit-def: $vgpr18
	s_branch .LBB54_138
.LBB54_137:
	s_cbranch_execnz .LBB54_140
.LBB54_138:
	s_load_dwordx4 s[8:11], s[4:5], 0x4
	s_load_dwordx4 s[12:15], s[4:5], 0xc4
	s_cmp_lt_u32 s33, 2
	s_waitcnt lgkmcnt(0)
	v_mul_hi_u32 v3, s9, v1
	v_add_u32_e32 v3, v1, v3
	v_lshrrev_b32_e32 v3, s10, v3
	v_mul_lo_u32 v5, v3, s8
	v_sub_u32_e32 v1, v1, v5
	v_mul_lo_u32 v18, v1, s12
	v_mul_lo_u32 v20, v1, s14
	;; [unrolled: 1-line block ×3, first 2 shown]
	s_cbranch_scc1 .LBB54_140
; %bb.139:
	s_load_dwordx4 s[8:11], s[4:5], 0x10
	s_load_dwordx4 s[12:15], s[4:5], 0xd0
	s_waitcnt lgkmcnt(0)
	v_mul_hi_u32 v1, s9, v3
	v_add_u32_e32 v1, v3, v1
	v_lshrrev_b32_e32 v1, s10, v1
	v_mul_lo_u32 v1, v1, s8
	v_sub_u32_e32 v1, v3, v1
	v_mad_u64_u32 v[18:19], s[2:3], v1, s12, v[18:19]
	v_mad_u64_u32 v[22:23], s[2:3], v1, s13, v[22:23]
	;; [unrolled: 1-line block ×3, first 2 shown]
.LBB54_140:
	s_and_b64 vcc, exec, s[0:1]
	v_add_u32_e32 v1, 0x200, v36
	s_cbranch_vccnz .LBB54_146
; %bb.141:
	s_cmp_lg_u32 s33, 0
	v_mov_b32_e32 v26, 0
	v_mov_b32_e32 v28, 0
	v_mov_b32_e32 v24, 0
	s_cbranch_scc0 .LBB54_147
; %bb.142:
	s_min_u32 s6, s34, 15
	s_add_i32 s2, s6, 1
	s_and_b32 s7, s2, 30
	s_add_u32 s2, s4, 0xffffffec
	s_addc_u32 s3, s5, -1
	v_mov_b32_e32 v24, 0
	v_mov_b32_e32 v3, v1
	;; [unrolled: 1-line block ×4, first 2 shown]
.LBB54_143:                             ; =>This Inner Loop Header: Depth=1
	s_mov_b64 s[16:17], s[2:3]
	s_load_dwordx4 s[8:11], s[16:17], 0x18
	s_load_dwordx2 s[18:19], s[16:17], 0x28
	s_load_dwordx2 s[20:21], s[16:17], 0xe8
	s_load_dwordx4 s[12:15], s[16:17], 0xd8
	s_add_u32 s2, s16, 24
	s_waitcnt lgkmcnt(0)
	v_mul_hi_u32 v5, s9, v3
	v_add_u32_e32 v5, v3, v5
	v_lshrrev_b32_e32 v5, s10, v5
	v_mul_lo_u32 v7, v5, s8
	v_mul_hi_u32 v9, s18, v5
	v_sub_u32_e32 v3, v3, v7
	v_add_u32_e32 v7, v5, v9
	v_mul_lo_u32 v9, v3, s12
	v_mul_lo_u32 v11, v3, s13
	;; [unrolled: 1-line block ×3, first 2 shown]
	v_lshrrev_b32_e32 v3, s19, v7
	v_mul_lo_u32 v7, v3, s11
	v_sub_u32_e32 v5, v5, v7
	s_addc_u32 s3, s17, 0
	s_add_i32 s7, s7, -2
	v_mul_lo_u32 v7, v5, s15
	v_mul_lo_u32 v15, v5, s20
	v_mul_lo_u32 v5, v5, s21
	s_cmp_lg_u32 s7, 0
	v_add3_u32 v24, v9, v24, v7
	v_add3_u32 v26, v13, v26, v5
	v_add3_u32 v28, v11, v28, v15
	s_cbranch_scc1 .LBB54_143
; %bb.144:
	s_bitcmp1_b32 s6, 0
	s_cselect_b64 s[6:7], -1, 0
	s_and_b64 vcc, exec, s[6:7]
	s_cbranch_vccnz .LBB54_147
; %bb.145:
	s_load_dwordx2 s[6:7], s[2:3], 0x18
	s_load_dword s10, s[2:3], 0x20
	s_load_dword s11, s[2:3], 0xe0
	s_load_dwordx2 s[8:9], s[2:3], 0xd8
	s_waitcnt lgkmcnt(0)
	v_mul_hi_u32 v5, s7, v3
	v_add_u32_e32 v5, v3, v5
	v_lshrrev_b32_e32 v5, s10, v5
	v_mul_lo_u32 v5, v5, s6
	v_sub_u32_e32 v3, v3, v5
	v_mad_u64_u32 v[24:25], s[2:3], v3, s8, v[24:25]
	v_mad_u64_u32 v[28:29], s[2:3], v3, s9, v[28:29]
	;; [unrolled: 1-line block ×3, first 2 shown]
	s_cbranch_execz .LBB54_148
	s_branch .LBB54_150
.LBB54_146:
                                        ; implicit-def: $vgpr26
                                        ; implicit-def: $vgpr28
                                        ; implicit-def: $vgpr24
	s_branch .LBB54_148
.LBB54_147:
	s_cbranch_execnz .LBB54_150
.LBB54_148:
	s_load_dwordx4 s[8:11], s[4:5], 0x4
	s_load_dwordx4 s[12:15], s[4:5], 0xc4
	s_cmp_lt_u32 s33, 2
	s_waitcnt lgkmcnt(0)
	v_mul_hi_u32 v3, s9, v1
	v_add_u32_e32 v3, v1, v3
	v_lshrrev_b32_e32 v3, s10, v3
	v_mul_lo_u32 v5, v3, s8
	v_sub_u32_e32 v1, v1, v5
	v_mul_lo_u32 v24, v1, s12
	v_mul_lo_u32 v26, v1, s14
	;; [unrolled: 1-line block ×3, first 2 shown]
	s_cbranch_scc1 .LBB54_150
; %bb.149:
	s_load_dwordx4 s[8:11], s[4:5], 0x10
	s_load_dwordx4 s[12:15], s[4:5], 0xd0
	s_waitcnt lgkmcnt(0)
	v_mul_hi_u32 v1, s9, v3
	v_add_u32_e32 v1, v3, v1
	v_lshrrev_b32_e32 v1, s10, v1
	v_mul_lo_u32 v1, v1, s8
	v_sub_u32_e32 v1, v3, v1
	v_mad_u64_u32 v[24:25], s[2:3], v1, s12, v[24:25]
	v_mad_u64_u32 v[28:29], s[2:3], v1, s13, v[28:29]
	;; [unrolled: 1-line block ×3, first 2 shown]
.LBB54_150:
	s_and_b64 vcc, exec, s[0:1]
	v_add_u32_e32 v1, 0x280, v36
	s_cbranch_vccnz .LBB54_156
; %bb.151:
	s_cmp_lg_u32 s33, 0
	v_mov_b32_e32 v32, 0
	v_mov_b32_e32 v34, 0
	;; [unrolled: 1-line block ×3, first 2 shown]
	s_cbranch_scc0 .LBB54_157
; %bb.152:
	s_min_u32 s6, s34, 15
	s_add_i32 s2, s6, 1
	s_and_b32 s7, s2, 30
	s_add_u32 s2, s4, 0xffffffec
	s_addc_u32 s3, s5, -1
	v_mov_b32_e32 v30, 0
	v_mov_b32_e32 v3, v1
	;; [unrolled: 1-line block ×4, first 2 shown]
.LBB54_153:                             ; =>This Inner Loop Header: Depth=1
	s_mov_b64 s[16:17], s[2:3]
	s_load_dwordx4 s[8:11], s[16:17], 0x18
	s_load_dwordx2 s[18:19], s[16:17], 0x28
	s_load_dwordx2 s[20:21], s[16:17], 0xe8
	s_load_dwordx4 s[12:15], s[16:17], 0xd8
	s_add_u32 s2, s16, 24
	s_waitcnt lgkmcnt(0)
	v_mul_hi_u32 v5, s9, v3
	v_add_u32_e32 v5, v3, v5
	v_lshrrev_b32_e32 v5, s10, v5
	v_mul_lo_u32 v7, v5, s8
	v_mul_hi_u32 v9, s18, v5
	v_sub_u32_e32 v3, v3, v7
	v_add_u32_e32 v7, v5, v9
	v_mul_lo_u32 v9, v3, s12
	v_mul_lo_u32 v11, v3, s13
	;; [unrolled: 1-line block ×3, first 2 shown]
	v_lshrrev_b32_e32 v3, s19, v7
	v_mul_lo_u32 v7, v3, s11
	v_sub_u32_e32 v5, v5, v7
	s_addc_u32 s3, s17, 0
	s_add_i32 s7, s7, -2
	v_mul_lo_u32 v7, v5, s15
	v_mul_lo_u32 v15, v5, s20
	;; [unrolled: 1-line block ×3, first 2 shown]
	s_cmp_lg_u32 s7, 0
	v_add3_u32 v30, v9, v30, v7
	v_add3_u32 v32, v13, v32, v5
	;; [unrolled: 1-line block ×3, first 2 shown]
	s_cbranch_scc1 .LBB54_153
; %bb.154:
	s_bitcmp1_b32 s6, 0
	s_cselect_b64 s[6:7], -1, 0
	s_and_b64 vcc, exec, s[6:7]
	s_cbranch_vccnz .LBB54_157
; %bb.155:
	s_load_dwordx2 s[6:7], s[2:3], 0x18
	s_load_dword s10, s[2:3], 0x20
	s_load_dword s11, s[2:3], 0xe0
	s_load_dwordx2 s[8:9], s[2:3], 0xd8
	s_waitcnt lgkmcnt(0)
	v_mul_hi_u32 v5, s7, v3
	v_add_u32_e32 v5, v3, v5
	v_lshrrev_b32_e32 v5, s10, v5
	v_mul_lo_u32 v5, v5, s6
	v_sub_u32_e32 v3, v3, v5
	v_mad_u64_u32 v[30:31], s[2:3], v3, s8, v[30:31]
	v_mad_u64_u32 v[34:35], s[2:3], v3, s9, v[34:35]
	;; [unrolled: 1-line block ×3, first 2 shown]
	s_cbranch_execz .LBB54_158
	s_branch .LBB54_160
.LBB54_156:
                                        ; implicit-def: $vgpr32
                                        ; implicit-def: $vgpr34
                                        ; implicit-def: $vgpr30
	s_branch .LBB54_158
.LBB54_157:
	s_cbranch_execnz .LBB54_160
.LBB54_158:
	s_load_dwordx4 s[8:11], s[4:5], 0x4
	s_load_dwordx4 s[12:15], s[4:5], 0xc4
	s_cmp_lt_u32 s33, 2
	s_waitcnt lgkmcnt(0)
	v_mul_hi_u32 v3, s9, v1
	v_add_u32_e32 v3, v1, v3
	v_lshrrev_b32_e32 v3, s10, v3
	v_mul_lo_u32 v5, v3, s8
	v_sub_u32_e32 v1, v1, v5
	v_mul_lo_u32 v30, v1, s12
	v_mul_lo_u32 v32, v1, s14
	;; [unrolled: 1-line block ×3, first 2 shown]
	s_cbranch_scc1 .LBB54_160
; %bb.159:
	s_load_dwordx4 s[8:11], s[4:5], 0x10
	s_load_dwordx4 s[12:15], s[4:5], 0xd0
	s_waitcnt lgkmcnt(0)
	v_mul_hi_u32 v1, s9, v3
	v_add_u32_e32 v1, v3, v1
	v_lshrrev_b32_e32 v1, s10, v1
	v_mul_lo_u32 v1, v1, s8
	v_sub_u32_e32 v1, v3, v1
	v_mad_u64_u32 v[30:31], s[2:3], v1, s12, v[30:31]
	v_mad_u64_u32 v[34:35], s[2:3], v1, s13, v[34:35]
	v_mad_u64_u32 v[32:33], s[2:3], v1, s14, v[32:33]
.LBB54_160:
	s_and_b64 vcc, exec, s[0:1]
	v_add_u32_e32 v1, 0x300, v36
	s_cbranch_vccnz .LBB54_166
; %bb.161:
	s_cmp_lg_u32 s33, 0
	v_mov_b32_e32 v40, 0
	v_mov_b32_e32 v38, 0
	;; [unrolled: 1-line block ×3, first 2 shown]
	s_cbranch_scc0 .LBB54_167
; %bb.162:
	s_min_u32 s6, s34, 15
	s_add_i32 s2, s6, 1
	s_and_b32 s7, s2, 30
	s_add_u32 s2, s4, 0xffffffec
	s_addc_u32 s3, s5, -1
	v_mov_b32_e32 v36, 0
	v_mov_b32_e32 v3, v1
	;; [unrolled: 1-line block ×4, first 2 shown]
.LBB54_163:                             ; =>This Inner Loop Header: Depth=1
	s_mov_b64 s[16:17], s[2:3]
	s_load_dwordx4 s[8:11], s[16:17], 0x18
	s_load_dwordx2 s[18:19], s[16:17], 0x28
	s_load_dwordx2 s[20:21], s[16:17], 0xe8
	s_load_dwordx4 s[12:15], s[16:17], 0xd8
	s_add_u32 s2, s16, 24
	s_waitcnt lgkmcnt(0)
	v_mul_hi_u32 v5, s9, v3
	v_add_u32_e32 v5, v3, v5
	v_lshrrev_b32_e32 v5, s10, v5
	v_mul_lo_u32 v7, v5, s8
	v_mul_hi_u32 v9, s18, v5
	v_sub_u32_e32 v3, v3, v7
	v_add_u32_e32 v7, v5, v9
	v_mul_lo_u32 v9, v3, s12
	v_mul_lo_u32 v11, v3, s13
	;; [unrolled: 1-line block ×3, first 2 shown]
	v_lshrrev_b32_e32 v3, s19, v7
	v_mul_lo_u32 v7, v3, s11
	v_sub_u32_e32 v5, v5, v7
	s_addc_u32 s3, s17, 0
	s_add_i32 s7, s7, -2
	v_mul_lo_u32 v7, v5, s15
	v_mul_lo_u32 v15, v5, s20
	;; [unrolled: 1-line block ×3, first 2 shown]
	s_cmp_lg_u32 s7, 0
	v_add3_u32 v36, v9, v36, v7
	v_add3_u32 v40, v13, v40, v5
	;; [unrolled: 1-line block ×3, first 2 shown]
	s_cbranch_scc1 .LBB54_163
; %bb.164:
	s_bitcmp1_b32 s6, 0
	s_cselect_b64 s[6:7], -1, 0
	s_and_b64 vcc, exec, s[6:7]
	s_cbranch_vccnz .LBB54_167
; %bb.165:
	s_load_dwordx2 s[6:7], s[2:3], 0x18
	s_load_dword s10, s[2:3], 0x20
	s_load_dword s11, s[2:3], 0xe0
	s_load_dwordx2 s[8:9], s[2:3], 0xd8
	s_waitcnt lgkmcnt(0)
	v_mul_hi_u32 v5, s7, v3
	v_add_u32_e32 v5, v3, v5
	v_lshrrev_b32_e32 v5, s10, v5
	v_mul_lo_u32 v5, v5, s6
	v_sub_u32_e32 v3, v3, v5
	v_mad_u64_u32 v[36:37], s[2:3], v3, s8, v[36:37]
	v_mad_u64_u32 v[38:39], s[2:3], v3, s9, v[38:39]
	;; [unrolled: 1-line block ×3, first 2 shown]
	s_cbranch_execz .LBB54_168
	s_branch .LBB54_170
.LBB54_166:
                                        ; implicit-def: $vgpr40
                                        ; implicit-def: $vgpr38
                                        ; implicit-def: $vgpr36
	s_branch .LBB54_168
.LBB54_167:
	s_cbranch_execnz .LBB54_170
.LBB54_168:
	s_load_dwordx4 s[8:11], s[4:5], 0x4
	s_load_dwordx4 s[12:15], s[4:5], 0xc4
	s_cmp_lt_u32 s33, 2
	s_waitcnt lgkmcnt(0)
	v_mul_hi_u32 v3, s9, v1
	v_add_u32_e32 v3, v1, v3
	v_lshrrev_b32_e32 v3, s10, v3
	v_mul_lo_u32 v5, v3, s8
	v_sub_u32_e32 v1, v1, v5
	v_mul_lo_u32 v36, v1, s12
	v_mul_lo_u32 v40, v1, s14
	;; [unrolled: 1-line block ×3, first 2 shown]
	s_cbranch_scc1 .LBB54_170
; %bb.169:
	s_load_dwordx4 s[8:11], s[4:5], 0x10
	s_load_dwordx4 s[12:15], s[4:5], 0xd0
	s_waitcnt lgkmcnt(0)
	v_mul_hi_u32 v1, s9, v3
	v_add_u32_e32 v1, v3, v1
	v_lshrrev_b32_e32 v1, s10, v1
	v_mul_lo_u32 v1, v1, s8
	v_sub_u32_e32 v1, v3, v1
	v_mad_u64_u32 v[36:37], s[2:3], v1, s12, v[36:37]
	v_mad_u64_u32 v[38:39], s[2:3], v1, s13, v[38:39]
	;; [unrolled: 1-line block ×3, first 2 shown]
.LBB54_170:
	s_and_b64 vcc, exec, s[0:1]
	s_cbranch_vccnz .LBB54_176
; %bb.171:
	s_cmp_lg_u32 s33, 0
	v_mov_b32_e32 v44, 0
	v_mov_b32_e32 v46, 0
	;; [unrolled: 1-line block ×3, first 2 shown]
	s_cbranch_scc0 .LBB54_177
; %bb.172:
	s_min_u32 s2, s34, 15
	s_add_i32 s0, s2, 1
	s_and_b32 s3, s0, 30
	s_add_u32 s0, s4, 0xffffffec
	s_addc_u32 s1, s5, -1
	v_mov_b32_e32 v42, 0
	v_mov_b32_e32 v1, v48
	;; [unrolled: 1-line block ×4, first 2 shown]
.LBB54_173:                             ; =>This Inner Loop Header: Depth=1
	s_mov_b64 s[6:7], s[0:1]
	s_load_dwordx4 s[8:11], s[6:7], 0x18
	s_load_dwordx2 s[16:17], s[6:7], 0x28
	s_load_dwordx2 s[18:19], s[6:7], 0xe8
	s_load_dwordx4 s[12:15], s[6:7], 0xd8
	s_add_u32 s0, s6, 24
	s_waitcnt lgkmcnt(0)
	v_mul_hi_u32 v3, s9, v1
	v_add_u32_e32 v3, v1, v3
	v_lshrrev_b32_e32 v3, s10, v3
	v_mul_lo_u32 v5, v3, s8
	v_mul_hi_u32 v7, s16, v3
	v_sub_u32_e32 v1, v1, v5
	v_add_u32_e32 v5, v3, v7
	v_mul_lo_u32 v7, v1, s12
	v_mul_lo_u32 v9, v1, s13
	;; [unrolled: 1-line block ×3, first 2 shown]
	v_lshrrev_b32_e32 v1, s17, v5
	v_mul_lo_u32 v5, v1, s11
	v_sub_u32_e32 v3, v3, v5
	s_addc_u32 s1, s7, 0
	s_add_i32 s3, s3, -2
	v_mul_lo_u32 v5, v3, s15
	v_mul_lo_u32 v13, v3, s18
	;; [unrolled: 1-line block ×3, first 2 shown]
	s_cmp_lg_u32 s3, 0
	v_add3_u32 v42, v7, v42, v5
	v_add3_u32 v44, v11, v44, v3
	;; [unrolled: 1-line block ×3, first 2 shown]
	s_cbranch_scc1 .LBB54_173
; %bb.174:
	s_bitcmp1_b32 s2, 0
	s_cselect_b64 s[2:3], -1, 0
	s_and_b64 vcc, exec, s[2:3]
	s_cbranch_vccnz .LBB54_177
; %bb.175:
	s_load_dwordx2 s[2:3], s[0:1], 0x18
	s_load_dword s8, s[0:1], 0x20
	s_load_dword s9, s[0:1], 0xe0
	s_load_dwordx2 s[6:7], s[0:1], 0xd8
	s_waitcnt lgkmcnt(0)
	v_mul_hi_u32 v3, s3, v1
	v_add_u32_e32 v3, v1, v3
	v_lshrrev_b32_e32 v3, s8, v3
	v_mul_lo_u32 v3, v3, s2
	v_sub_u32_e32 v1, v1, v3
	v_mad_u64_u32 v[42:43], s[0:1], v1, s6, v[42:43]
	v_mad_u64_u32 v[46:47], s[0:1], v1, s7, v[46:47]
	;; [unrolled: 1-line block ×3, first 2 shown]
	s_cbranch_execz .LBB54_178
	s_branch .LBB54_180
.LBB54_176:
                                        ; implicit-def: $vgpr44
                                        ; implicit-def: $vgpr46
                                        ; implicit-def: $vgpr42
	s_branch .LBB54_178
.LBB54_177:
	s_cbranch_execnz .LBB54_180
.LBB54_178:
	s_load_dwordx4 s[0:3], s[4:5], 0x4
	s_load_dwordx4 s[8:11], s[4:5], 0xc4
	s_cmp_lt_u32 s33, 2
	s_waitcnt lgkmcnt(0)
	v_mul_hi_u32 v1, s1, v48
	v_add_u32_e32 v1, v48, v1
	v_lshrrev_b32_e32 v1, s2, v1
	v_mul_lo_u32 v3, v1, s0
	v_sub_u32_e32 v3, v48, v3
	v_mul_lo_u32 v42, v3, s8
	v_mul_lo_u32 v44, v3, s10
	;; [unrolled: 1-line block ×3, first 2 shown]
	s_cbranch_scc1 .LBB54_180
; %bb.179:
	s_load_dwordx4 s[0:3], s[4:5], 0x10
	s_load_dwordx4 s[8:11], s[4:5], 0xd0
	s_waitcnt lgkmcnt(0)
	v_mul_hi_u32 v3, s1, v1
	v_add_u32_e32 v3, v1, v3
	v_lshrrev_b32_e32 v3, s2, v3
	v_mul_lo_u32 v3, v3, s0
	v_sub_u32_e32 v1, v1, v3
	v_mad_u64_u32 v[42:43], s[0:1], v1, s8, v[42:43]
	v_mad_u64_u32 v[46:47], s[0:1], v1, s9, v[46:47]
	;; [unrolled: 1-line block ×3, first 2 shown]
.LBB54_180:
	s_load_dwordx4 s[0:3], s[4:5], 0x188
	s_load_dwordx2 s[6:7], s[4:5], 0x198
	s_waitcnt lgkmcnt(0)
	global_load_ushort v1, v4, s[2:3]
	global_load_ushort v3, v2, s[6:7]
	;; [unrolled: 1-line block ×15, first 2 shown]
                                        ; kill: killed $vgpr40
                                        ; kill: killed $vgpr16
                                        ; kill: killed $sgpr2_sgpr3
                                        ; kill: killed $vgpr46
                                        ; kill: killed $vgpr22
                                        ; kill: killed $vgpr20
                                        ; kill: killed $vgpr28
                                        ; kill: killed $vgpr4
                                        ; kill: killed $vgpr26
                                        ; kill: killed $vgpr2
                                        ; kill: killed $vgpr34
                                        ; kill: killed $vgpr10
                                        ; kill: killed $vgpr32
                                        ; kill: killed $vgpr8
                                        ; kill: killed $vgpr38
                                        ; kill: killed $vgpr14
	global_load_ushort v2, v44, s[6:7]
	s_waitcnt vmcnt(15)
	v_cmp_lt_f16_e32 vcc, 0, v1
	s_waitcnt vmcnt(14)
	v_mul_f16_e32 v3, v3, v1
	v_cndmask_b32_e32 v1, v3, v1, vcc
	s_waitcnt vmcnt(12)
	v_mul_f16_e32 v4, v7, v5
	v_cmp_lt_f16_e32 vcc, 0, v5
	s_waitcnt vmcnt(10)
	v_mul_f16_e32 v7, v11, v9
	v_cndmask_b32_e32 v3, v4, v5, vcc
	v_cmp_lt_f16_e32 vcc, 0, v9
	s_waitcnt vmcnt(8)
	v_mul_f16_e32 v8, v15, v13
	v_cndmask_b32_e32 v4, v7, v9, vcc
	;; [unrolled: 4-line block ×5, first 2 shown]
	v_cmp_lt_f16_e32 vcc, 0, v25
	v_cndmask_b32_e32 v9, v14, v25, vcc
	s_waitcnt vmcnt(1)
	v_cmp_lt_f16_e32 vcc, 0, v29
	s_waitcnt vmcnt(0)
	v_mul_f16_e32 v2, v2, v29
	v_cndmask_b32_e32 v2, v2, v29, vcc
	global_store_short v0, v1, s[0:1]
	global_store_short v6, v3, s[0:1]
	;; [unrolled: 1-line block ×8, first 2 shown]
	s_endpgm
	.section	.rodata,"a",@progbits
	.p2align	6, 0x0
	.amdhsa_kernel _ZN2at6native32elementwise_kernel_manual_unrollILi128ELi8EZNS0_22gpu_kernel_impl_nocastIZZZNS0_12prelu_kernelERNS_14TensorIteratorEENKUlvE_clEvENKUlvE2_clEvEUlN3c104HalfES8_E_EEvRNS_18TensorIteratorBaseERKT_EUlibE_EEviT1_
		.amdhsa_group_segment_fixed_size 0
		.amdhsa_private_segment_fixed_size 0
		.amdhsa_kernarg_size 432
		.amdhsa_user_sgpr_count 6
		.amdhsa_user_sgpr_private_segment_buffer 1
		.amdhsa_user_sgpr_dispatch_ptr 0
		.amdhsa_user_sgpr_queue_ptr 0
		.amdhsa_user_sgpr_kernarg_segment_ptr 1
		.amdhsa_user_sgpr_dispatch_id 0
		.amdhsa_user_sgpr_flat_scratch_init 0
		.amdhsa_user_sgpr_kernarg_preload_length 0
		.amdhsa_user_sgpr_kernarg_preload_offset 0
		.amdhsa_user_sgpr_private_segment_size 0
		.amdhsa_uses_dynamic_stack 0
		.amdhsa_system_sgpr_private_segment_wavefront_offset 0
		.amdhsa_system_sgpr_workgroup_id_x 1
		.amdhsa_system_sgpr_workgroup_id_y 0
		.amdhsa_system_sgpr_workgroup_id_z 0
		.amdhsa_system_sgpr_workgroup_info 0
		.amdhsa_system_vgpr_workitem_id 0
		.amdhsa_next_free_vgpr 49
		.amdhsa_next_free_sgpr 52
		.amdhsa_accum_offset 52
		.amdhsa_reserve_vcc 1
		.amdhsa_reserve_flat_scratch 0
		.amdhsa_float_round_mode_32 0
		.amdhsa_float_round_mode_16_64 0
		.amdhsa_float_denorm_mode_32 3
		.amdhsa_float_denorm_mode_16_64 3
		.amdhsa_dx10_clamp 1
		.amdhsa_ieee_mode 1
		.amdhsa_fp16_overflow 0
		.amdhsa_tg_split 0
		.amdhsa_exception_fp_ieee_invalid_op 0
		.amdhsa_exception_fp_denorm_src 0
		.amdhsa_exception_fp_ieee_div_zero 0
		.amdhsa_exception_fp_ieee_overflow 0
		.amdhsa_exception_fp_ieee_underflow 0
		.amdhsa_exception_fp_ieee_inexact 0
		.amdhsa_exception_int_div_zero 0
	.end_amdhsa_kernel
	.section	.text._ZN2at6native32elementwise_kernel_manual_unrollILi128ELi8EZNS0_22gpu_kernel_impl_nocastIZZZNS0_12prelu_kernelERNS_14TensorIteratorEENKUlvE_clEvENKUlvE2_clEvEUlN3c104HalfES8_E_EEvRNS_18TensorIteratorBaseERKT_EUlibE_EEviT1_,"axG",@progbits,_ZN2at6native32elementwise_kernel_manual_unrollILi128ELi8EZNS0_22gpu_kernel_impl_nocastIZZZNS0_12prelu_kernelERNS_14TensorIteratorEENKUlvE_clEvENKUlvE2_clEvEUlN3c104HalfES8_E_EEvRNS_18TensorIteratorBaseERKT_EUlibE_EEviT1_,comdat
.Lfunc_end54:
	.size	_ZN2at6native32elementwise_kernel_manual_unrollILi128ELi8EZNS0_22gpu_kernel_impl_nocastIZZZNS0_12prelu_kernelERNS_14TensorIteratorEENKUlvE_clEvENKUlvE2_clEvEUlN3c104HalfES8_E_EEvRNS_18TensorIteratorBaseERKT_EUlibE_EEviT1_, .Lfunc_end54-_ZN2at6native32elementwise_kernel_manual_unrollILi128ELi8EZNS0_22gpu_kernel_impl_nocastIZZZNS0_12prelu_kernelERNS_14TensorIteratorEENKUlvE_clEvENKUlvE2_clEvEUlN3c104HalfES8_E_EEvRNS_18TensorIteratorBaseERKT_EUlibE_EEviT1_
                                        ; -- End function
	.section	.AMDGPU.csdata,"",@progbits
; Kernel info:
; codeLenInByte = 9316
; NumSgprs: 56
; NumVgprs: 49
; NumAgprs: 0
; TotalNumVgprs: 49
; ScratchSize: 0
; MemoryBound: 0
; FloatMode: 240
; IeeeMode: 1
; LDSByteSize: 0 bytes/workgroup (compile time only)
; SGPRBlocks: 6
; VGPRBlocks: 6
; NumSGPRsForWavesPerEU: 56
; NumVGPRsForWavesPerEU: 49
; AccumOffset: 52
; Occupancy: 8
; WaveLimiterHint : 1
; COMPUTE_PGM_RSRC2:SCRATCH_EN: 0
; COMPUTE_PGM_RSRC2:USER_SGPR: 6
; COMPUTE_PGM_RSRC2:TRAP_HANDLER: 0
; COMPUTE_PGM_RSRC2:TGID_X_EN: 1
; COMPUTE_PGM_RSRC2:TGID_Y_EN: 0
; COMPUTE_PGM_RSRC2:TGID_Z_EN: 0
; COMPUTE_PGM_RSRC2:TIDIG_COMP_CNT: 0
; COMPUTE_PGM_RSRC3_GFX90A:ACCUM_OFFSET: 12
; COMPUTE_PGM_RSRC3_GFX90A:TG_SPLIT: 0
	.section	.text._ZN2at6native32elementwise_kernel_manual_unrollILi128ELi4EZNS0_15gpu_kernel_implIZZZNS0_12prelu_kernelERNS_14TensorIteratorEENKUlvE_clEvENKUlvE2_clEvEUlN3c104HalfES8_E_EEvRNS_18TensorIteratorBaseERKT_EUlibE_EEviT1_,"axG",@progbits,_ZN2at6native32elementwise_kernel_manual_unrollILi128ELi4EZNS0_15gpu_kernel_implIZZZNS0_12prelu_kernelERNS_14TensorIteratorEENKUlvE_clEvENKUlvE2_clEvEUlN3c104HalfES8_E_EEvRNS_18TensorIteratorBaseERKT_EUlibE_EEviT1_,comdat
	.globl	_ZN2at6native32elementwise_kernel_manual_unrollILi128ELi4EZNS0_15gpu_kernel_implIZZZNS0_12prelu_kernelERNS_14TensorIteratorEENKUlvE_clEvENKUlvE2_clEvEUlN3c104HalfES8_E_EEvRNS_18TensorIteratorBaseERKT_EUlibE_EEviT1_ ; -- Begin function _ZN2at6native32elementwise_kernel_manual_unrollILi128ELi4EZNS0_15gpu_kernel_implIZZZNS0_12prelu_kernelERNS_14TensorIteratorEENKUlvE_clEvENKUlvE2_clEvEUlN3c104HalfES8_E_EEvRNS_18TensorIteratorBaseERKT_EUlibE_EEviT1_
	.p2align	8
	.type	_ZN2at6native32elementwise_kernel_manual_unrollILi128ELi4EZNS0_15gpu_kernel_implIZZZNS0_12prelu_kernelERNS_14TensorIteratorEENKUlvE_clEvENKUlvE2_clEvEUlN3c104HalfES8_E_EEvRNS_18TensorIteratorBaseERKT_EUlibE_EEviT1_,@function
_ZN2at6native32elementwise_kernel_manual_unrollILi128ELi4EZNS0_15gpu_kernel_implIZZZNS0_12prelu_kernelERNS_14TensorIteratorEENKUlvE_clEvENKUlvE2_clEvEUlN3c104HalfES8_E_EEvRNS_18TensorIteratorBaseERKT_EUlibE_EEviT1_: ; @_ZN2at6native32elementwise_kernel_manual_unrollILi128ELi4EZNS0_15gpu_kernel_implIZZZNS0_12prelu_kernelERNS_14TensorIteratorEENKUlvE_clEvENKUlvE2_clEvEUlN3c104HalfES8_E_EEvRNS_18TensorIteratorBaseERKT_EUlibE_EEviT1_
; %bb.0:
	v_mov_b32_e32 v1, 0
	global_load_ushort v2, v1, s[4:5] offset:45
	global_load_sbyte v4, v1, s[4:5] offset:47
	s_load_dword s33, s[4:5], 0x0
	s_load_dwordx4 s[8:11], s[4:5], 0x8
	s_load_dwordx2 s[2:3], s[4:5], 0x18
	s_load_dwordx4 s[12:15], s[4:5], 0x20
	v_lshl_or_b32 v3, s6, 9, v0
	v_or_b32_e32 v0, 0x180, v3
	s_mov_b64 s[16:17], 0
	s_waitcnt lgkmcnt(0)
	v_cmp_le_i32_e32 vcc, s33, v0
	s_mov_b64 s[6:7], 0
	s_waitcnt vmcnt(1)
	v_lshrrev_b32_e32 v5, 8, v2
	s_and_saveexec_b64 s[0:1], vcc
	s_xor_b64 s[4:5], exec, s[0:1]
	s_cbranch_execz .LBB55_1544
; %bb.1:
	v_cmp_gt_i32_e32 vcc, s33, v3
	s_mov_b64 s[0:1], -1
	s_mov_b64 s[26:27], 0
	s_mov_b64 s[20:21], 0
	;; [unrolled: 1-line block ×3, first 2 shown]
	s_and_saveexec_b64 s[22:23], vcc
	s_cbranch_execz .LBB55_383
; %bb.2:
	v_mul_lo_u32 v0, v3, s13
	v_ashrrev_i32_e32 v1, 31, v0
	v_mov_b32_e32 v6, s11
	v_add_co_u32_e32 v0, vcc, s10, v0
	v_addc_co_u32_e32 v1, vcc, v6, v1, vcc
	v_mov_b32_e32 v6, 11
	v_cmp_lt_i16_sdwa s[0:1], v5, v6 src0_sel:BYTE_0 src1_sel:DWORD
	s_and_b64 vcc, exec, s[0:1]
	s_cbranch_vccnz .LBB55_9
; %bb.3:
	v_mov_b32_e32 v6, 25
	v_cmp_gt_i16_sdwa s[0:1], v5, v6 src0_sel:BYTE_0 src1_sel:DWORD
	s_and_b64 vcc, exec, s[0:1]
	s_cbranch_vccz .LBB55_18
; %bb.4:
	v_mov_b32_e32 v6, 28
	v_cmp_gt_i16_sdwa s[0:1], v5, v6 src0_sel:BYTE_0 src1_sel:DWORD
	s_and_b64 vcc, exec, s[0:1]
	s_cbranch_vccz .LBB55_28
	;; [unrolled: 5-line block ×4, first 2 shown]
; %bb.7:
	v_mov_b32_e32 v6, 46
	v_cmp_eq_u16_sdwa s[0:1], v5, v6 src0_sel:BYTE_0 src1_sel:DWORD
	s_and_b64 vcc, exec, s[0:1]
	s_cbranch_vccz .LBB55_37
; %bb.8:
	global_load_dword v6, v[0:1], off
	s_mov_b64 s[0:1], -1
	s_waitcnt vmcnt(0)
	v_lshlrev_b32_e32 v6, 16, v6
	v_cvt_f16_f32_e32 v6, v6
	s_branch .LBB55_39
.LBB55_9:
                                        ; implicit-def: $vgpr6
	s_mov_b64 s[0:1], 0
	s_cbranch_execnz .LBB55_105
.LBB55_10:
	s_andn2_b64 vcc, exec, s[0:1]
	s_cbranch_vccnz .LBB55_152
.LBB55_11:
	v_mul_lo_u32 v0, v3, s14
	v_ashrrev_i32_e32 v1, 31, v0
	v_mov_b32_e32 v7, s3
	v_add_co_u32_e32 v0, vcc, s2, v0
	v_addc_co_u32_e32 v1, vcc, v7, v1, vcc
	v_mov_b32_e32 v7, 11
	s_waitcnt vmcnt(0)
	v_cmp_lt_i16_sdwa s[0:1], v4, v7 src0_sel:BYTE_0 src1_sel:DWORD
	s_and_b64 vcc, exec, s[0:1]
	s_cbranch_vccnz .LBB55_19
; %bb.12:
	v_mov_b32_e32 v7, 25
	v_cmp_gt_i16_sdwa s[0:1], v4, v7 src0_sel:BYTE_0 src1_sel:DWORD
	s_and_b64 vcc, exec, s[0:1]
	s_cbranch_vccz .LBB55_29
; %bb.13:
	v_mov_b32_e32 v7, 28
	v_cmp_gt_i16_sdwa s[0:1], v4, v7 src0_sel:BYTE_0 src1_sel:DWORD
	s_and_b64 vcc, exec, s[0:1]
	s_cbranch_vccz .LBB55_32
	;; [unrolled: 5-line block ×4, first 2 shown]
; %bb.16:
	v_mov_b32_e32 v7, 46
	v_cmp_eq_u16_sdwa s[0:1], v4, v7 src0_sel:BYTE_0 src1_sel:DWORD
	s_mov_b64 s[6:7], 0
	s_and_b64 vcc, exec, s[0:1]
	s_cbranch_vccz .LBB55_153
; %bb.17:
	global_load_dword v7, v[0:1], off
	s_mov_b64 s[0:1], -1
	s_mov_b64 s[18:19], 0
	s_waitcnt vmcnt(0)
	v_lshlrev_b32_e32 v7, 16, v7
	v_cvt_f16_f32_e32 v7, v7
	s_branch .LBB55_155
.LBB55_18:
	s_mov_b64 s[0:1], 0
                                        ; implicit-def: $vgpr6
	s_cbranch_execnz .LBB55_70
	s_branch .LBB55_104
.LBB55_19:
	s_mov_b64 s[18:19], 0
                                        ; implicit-def: $vgpr7
	s_mov_b64 s[0:1], 0
	s_cbranch_execnz .LBB55_332
.LBB55_20:
	s_andn2_b64 vcc, exec, s[0:1]
	s_cbranch_vccnz .LBB55_380
.LBB55_21:
	s_waitcnt vmcnt(0)
	v_mul_f16_e32 v0, v6, v7
	v_cmp_lt_f16_e32 vcc, 0, v6
	v_cndmask_b32_e32 v6, v0, v6, vcc
	v_mul_lo_u32 v0, v3, s12
	v_ashrrev_i32_e32 v1, 31, v0
	v_mov_b32_e32 v7, s9
	v_add_co_u32_e32 v0, vcc, s8, v0
	v_addc_co_u32_e32 v1, vcc, v7, v1, vcc
	v_mov_b32_e32 v7, 11
	v_cmp_lt_i16_sdwa s[0:1], v2, v7 src0_sel:BYTE_0 src1_sel:DWORD
	s_and_b64 vcc, exec, s[0:1]
	s_cbranch_vccnz .LBB55_30
; %bb.22:
	v_mov_b32_e32 v7, 25
	v_cmp_gt_i16_sdwa s[0:1], v2, v7 src0_sel:BYTE_0 src1_sel:DWORD
	s_and_b64 vcc, exec, s[0:1]
	s_cbranch_vccz .LBB55_33
; %bb.23:
	v_mov_b32_e32 v7, 28
	v_cmp_gt_i16_sdwa s[0:1], v2, v7 src0_sel:BYTE_0 src1_sel:DWORD
	s_and_b64 vcc, exec, s[0:1]
	s_cbranch_vccz .LBB55_36
	;; [unrolled: 5-line block ×4, first 2 shown]
; %bb.26:
	v_mov_b32_e32 v7, 46
	v_cmp_eq_u16_sdwa s[6:7], v2, v7 src0_sel:BYTE_0 src1_sel:DWORD
	s_mov_b64 s[24:25], 0
	s_mov_b64 s[0:1], -1
	s_and_b64 vcc, exec, s[6:7]
	s_mov_b64 s[6:7], 0
	s_cbranch_vccz .LBB55_159
; %bb.27:
	v_cvt_f32_f16_e32 v7, v6
	s_movk_i32 s0, 0x7fff
	v_mov_b32_e32 v8, 0x7fc0
	v_cmp_o_f16_e32 vcc, v6, v6
	v_bfe_u32 v9, v7, 16, 1
	v_add3_u32 v7, v7, v9, s0
	v_lshrrev_b32_e32 v7, 16, v7
	v_cndmask_b32_e32 v7, v8, v7, vcc
	global_store_dword v[0:1], v7, off
	s_mov_b64 s[6:7], -1
	s_mov_b64 s[0:1], 0
	s_branch .LBB55_159
.LBB55_28:
	s_mov_b64 s[6:7], -1
	s_mov_b64 s[0:1], 0
                                        ; implicit-def: $vgpr6
	s_branch .LBB55_51
.LBB55_29:
	s_mov_b64 s[6:7], -1
	s_mov_b64 s[18:19], 0
	s_mov_b64 s[0:1], 0
                                        ; implicit-def: $vgpr7
	s_branch .LBB55_296
.LBB55_30:
	s_mov_b64 s[24:25], -1
	s_mov_b64 s[0:1], 0
	s_mov_b64 s[6:7], 0
	s_branch .LBB55_228
.LBB55_31:
	s_mov_b64 s[6:7], -1
	s_mov_b64 s[0:1], 0
                                        ; implicit-def: $vgpr6
	s_branch .LBB55_46
.LBB55_32:
	s_mov_b64 s[6:7], -1
	s_mov_b64 s[18:19], 0
	s_mov_b64 s[0:1], 0
                                        ; implicit-def: $vgpr7
	s_branch .LBB55_277
.LBB55_33:
	s_mov_b64 s[24:25], -1
	s_mov_b64 s[0:1], 0
	s_mov_b64 s[6:7], 0
	s_branch .LBB55_186
.LBB55_34:
	s_mov_b64 s[6:7], -1
	s_branch .LBB55_38
.LBB55_35:
	s_mov_b64 s[6:7], -1
	s_mov_b64 s[18:19], 0
	s_mov_b64 s[0:1], 0
                                        ; implicit-def: $vgpr7
	s_branch .LBB55_272
.LBB55_36:
	s_mov_b64 s[24:25], -1
	s_mov_b64 s[0:1], 0
	s_mov_b64 s[6:7], 0
	s_branch .LBB55_169
.LBB55_37:
	s_mov_b64 s[20:21], -1
.LBB55_38:
	s_mov_b64 s[0:1], 0
                                        ; implicit-def: $vgpr6
.LBB55_39:
	s_and_b64 vcc, exec, s[6:7]
	s_cbranch_vccz .LBB55_45
; %bb.40:
	v_mov_b32_e32 v6, 44
	v_cmp_eq_u16_sdwa s[6:7], v5, v6 src0_sel:BYTE_0 src1_sel:DWORD
	s_and_b64 vcc, exec, s[6:7]
	s_cbranch_vccz .LBB55_44
; %bb.41:
	global_load_ubyte v6, v[0:1], off
	s_movk_i32 s6, 0xff
	v_mov_b32_e32 v8, 0x7e00
	s_mov_b64 s[0:1], -1
	s_mov_b64 s[20:21], 0
	s_waitcnt vmcnt(0)
	v_lshlrev_b32_e32 v7, 23, v6
	v_cvt_f16_f32_e32 v7, v7
	v_cmp_ne_u32_e32 vcc, s6, v6
	v_cndmask_b32_e32 v7, v8, v7, vcc
	v_cmp_ne_u32_e32 vcc, 0, v6
	v_cndmask_b32_e32 v6, 0, v7, vcc
	s_branch .LBB55_45
.LBB55_42:
	s_mov_b64 s[6:7], -1
	s_mov_b64 s[18:19], 0
	s_branch .LBB55_154
.LBB55_43:
	s_mov_b64 s[24:25], -1
	s_mov_b64 s[0:1], 0
	s_mov_b64 s[6:7], 0
	s_branch .LBB55_165
.LBB55_44:
	s_mov_b64 s[20:21], -1
                                        ; implicit-def: $vgpr6
.LBB55_45:
	s_mov_b64 s[6:7], 0
.LBB55_46:
	s_and_b64 vcc, exec, s[6:7]
	s_cbranch_vccz .LBB55_50
; %bb.47:
	v_mov_b32_e32 v6, 29
	v_cmp_eq_u16_sdwa s[6:7], v5, v6 src0_sel:BYTE_0 src1_sel:DWORD
	s_and_b64 vcc, exec, s[6:7]
	s_cbranch_vccz .LBB55_49
; %bb.48:
	global_load_dwordx2 v[6:7], v[0:1], off
	s_mov_b64 s[0:1], -1
	s_mov_b64 s[20:21], 0
	s_mov_b64 s[6:7], 0
	s_waitcnt vmcnt(0)
	v_ffbh_u32_e32 v8, v7
	v_min_u32_e32 v8, 32, v8
	v_lshlrev_b64 v[6:7], v8, v[6:7]
	v_min_u32_e32 v6, 1, v6
	v_or_b32_e32 v6, v7, v6
	v_cvt_f32_u32_e32 v6, v6
	v_sub_u32_e32 v7, 32, v8
	v_ldexp_f32 v6, v6, v7
	v_cvt_f16_f32_e32 v6, v6
	s_branch .LBB55_51
.LBB55_49:
	s_mov_b64 s[20:21], -1
                                        ; implicit-def: $vgpr6
.LBB55_50:
	s_mov_b64 s[6:7], 0
.LBB55_51:
	s_and_b64 vcc, exec, s[6:7]
	s_cbranch_vccz .LBB55_69
; %bb.52:
	v_mov_b32_e32 v6, 27
	v_cmp_lt_i16_sdwa s[0:1], v5, v6 src0_sel:BYTE_0 src1_sel:DWORD
	s_and_b64 vcc, exec, s[0:1]
	s_cbranch_vccnz .LBB55_55
; %bb.53:
	v_cmp_gt_i16_sdwa s[0:1], v5, v6 src0_sel:BYTE_0 src1_sel:DWORD
	s_and_b64 vcc, exec, s[0:1]
	s_cbranch_vccz .LBB55_56
; %bb.54:
	global_load_dword v6, v[0:1], off
	s_mov_b64 s[0:1], 0
	s_waitcnt vmcnt(0)
	v_cvt_f32_u32_e32 v6, v6
	v_cvt_f16_f32_e32 v6, v6
	s_branch .LBB55_57
.LBB55_55:
	s_mov_b64 s[0:1], -1
                                        ; implicit-def: $vgpr6
	s_branch .LBB55_60
.LBB55_56:
	s_mov_b64 s[0:1], -1
                                        ; implicit-def: $vgpr6
.LBB55_57:
	s_andn2_b64 vcc, exec, s[0:1]
	s_cbranch_vccnz .LBB55_59
; %bb.58:
	global_load_ushort v6, v[0:1], off
	s_waitcnt vmcnt(0)
	v_cvt_f16_u16_e32 v6, v6
.LBB55_59:
	s_mov_b64 s[0:1], 0
.LBB55_60:
	s_andn2_b64 vcc, exec, s[0:1]
	s_cbranch_vccnz .LBB55_68
; %bb.61:
	global_load_ubyte v7, v[0:1], off
	s_movk_i32 s0, 0x7f
                                        ; implicit-def: $sgpr15
	s_waitcnt vmcnt(0)
	v_cmp_lt_i16_e32 vcc, s0, v7
	s_mov_b64 s[0:1], 0
	s_and_saveexec_b64 s[6:7], vcc
	s_xor_b64 s[6:7], exec, s[6:7]
	s_cbranch_execz .LBB55_81
; %bb.62:
	s_movk_i32 s0, 0x80
	v_cmp_eq_u16_e32 vcc, s0, v7
	s_mov_b64 s[0:1], -1
                                        ; implicit-def: $sgpr15
	s_and_saveexec_b64 s[18:19], vcc
; %bb.63:
	s_movk_i32 s15, 0x7e00
	s_xor_b64 s[0:1], exec, -1
; %bb.64:
	s_or_b64 exec, exec, s[18:19]
	s_and_b64 s[0:1], s[0:1], exec
	s_or_saveexec_b64 s[6:7], s[6:7]
	v_mov_b32_e32 v6, s15
	s_xor_b64 exec, exec, s[6:7]
	s_cbranch_execnz .LBB55_82
.LBB55_65:
	s_or_b64 exec, exec, s[6:7]
	s_and_saveexec_b64 s[6:7], s[0:1]
	s_cbranch_execz .LBB55_67
.LBB55_66:
	v_lshlrev_b32_e32 v6, 24, v7
	v_and_b32_e32 v7, 0xffff, v7
	v_and_b32_e32 v8, 7, v7
	v_ffbh_u32_e32 v10, v8
	v_min_u32_e32 v10, 32, v10
	v_subrev_u32_e32 v11, 28, v10
	v_bfe_u32 v9, v7, 3, 4
	v_lshlrev_b32_e32 v7, v11, v7
	v_sub_u32_e32 v10, 29, v10
	v_and_b32_e32 v7, 7, v7
	v_cmp_eq_u32_e32 vcc, 0, v9
	v_cndmask_b32_e32 v9, v9, v10, vcc
	v_cndmask_b32_e32 v7, v8, v7, vcc
	v_mov_b32_e32 v8, 0x3b800000
	v_lshlrev_b32_e32 v7, 20, v7
	v_and_b32_e32 v6, 0x80000000, v6
	v_lshl_add_u32 v8, v9, 23, v8
	v_or3_b32 v6, v6, v8, v7
	v_cvt_f16_f32_e32 v6, v6
.LBB55_67:
	s_or_b64 exec, exec, s[6:7]
.LBB55_68:
	s_mov_b64 s[0:1], -1
.LBB55_69:
	s_branch .LBB55_104
.LBB55_70:
	v_mov_b32_e32 v6, 22
	v_cmp_gt_i16_sdwa s[6:7], v5, v6 src0_sel:BYTE_0 src1_sel:DWORD
	s_and_b64 vcc, exec, s[6:7]
	s_cbranch_vccz .LBB55_80
; %bb.71:
	v_mov_b32_e32 v6, 24
	v_cmp_lt_i16_sdwa s[0:1], v5, v6 src0_sel:BYTE_0 src1_sel:DWORD
	s_and_b64 vcc, exec, s[0:1]
	s_cbranch_vccnz .LBB55_83
; %bb.72:
	v_cmp_gt_i16_sdwa s[0:1], v5, v6 src0_sel:BYTE_0 src1_sel:DWORD
	s_and_b64 vcc, exec, s[0:1]
	s_cbranch_vccz .LBB55_84
; %bb.73:
	global_load_ubyte v7, v[0:1], off
	s_movk_i32 s0, 0x7f
                                        ; implicit-def: $sgpr15
	s_waitcnt vmcnt(0)
	v_cmp_lt_i16_e32 vcc, s0, v7
	s_mov_b64 s[0:1], 0
	s_and_saveexec_b64 s[6:7], vcc
	s_xor_b64 s[6:7], exec, s[6:7]
	s_cbranch_execz .LBB55_96
; %bb.74:
	s_movk_i32 s0, 0x80
	v_cmp_eq_u16_e32 vcc, s0, v7
	s_mov_b64 s[0:1], -1
                                        ; implicit-def: $sgpr15
	s_and_saveexec_b64 s[18:19], vcc
; %bb.75:
	s_movk_i32 s15, 0x7e00
	s_xor_b64 s[0:1], exec, -1
; %bb.76:
	s_or_b64 exec, exec, s[18:19]
	s_and_b64 s[0:1], s[0:1], exec
	s_or_saveexec_b64 s[6:7], s[6:7]
	v_mov_b32_e32 v6, s15
	s_xor_b64 exec, exec, s[6:7]
	s_cbranch_execnz .LBB55_97
.LBB55_77:
	s_or_b64 exec, exec, s[6:7]
	s_and_saveexec_b64 s[6:7], s[0:1]
	s_cbranch_execz .LBB55_79
.LBB55_78:
	v_lshlrev_b32_e32 v6, 24, v7
	v_and_b32_e32 v7, 0xffff, v7
	v_and_b32_e32 v8, 3, v7
	v_ffbh_u32_e32 v10, v8
	v_min_u32_e32 v10, 32, v10
	v_subrev_u32_e32 v11, 29, v10
	v_bfe_u32 v9, v7, 2, 5
	v_lshlrev_b32_e32 v7, v11, v7
	v_sub_u32_e32 v10, 30, v10
	v_and_b32_e32 v7, 3, v7
	v_cmp_eq_u32_e32 vcc, 0, v9
	v_cndmask_b32_e32 v9, v9, v10, vcc
	v_cndmask_b32_e32 v7, v8, v7, vcc
	v_mov_b32_e32 v8, 0x37800000
	v_lshlrev_b32_e32 v7, 21, v7
	v_and_b32_e32 v6, 0x80000000, v6
	v_lshl_add_u32 v8, v9, 23, v8
	v_or3_b32 v6, v6, v8, v7
	v_cvt_f16_f32_e32 v6, v6
.LBB55_79:
	s_or_b64 exec, exec, s[6:7]
	s_mov_b64 s[0:1], 0
	s_branch .LBB55_85
.LBB55_80:
	s_mov_b64 s[6:7], -1
                                        ; implicit-def: $vgpr6
	s_branch .LBB55_91
.LBB55_81:
	s_or_saveexec_b64 s[6:7], s[6:7]
	v_mov_b32_e32 v6, s15
	s_xor_b64 exec, exec, s[6:7]
	s_cbranch_execz .LBB55_65
.LBB55_82:
	v_cmp_ne_u16_e32 vcc, 0, v7
	s_andn2_b64 s[0:1], s[0:1], exec
	s_and_b64 s[18:19], vcc, exec
	s_or_b64 s[0:1], s[0:1], s[18:19]
	v_mov_b32_e32 v6, v7
	s_or_b64 exec, exec, s[6:7]
	s_and_saveexec_b64 s[6:7], s[0:1]
	s_cbranch_execnz .LBB55_66
	s_branch .LBB55_67
.LBB55_83:
	s_mov_b64 s[0:1], -1
                                        ; implicit-def: $vgpr6
	s_branch .LBB55_88
.LBB55_84:
	s_mov_b64 s[0:1], -1
                                        ; implicit-def: $vgpr6
.LBB55_85:
	s_and_b64 vcc, exec, s[0:1]
	s_cbranch_vccz .LBB55_87
; %bb.86:
	global_load_ubyte v6, v[0:1], off
	s_mov_b32 s0, 0x7f800000
	s_waitcnt vmcnt(0)
	v_lshlrev_b32_e32 v6, 24, v6
	v_and_b32_e32 v7, 0x7f000000, v6
	v_ffbh_u32_e32 v8, v7
	v_min_u32_e32 v8, 32, v8
	v_sub_u32_e64 v8, v8, 4 clamp
	v_lshlrev_b32_e32 v10, v8, v7
	v_lshlrev_b32_e32 v8, 23, v8
	v_lshrrev_b32_e32 v10, 4, v10
	v_add_u32_e32 v9, 0x1000000, v7
	v_sub_u32_e32 v8, v10, v8
	v_ashrrev_i32_e32 v9, 8, v9
	v_add_u32_e32 v8, 0x3c000000, v8
	v_and_or_b32 v8, v9, s0, v8
	v_cmp_ne_u32_e32 vcc, 0, v7
	v_cndmask_b32_e32 v7, 0, v8, vcc
	s_brev_b32 s0, 1
	v_and_or_b32 v6, v6, s0, v7
	v_cvt_f16_f32_e32 v6, v6
.LBB55_87:
	s_mov_b64 s[0:1], 0
.LBB55_88:
	s_andn2_b64 vcc, exec, s[0:1]
	s_cbranch_vccnz .LBB55_90
; %bb.89:
	global_load_ubyte v6, v[0:1], off
	s_movk_i32 s0, 0x7f00
	s_brev_b32 s1, 16
	s_waitcnt vmcnt(0)
	v_lshlrev_b16_e32 v7, 8, v6
	v_lshlrev_b32_e32 v6, 25, v6
	v_lshrrev_b32_e32 v8, 4, v6
	v_and_or_b32 v9, v7, s0, 0.5
	v_or_b32_e32 v8, 0x70000000, v8
	v_add_f32_e32 v9, -0.5, v9
	v_mul_f32_e32 v8, 0x7800000, v8
	v_cmp_gt_u32_e32 vcc, s1, v6
	v_bfe_i32 v7, v7, 0, 16
	v_cndmask_b32_e32 v6, v8, v9, vcc
	s_brev_b32 s0, 1
	v_and_or_b32 v6, v7, s0, v6
	v_cvt_f16_f32_e32 v6, v6
.LBB55_90:
	s_mov_b64 s[6:7], 0
	s_mov_b64 s[0:1], -1
.LBB55_91:
	s_andn2_b64 vcc, exec, s[6:7]
	s_cbranch_vccnz .LBB55_104
; %bb.92:
	v_mov_b32_e32 v6, 14
	v_cmp_gt_i16_sdwa s[6:7], v5, v6 src0_sel:BYTE_0 src1_sel:DWORD
	s_and_b64 vcc, exec, s[6:7]
	s_cbranch_vccz .LBB55_95
; %bb.93:
	v_mov_b32_e32 v6, 15
	v_cmp_eq_u16_sdwa s[6:7], v5, v6 src0_sel:BYTE_0 src1_sel:DWORD
	s_and_b64 vcc, exec, s[6:7]
	s_cbranch_vccz .LBB55_98
; %bb.94:
	global_load_ushort v6, v[0:1], off
	s_mov_b64 s[0:1], -1
	s_mov_b64 s[20:21], 0
	s_waitcnt vmcnt(0)
	v_lshlrev_b32_e32 v6, 16, v6
	v_cvt_f16_f32_e32 v6, v6
	s_branch .LBB55_99
.LBB55_95:
	s_mov_b64 s[6:7], -1
                                        ; implicit-def: $vgpr6
	s_branch .LBB55_100
.LBB55_96:
	s_or_saveexec_b64 s[6:7], s[6:7]
	v_mov_b32_e32 v6, s15
	s_xor_b64 exec, exec, s[6:7]
	s_cbranch_execz .LBB55_77
.LBB55_97:
	v_cmp_ne_u16_e32 vcc, 0, v7
	s_andn2_b64 s[0:1], s[0:1], exec
	s_and_b64 s[18:19], vcc, exec
	s_or_b64 s[0:1], s[0:1], s[18:19]
	v_mov_b32_e32 v6, v7
	s_or_b64 exec, exec, s[6:7]
	s_and_saveexec_b64 s[6:7], s[0:1]
	s_cbranch_execnz .LBB55_78
	s_branch .LBB55_79
.LBB55_98:
	s_mov_b64 s[20:21], -1
                                        ; implicit-def: $vgpr6
.LBB55_99:
	s_mov_b64 s[6:7], 0
.LBB55_100:
	s_and_b64 vcc, exec, s[6:7]
	s_cbranch_vccz .LBB55_104
; %bb.101:
	v_mov_b32_e32 v6, 11
	v_cmp_eq_u16_sdwa s[6:7], v5, v6 src0_sel:BYTE_0 src1_sel:DWORD
	s_and_b64 vcc, exec, s[6:7]
	s_cbranch_vccz .LBB55_103
; %bb.102:
	global_load_ubyte v6, v[0:1], off
	v_mov_b32_e32 v7, 0x3c00
	s_mov_b64 s[0:1], -1
	s_mov_b64 s[20:21], 0
	s_waitcnt vmcnt(0)
	v_cmp_ne_u16_e32 vcc, 0, v6
	v_cndmask_b32_e32 v6, 0, v7, vcc
	s_branch .LBB55_104
.LBB55_103:
	s_mov_b64 s[20:21], -1
                                        ; implicit-def: $vgpr6
.LBB55_104:
	s_branch .LBB55_10
.LBB55_105:
	v_mov_b32_e32 v6, 5
	v_cmp_lt_i16_sdwa s[0:1], v5, v6 src0_sel:BYTE_0 src1_sel:DWORD
	s_and_b64 vcc, exec, s[0:1]
	s_cbranch_vccnz .LBB55_110
; %bb.106:
	v_mov_b32_e32 v6, 8
	v_cmp_lt_i16_sdwa s[0:1], v5, v6 src0_sel:BYTE_0 src1_sel:DWORD
	s_and_b64 vcc, exec, s[0:1]
	s_cbranch_vccnz .LBB55_111
; %bb.107:
	;; [unrolled: 5-line block ×3, first 2 shown]
	v_cmp_gt_i16_sdwa s[0:1], v5, v6 src0_sel:BYTE_0 src1_sel:DWORD
	s_and_b64 vcc, exec, s[0:1]
	s_cbranch_vccz .LBB55_113
; %bb.109:
	global_load_dwordx2 v[6:7], v[0:1], off
	s_mov_b64 s[0:1], 0
	s_waitcnt vmcnt(0)
	v_cvt_f32_f64_e32 v6, v[6:7]
	v_cvt_f16_f32_e32 v6, v6
	s_branch .LBB55_114
.LBB55_110:
                                        ; implicit-def: $vgpr6
	s_branch .LBB55_132
.LBB55_111:
	s_mov_b64 s[0:1], -1
                                        ; implicit-def: $vgpr6
	s_branch .LBB55_120
.LBB55_112:
	s_mov_b64 s[0:1], -1
                                        ; implicit-def: $vgpr6
	s_branch .LBB55_117
.LBB55_113:
	s_mov_b64 s[0:1], -1
                                        ; implicit-def: $vgpr6
.LBB55_114:
	s_andn2_b64 vcc, exec, s[0:1]
	s_cbranch_vccnz .LBB55_116
; %bb.115:
	global_load_dword v6, v[0:1], off
	s_waitcnt vmcnt(0)
	v_cvt_f16_f32_e32 v6, v6
.LBB55_116:
	s_mov_b64 s[0:1], 0
.LBB55_117:
	s_andn2_b64 vcc, exec, s[0:1]
	s_cbranch_vccnz .LBB55_119
; %bb.118:
	global_load_dword v6, v[0:1], off
.LBB55_119:
	s_mov_b64 s[0:1], 0
.LBB55_120:
	s_andn2_b64 vcc, exec, s[0:1]
	s_cbranch_vccnz .LBB55_131
; %bb.121:
	s_waitcnt vmcnt(0)
	v_mov_b32_e32 v6, 6
	v_cmp_lt_i16_sdwa s[0:1], v5, v6 src0_sel:BYTE_0 src1_sel:DWORD
	s_and_b64 vcc, exec, s[0:1]
	s_cbranch_vccnz .LBB55_124
; %bb.122:
	v_cmp_gt_i16_sdwa s[0:1], v5, v6 src0_sel:BYTE_0 src1_sel:DWORD
	s_and_b64 vcc, exec, s[0:1]
	s_cbranch_vccz .LBB55_125
; %bb.123:
	global_load_dwordx2 v[6:7], v[0:1], off
	s_mov_b64 s[0:1], 0
	s_waitcnt vmcnt(0)
	v_cvt_f32_f64_e32 v6, v[6:7]
	v_cvt_f16_f32_e32 v6, v6
	s_branch .LBB55_126
.LBB55_124:
	s_mov_b64 s[0:1], -1
                                        ; implicit-def: $vgpr6
	s_branch .LBB55_129
.LBB55_125:
	s_mov_b64 s[0:1], -1
                                        ; implicit-def: $vgpr6
.LBB55_126:
	s_andn2_b64 vcc, exec, s[0:1]
	s_cbranch_vccnz .LBB55_128
; %bb.127:
	global_load_dword v6, v[0:1], off
	s_waitcnt vmcnt(0)
	v_cvt_f16_f32_e32 v6, v6
.LBB55_128:
	s_mov_b64 s[0:1], 0
.LBB55_129:
	s_andn2_b64 vcc, exec, s[0:1]
	s_cbranch_vccnz .LBB55_131
; %bb.130:
	global_load_ushort v6, v[0:1], off
.LBB55_131:
	s_cbranch_execnz .LBB55_151
.LBB55_132:
	s_waitcnt vmcnt(0)
	v_mov_b32_e32 v6, 2
	v_cmp_lt_i16_sdwa s[0:1], v5, v6 src0_sel:BYTE_0 src1_sel:DWORD
	s_and_b64 vcc, exec, s[0:1]
	s_cbranch_vccnz .LBB55_136
; %bb.133:
	v_mov_b32_e32 v6, 3
	v_cmp_lt_i16_sdwa s[0:1], v5, v6 src0_sel:BYTE_0 src1_sel:DWORD
	s_and_b64 vcc, exec, s[0:1]
	s_cbranch_vccnz .LBB55_137
; %bb.134:
	v_cmp_gt_i16_sdwa s[0:1], v5, v6 src0_sel:BYTE_0 src1_sel:DWORD
	s_and_b64 vcc, exec, s[0:1]
	s_cbranch_vccz .LBB55_138
; %bb.135:
	global_load_dwordx2 v[6:7], v[0:1], off
	s_mov_b64 s[0:1], 0
	s_waitcnt vmcnt(0)
	v_xor_b32_e32 v9, v6, v7
	v_ffbh_i32_e32 v8, v7
	v_ashrrev_i32_e32 v9, 31, v9
	v_add_u32_e32 v8, -1, v8
	v_add_u32_e32 v9, 32, v9
	v_min_u32_e32 v8, v8, v9
	v_lshlrev_b64 v[6:7], v8, v[6:7]
	v_min_u32_e32 v6, 1, v6
	v_or_b32_e32 v6, v7, v6
	v_cvt_f32_i32_e32 v6, v6
	v_sub_u32_e32 v7, 32, v8
	v_ldexp_f32 v6, v6, v7
	v_cvt_f16_f32_e32 v6, v6
	s_branch .LBB55_139
.LBB55_136:
	s_mov_b64 s[0:1], -1
                                        ; implicit-def: $vgpr6
	s_branch .LBB55_145
.LBB55_137:
	s_mov_b64 s[0:1], -1
                                        ; implicit-def: $vgpr6
	s_branch .LBB55_142
.LBB55_138:
	s_mov_b64 s[0:1], -1
                                        ; implicit-def: $vgpr6
.LBB55_139:
	s_andn2_b64 vcc, exec, s[0:1]
	s_cbranch_vccnz .LBB55_141
; %bb.140:
	global_load_dword v6, v[0:1], off
	s_waitcnt vmcnt(0)
	v_cvt_f32_i32_e32 v6, v6
	v_cvt_f16_f32_e32 v6, v6
.LBB55_141:
	s_mov_b64 s[0:1], 0
.LBB55_142:
	s_andn2_b64 vcc, exec, s[0:1]
	s_cbranch_vccnz .LBB55_144
; %bb.143:
	global_load_ushort v6, v[0:1], off
	s_waitcnt vmcnt(0)
	v_cvt_f16_i16_e32 v6, v6
.LBB55_144:
	s_mov_b64 s[0:1], 0
.LBB55_145:
	s_andn2_b64 vcc, exec, s[0:1]
	s_cbranch_vccnz .LBB55_151
; %bb.146:
	v_mov_b32_e32 v6, 0
	v_cmp_gt_i16_sdwa s[0:1], v5, v6 src0_sel:BYTE_0 src1_sel:DWORD
	s_and_b64 vcc, exec, s[0:1]
	s_cbranch_vccz .LBB55_148
; %bb.147:
	global_load_sbyte v6, v[0:1], off
	s_mov_b64 s[0:1], 0
	s_waitcnt vmcnt(0)
	v_cvt_f16_i16_e32 v6, v6
	s_branch .LBB55_149
.LBB55_148:
	s_mov_b64 s[0:1], -1
                                        ; implicit-def: $vgpr6
.LBB55_149:
	s_andn2_b64 vcc, exec, s[0:1]
	s_cbranch_vccnz .LBB55_151
; %bb.150:
	global_load_ubyte v0, v[0:1], off
	s_waitcnt vmcnt(0)
	v_cvt_f16_u16_e32 v6, v0
.LBB55_151:
	s_branch .LBB55_11
.LBB55_152:
	s_mov_b64 s[0:1], 0
	s_mov_b64 s[18:19], 0
	s_branch .LBB55_381
.LBB55_153:
	s_mov_b64 s[18:19], -1
.LBB55_154:
	s_mov_b64 s[0:1], 0
                                        ; implicit-def: $vgpr7
.LBB55_155:
	s_and_b64 vcc, exec, s[6:7]
	s_cbranch_vccz .LBB55_271
; %bb.156:
	v_mov_b32_e32 v7, 44
	v_cmp_eq_u16_sdwa s[6:7], v4, v7 src0_sel:BYTE_0 src1_sel:DWORD
	s_and_b64 vcc, exec, s[6:7]
	s_cbranch_vccz .LBB55_270
; %bb.157:
	global_load_ubyte v7, v[0:1], off
	s_movk_i32 s6, 0xff
	v_mov_b32_e32 v9, 0x7e00
	s_mov_b64 s[0:1], -1
	s_mov_b64 s[18:19], 0
	s_waitcnt vmcnt(0)
	v_lshlrev_b32_e32 v8, 23, v7
	v_cvt_f16_f32_e32 v8, v8
	v_cmp_ne_u32_e32 vcc, s6, v7
	v_cndmask_b32_e32 v8, v9, v8, vcc
	v_cmp_ne_u32_e32 vcc, 0, v7
	v_cndmask_b32_e32 v7, 0, v8, vcc
	s_branch .LBB55_271
.LBB55_158:
	s_mov_b64 s[24:25], -1
	s_mov_b64 s[0:1], 0
	s_mov_b64 s[6:7], 0
.LBB55_159:
	s_and_b64 vcc, exec, s[24:25]
	s_cbranch_vccz .LBB55_164
; %bb.160:
	v_mov_b32_e32 v7, 44
	v_cmp_eq_u16_sdwa s[24:25], v2, v7 src0_sel:BYTE_0 src1_sel:DWORD
	s_mov_b64 s[0:1], -1
	s_and_b64 vcc, exec, s[24:25]
	s_cbranch_vccz .LBB55_164
; %bb.161:
	v_cvt_f32_f16_e32 v7, v6
	s_movk_i32 s0, 0xff
	v_mov_b32_e32 v9, 0xff
	v_bfe_u32 v8, v7, 23, 8
	v_cmp_ne_u32_e32 vcc, s0, v8
	s_and_saveexec_b64 s[6:7], vcc
; %bb.162:
	s_mov_b32 s0, 0x3fffff
	v_lshrrev_b32_e32 v9, 23, v7
	v_and_b32_e32 v10, 0x400000, v7
	v_and_or_b32 v7, v7, s0, v8
	v_cmp_ne_u32_e32 vcc, 0, v10
	v_cmp_ne_u32_e64 s[0:1], 0, v7
	s_and_b64 s[0:1], vcc, s[0:1]
	v_cndmask_b32_e64 v7, 0, 1, s[0:1]
	v_add_u32_e32 v9, v9, v7
; %bb.163:
	s_or_b64 exec, exec, s[6:7]
	s_mov_b64 s[6:7], -1
	s_mov_b64 s[0:1], 0
	global_store_byte v[0:1], v9, off
.LBB55_164:
	s_mov_b64 s[24:25], 0
.LBB55_165:
	s_and_b64 vcc, exec, s[24:25]
	s_cbranch_vccz .LBB55_168
; %bb.166:
	v_mov_b32_e32 v7, 29
	v_cmp_eq_u16_sdwa s[24:25], v2, v7 src0_sel:BYTE_0 src1_sel:DWORD
	s_mov_b64 s[0:1], -1
	s_and_b64 vcc, exec, s[24:25]
	s_cbranch_vccz .LBB55_168
; %bb.167:
	v_cvt_f32_f16_e32 v7, v6
	v_mov_b32_e32 v9, 0
	s_mov_b64 s[6:7], -1
	s_mov_b64 s[0:1], 0
	v_cvt_u32_f32_e32 v8, v7
	s_mov_b64 s[24:25], 0
	global_store_dwordx2 v[0:1], v[8:9], off
	s_branch .LBB55_169
.LBB55_168:
	s_mov_b64 s[24:25], 0
.LBB55_169:
	s_and_b64 vcc, exec, s[24:25]
	s_cbranch_vccz .LBB55_185
; %bb.170:
	v_mov_b32_e32 v7, 27
	v_cmp_lt_i16_sdwa s[24:25], v2, v7 src0_sel:BYTE_0 src1_sel:DWORD
	s_mov_b64 s[6:7], -1
	s_and_b64 vcc, exec, s[24:25]
	s_cbranch_vccnz .LBB55_176
; %bb.171:
	v_cmp_gt_i16_sdwa s[24:25], v2, v7 src0_sel:BYTE_0 src1_sel:DWORD
	s_and_b64 vcc, exec, s[24:25]
	s_cbranch_vccz .LBB55_173
; %bb.172:
	v_cvt_f32_f16_e32 v7, v6
	s_mov_b64 s[6:7], 0
	v_cvt_u32_f32_e32 v7, v7
	global_store_dword v[0:1], v7, off
.LBB55_173:
	s_andn2_b64 vcc, exec, s[6:7]
	s_cbranch_vccnz .LBB55_175
; %bb.174:
	v_cvt_u16_f16_e32 v7, v6
	global_store_short v[0:1], v7, off
.LBB55_175:
	s_mov_b64 s[6:7], 0
.LBB55_176:
	s_andn2_b64 vcc, exec, s[6:7]
	s_cbranch_vccnz .LBB55_184
; %bb.177:
	v_cvt_f32_f16_e32 v7, v6
	s_mov_b32 s6, 0x43800000
	v_mov_b32_e32 v9, 0x80
	v_and_b32_e32 v8, 0x7fffffff, v7
	v_cmp_gt_u32_e32 vcc, s6, v8
	s_and_saveexec_b64 s[6:7], vcc
	s_cbranch_execz .LBB55_183
; %bb.178:
	s_mov_b32 s15, 0x3bffffff
	v_cmp_lt_u32_e32 vcc, s15, v8
	s_mov_b64 s[24:25], 0
                                        ; implicit-def: $vgpr8
	s_and_saveexec_b64 s[28:29], vcc
	s_xor_b64 s[28:29], exec, s[28:29]
	s_cbranch_execz .LBB55_412
; %bb.179:
	v_bfe_u32 v8, v7, 20, 1
	s_mov_b32 s15, 0x487ffff
	v_add3_u32 v8, v7, v8, s15
	s_mov_b64 s[24:25], exec
	v_lshrrev_b32_e32 v8, 20, v8
	s_or_saveexec_b64 s[28:29], s[28:29]
                                        ; implicit-def: $sgpr15
	s_xor_b64 exec, exec, s[28:29]
	s_cbranch_execnz .LBB55_413
.LBB55_180:
	s_or_b64 exec, exec, s[28:29]
	v_mov_b32_e32 v9, s15
	s_and_saveexec_b64 s[28:29], s[24:25]
.LBB55_181:
	v_lshrrev_b32_e32 v7, 24, v7
	s_movk_i32 s15, 0x80
	v_and_or_b32 v9, v7, s15, v8
.LBB55_182:
	s_or_b64 exec, exec, s[28:29]
.LBB55_183:
	s_or_b64 exec, exec, s[6:7]
	global_store_byte v[0:1], v9, off
.LBB55_184:
	s_mov_b64 s[6:7], -1
.LBB55_185:
	s_mov_b64 s[24:25], 0
.LBB55_186:
	s_and_b64 vcc, exec, s[24:25]
	s_cbranch_vccz .LBB55_227
; %bb.187:
	v_mov_b32_e32 v7, 22
	v_cmp_gt_i16_sdwa s[28:29], v2, v7 src0_sel:BYTE_0 src1_sel:DWORD
	s_mov_b64 s[24:25], -1
	s_and_b64 vcc, exec, s[28:29]
	s_cbranch_vccz .LBB55_219
; %bb.188:
	v_mov_b32_e32 v7, 24
	v_cmp_lt_i16_sdwa s[24:25], v2, v7 src0_sel:BYTE_0 src1_sel:DWORD
	s_mov_b64 s[6:7], -1
	s_and_b64 vcc, exec, s[24:25]
	s_cbranch_vccnz .LBB55_208
; %bb.189:
	v_cmp_gt_i16_sdwa s[24:25], v2, v7 src0_sel:BYTE_0 src1_sel:DWORD
	s_and_b64 vcc, exec, s[24:25]
	s_cbranch_vccz .LBB55_197
; %bb.190:
	v_cvt_f32_f16_e32 v7, v6
	s_mov_b32 s6, 0x47800000
	v_mov_b32_e32 v9, 0x80
	v_and_b32_e32 v8, 0x7fffffff, v7
	v_cmp_gt_u32_e32 vcc, s6, v8
	s_and_saveexec_b64 s[6:7], vcc
	s_cbranch_execz .LBB55_196
; %bb.191:
	s_mov_b32 s15, 0x37ffffff
	v_cmp_lt_u32_e32 vcc, s15, v8
	s_mov_b64 s[24:25], 0
                                        ; implicit-def: $vgpr8
	s_and_saveexec_b64 s[28:29], vcc
	s_xor_b64 s[28:29], exec, s[28:29]
	s_cbranch_execz .LBB55_531
; %bb.192:
	v_bfe_u32 v8, v7, 21, 1
	s_mov_b32 s15, 0x88fffff
	v_add3_u32 v8, v7, v8, s15
	s_mov_b64 s[24:25], exec
	v_lshrrev_b32_e32 v8, 21, v8
	s_or_saveexec_b64 s[28:29], s[28:29]
                                        ; implicit-def: $sgpr15
	s_xor_b64 exec, exec, s[28:29]
	s_cbranch_execnz .LBB55_532
.LBB55_193:
	s_or_b64 exec, exec, s[28:29]
	v_mov_b32_e32 v9, s15
	s_and_saveexec_b64 s[28:29], s[24:25]
.LBB55_194:
	v_lshrrev_b32_e32 v7, 24, v7
	s_movk_i32 s15, 0x80
	v_and_or_b32 v9, v7, s15, v8
.LBB55_195:
	s_or_b64 exec, exec, s[28:29]
.LBB55_196:
	s_or_b64 exec, exec, s[6:7]
	s_mov_b64 s[6:7], 0
	global_store_byte v[0:1], v9, off
.LBB55_197:
	s_and_b64 vcc, exec, s[6:7]
	s_cbranch_vccz .LBB55_207
; %bb.198:
	v_cvt_f32_f16_e32 v7, v6
	s_mov_b32 s6, 0x43f00000
                                        ; implicit-def: $vgpr8
	v_and_b32_e32 v9, 0x7fffffff, v7
	v_cmp_gt_u32_e32 vcc, s6, v9
	s_and_saveexec_b64 s[6:7], vcc
	s_xor_b64 s[6:7], exec, s[6:7]
	s_cbranch_execz .LBB55_204
; %bb.199:
	s_mov_b32 s15, 0x3c7fffff
	v_cmp_lt_u32_e32 vcc, s15, v9
                                        ; implicit-def: $vgpr8
	s_and_saveexec_b64 s[24:25], vcc
	s_xor_b64 s[24:25], exec, s[24:25]
; %bb.200:
	v_bfe_u32 v8, v7, 20, 1
	s_mov_b32 s15, 0x407ffff
	v_add3_u32 v8, v7, v8, s15
	v_lshrrev_b32_e32 v9, 20, v8
	v_and_b32_e32 v8, 0xff00000, v8
	s_mov_b32 s15, 0x7f00000
	v_mov_b32_e32 v10, 0x7e
	v_cmp_ne_u32_e32 vcc, s15, v8
	v_cndmask_b32_e32 v8, v10, v9, vcc
; %bb.201:
	s_andn2_saveexec_b64 s[24:25], s[24:25]
; %bb.202:
	s_mov_b32 s15, 0x46800000
	v_add_f32_e64 v8, |v7|, s15
; %bb.203:
	s_or_b64 exec, exec, s[24:25]
                                        ; implicit-def: $vgpr9
.LBB55_204:
	s_andn2_saveexec_b64 s[6:7], s[6:7]
; %bb.205:
	s_mov_b32 s15, 0x7f800000
	v_mov_b32_e32 v8, 0x7e
	v_mov_b32_e32 v10, 0x7f
	v_cmp_lt_u32_e32 vcc, s15, v9
	v_cndmask_b32_e32 v8, v8, v10, vcc
; %bb.206:
	s_or_b64 exec, exec, s[6:7]
	v_lshrrev_b32_e32 v7, 24, v7
	s_movk_i32 s6, 0x80
	v_and_or_b32 v7, v7, s6, v8
	global_store_byte v[0:1], v7, off
.LBB55_207:
	s_mov_b64 s[6:7], 0
.LBB55_208:
	s_andn2_b64 vcc, exec, s[6:7]
	s_cbranch_vccnz .LBB55_218
; %bb.209:
	v_cvt_f32_f16_e32 v7, v6
	s_mov_b32 s6, 0x47800000
                                        ; implicit-def: $vgpr8
	v_and_b32_e32 v9, 0x7fffffff, v7
	v_cmp_gt_u32_e32 vcc, s6, v9
	s_and_saveexec_b64 s[6:7], vcc
	s_xor_b64 s[6:7], exec, s[6:7]
	s_cbranch_execz .LBB55_215
; %bb.210:
	s_mov_b32 s15, 0x387fffff
	v_cmp_lt_u32_e32 vcc, s15, v9
                                        ; implicit-def: $vgpr8
	s_and_saveexec_b64 s[24:25], vcc
	s_xor_b64 s[24:25], exec, s[24:25]
; %bb.211:
	v_bfe_u32 v8, v7, 21, 1
	s_mov_b32 s15, 0x80fffff
	v_add3_u32 v8, v7, v8, s15
	v_lshrrev_b32_e32 v8, 21, v8
; %bb.212:
	s_andn2_saveexec_b64 s[24:25], s[24:25]
; %bb.213:
	s_mov_b32 s15, 0x43000000
	v_add_f32_e64 v8, |v7|, s15
; %bb.214:
	s_or_b64 exec, exec, s[24:25]
                                        ; implicit-def: $vgpr9
.LBB55_215:
	s_andn2_saveexec_b64 s[6:7], s[6:7]
; %bb.216:
	s_mov_b32 s15, 0x7f800000
	v_mov_b32_e32 v8, 0x7c
	v_mov_b32_e32 v10, 0x7f
	v_cmp_lt_u32_e32 vcc, s15, v9
	v_cndmask_b32_e32 v8, v8, v10, vcc
; %bb.217:
	s_or_b64 exec, exec, s[6:7]
	v_lshrrev_b32_e32 v7, 24, v7
	s_movk_i32 s6, 0x80
	v_and_or_b32 v7, v7, s6, v8
	global_store_byte v[0:1], v7, off
.LBB55_218:
	s_mov_b64 s[24:25], 0
	s_mov_b64 s[6:7], -1
.LBB55_219:
	s_andn2_b64 vcc, exec, s[24:25]
	s_cbranch_vccnz .LBB55_227
; %bb.220:
	v_mov_b32_e32 v7, 14
	v_cmp_gt_i16_sdwa s[28:29], v2, v7 src0_sel:BYTE_0 src1_sel:DWORD
	s_mov_b64 s[24:25], -1
	s_and_b64 vcc, exec, s[28:29]
	s_cbranch_vccz .LBB55_224
; %bb.221:
	v_mov_b32_e32 v7, 15
	v_cmp_eq_u16_sdwa s[24:25], v2, v7 src0_sel:BYTE_0 src1_sel:DWORD
	s_mov_b64 s[0:1], -1
	s_and_b64 vcc, exec, s[24:25]
	s_cbranch_vccz .LBB55_223
; %bb.222:
	v_cvt_f32_f16_e32 v7, v6
	s_movk_i32 s0, 0x7fff
	v_mov_b32_e32 v8, 0x7fc0
	v_cmp_o_f16_e32 vcc, v6, v6
	v_bfe_u32 v9, v7, 16, 1
	v_add3_u32 v7, v7, v9, s0
	v_lshrrev_b32_e32 v7, 16, v7
	v_cndmask_b32_e32 v7, v8, v7, vcc
	global_store_short v[0:1], v7, off
	s_mov_b64 s[6:7], -1
	s_mov_b64 s[0:1], 0
.LBB55_223:
	s_mov_b64 s[24:25], 0
.LBB55_224:
	s_and_b64 vcc, exec, s[24:25]
	s_cbranch_vccz .LBB55_227
; %bb.225:
	v_mov_b32_e32 v7, 11
	v_cmp_eq_u16_sdwa s[24:25], v2, v7 src0_sel:BYTE_0 src1_sel:DWORD
	s_mov_b64 s[0:1], -1
	s_and_b64 vcc, exec, s[24:25]
	s_cbranch_vccz .LBB55_227
; %bb.226:
	v_and_b32_e32 v7, 0x7fff, v6
	v_cmp_ne_u16_e32 vcc, 0, v7
	v_cndmask_b32_e64 v7, 0, 1, vcc
	s_mov_b64 s[6:7], -1
	s_mov_b64 s[0:1], 0
	global_store_byte v[0:1], v7, off
.LBB55_227:
	s_mov_b64 s[24:25], 0
.LBB55_228:
	s_and_b64 vcc, exec, s[24:25]
	s_cbranch_vccz .LBB55_267
; %bb.229:
	v_mov_b32_e32 v7, 5
	v_cmp_lt_i16_sdwa s[24:25], v2, v7 src0_sel:BYTE_0 src1_sel:DWORD
	s_mov_b64 s[6:7], -1
	s_and_b64 vcc, exec, s[24:25]
	s_cbranch_vccnz .LBB55_250
; %bb.230:
	v_mov_b32_e32 v7, 8
	v_cmp_lt_i16_sdwa s[24:25], v2, v7 src0_sel:BYTE_0 src1_sel:DWORD
	s_and_b64 vcc, exec, s[24:25]
	s_cbranch_vccnz .LBB55_240
; %bb.231:
	v_mov_b32_e32 v7, 9
	v_cmp_lt_i16_sdwa s[24:25], v2, v7 src0_sel:BYTE_0 src1_sel:DWORD
	s_and_b64 vcc, exec, s[24:25]
	s_cbranch_vccnz .LBB55_237
; %bb.232:
	v_cmp_gt_i16_sdwa s[24:25], v2, v7 src0_sel:BYTE_0 src1_sel:DWORD
	s_and_b64 vcc, exec, s[24:25]
	s_cbranch_vccz .LBB55_234
; %bb.233:
	v_cvt_f32_f16_e32 v7, v6
	v_mov_b32_e32 v10, 0
	v_mov_b32_e32 v11, v10
	s_mov_b64 s[6:7], 0
	v_cvt_f64_f32_e32 v[8:9], v7
	global_store_dwordx4 v[0:1], v[8:11], off
.LBB55_234:
	s_andn2_b64 vcc, exec, s[6:7]
	s_cbranch_vccnz .LBB55_236
; %bb.235:
	v_cvt_f32_f16_e32 v8, v6
	v_mov_b32_e32 v9, 0
	global_store_dwordx2 v[0:1], v[8:9], off
.LBB55_236:
	s_mov_b64 s[6:7], 0
.LBB55_237:
	s_andn2_b64 vcc, exec, s[6:7]
	s_cbranch_vccnz .LBB55_239
; %bb.238:
	v_and_b32_e32 v7, 0xffff, v6
	global_store_dword v[0:1], v7, off
.LBB55_239:
	s_mov_b64 s[6:7], 0
.LBB55_240:
	s_andn2_b64 vcc, exec, s[6:7]
	s_cbranch_vccnz .LBB55_249
; %bb.241:
	v_mov_b32_e32 v7, 6
	v_cmp_lt_i16_sdwa s[24:25], v2, v7 src0_sel:BYTE_0 src1_sel:DWORD
	s_mov_b64 s[6:7], -1
	s_and_b64 vcc, exec, s[24:25]
	s_cbranch_vccnz .LBB55_247
; %bb.242:
	v_cmp_gt_i16_sdwa s[24:25], v2, v7 src0_sel:BYTE_0 src1_sel:DWORD
	s_and_b64 vcc, exec, s[24:25]
	s_cbranch_vccz .LBB55_244
; %bb.243:
	v_cvt_f32_f16_e32 v7, v6
	s_mov_b64 s[6:7], 0
	v_cvt_f64_f32_e32 v[8:9], v7
	global_store_dwordx2 v[0:1], v[8:9], off
.LBB55_244:
	s_andn2_b64 vcc, exec, s[6:7]
	s_cbranch_vccnz .LBB55_246
; %bb.245:
	v_cvt_f32_f16_e32 v7, v6
	global_store_dword v[0:1], v7, off
.LBB55_246:
	s_mov_b64 s[6:7], 0
.LBB55_247:
	s_andn2_b64 vcc, exec, s[6:7]
	s_cbranch_vccnz .LBB55_249
; %bb.248:
	global_store_short v[0:1], v6, off
.LBB55_249:
	s_mov_b64 s[6:7], 0
.LBB55_250:
	s_andn2_b64 vcc, exec, s[6:7]
	s_cbranch_vccnz .LBB55_266
; %bb.251:
	v_mov_b32_e32 v7, 2
	v_cmp_lt_i16_sdwa s[24:25], v2, v7 src0_sel:BYTE_0 src1_sel:DWORD
	s_mov_b64 s[6:7], -1
	s_and_b64 vcc, exec, s[24:25]
	s_cbranch_vccnz .LBB55_261
; %bb.252:
	v_mov_b32_e32 v7, 3
	v_cmp_lt_i16_sdwa s[24:25], v2, v7 src0_sel:BYTE_0 src1_sel:DWORD
	s_and_b64 vcc, exec, s[24:25]
	s_cbranch_vccnz .LBB55_258
; %bb.253:
	v_cmp_gt_i16_sdwa s[24:25], v2, v7 src0_sel:BYTE_0 src1_sel:DWORD
	s_and_b64 vcc, exec, s[24:25]
	s_cbranch_vccz .LBB55_255
; %bb.254:
	v_cvt_f32_f16_e32 v7, v6
	s_mov_b64 s[6:7], 0
	v_cvt_i32_f32_e32 v8, v7
	v_ashrrev_i32_e32 v9, 31, v8
	global_store_dwordx2 v[0:1], v[8:9], off
.LBB55_255:
	s_andn2_b64 vcc, exec, s[6:7]
	s_cbranch_vccnz .LBB55_257
; %bb.256:
	v_cvt_f32_f16_e32 v7, v6
	v_cvt_i32_f32_e32 v7, v7
	global_store_dword v[0:1], v7, off
.LBB55_257:
	s_mov_b64 s[6:7], 0
.LBB55_258:
	s_andn2_b64 vcc, exec, s[6:7]
	s_cbranch_vccnz .LBB55_260
; %bb.259:
	v_cvt_i16_f16_e32 v7, v6
	global_store_short v[0:1], v7, off
.LBB55_260:
	s_mov_b64 s[6:7], 0
.LBB55_261:
	s_andn2_b64 vcc, exec, s[6:7]
	s_cbranch_vccnz .LBB55_266
; %bb.262:
	v_mov_b32_e32 v7, 0
	v_cmp_gt_i16_sdwa s[24:25], v2, v7 src0_sel:BYTE_0 src1_sel:DWORD
	s_mov_b64 s[6:7], -1
	s_and_b64 vcc, exec, s[24:25]
	s_cbranch_vccz .LBB55_264
; %bb.263:
	v_cvt_i16_f16_e32 v7, v6
	global_store_byte v[0:1], v7, off
	s_mov_b64 s[6:7], 0
.LBB55_264:
	s_andn2_b64 vcc, exec, s[6:7]
	s_cbranch_vccnz .LBB55_266
; %bb.265:
	v_cvt_f32_f16_e32 v6, v6
	v_cvt_i32_f32_e32 v6, v6
	global_store_byte v[0:1], v6, off
.LBB55_266:
	s_mov_b64 s[6:7], -1
.LBB55_267:
	s_andn2_b64 vcc, exec, s[6:7]
	s_cbranch_vccnz .LBB55_269
; %bb.268:
	v_add_u32_e32 v3, 0x80, v3
	s_mov_b64 s[24:25], -1
	s_branch .LBB55_382
.LBB55_269:
	s_mov_b64 s[24:25], 0
                                        ; implicit-def: $vgpr3
	s_branch .LBB55_382
.LBB55_270:
	s_mov_b64 s[18:19], -1
                                        ; implicit-def: $vgpr7
.LBB55_271:
	s_mov_b64 s[6:7], 0
.LBB55_272:
	s_and_b64 vcc, exec, s[6:7]
	s_cbranch_vccz .LBB55_276
; %bb.273:
	v_mov_b32_e32 v7, 29
	v_cmp_eq_u16_sdwa s[6:7], v4, v7 src0_sel:BYTE_0 src1_sel:DWORD
	s_and_b64 vcc, exec, s[6:7]
	s_cbranch_vccz .LBB55_275
; %bb.274:
	global_load_dwordx2 v[8:9], v[0:1], off
	s_mov_b64 s[0:1], -1
	s_mov_b64 s[18:19], 0
	s_mov_b64 s[6:7], 0
	s_waitcnt vmcnt(0)
	v_ffbh_u32_e32 v7, v9
	v_min_u32_e32 v7, 32, v7
	v_lshlrev_b64 v[8:9], v7, v[8:9]
	v_min_u32_e32 v8, 1, v8
	v_or_b32_e32 v8, v9, v8
	v_cvt_f32_u32_e32 v8, v8
	v_sub_u32_e32 v7, 32, v7
	v_ldexp_f32 v7, v8, v7
	v_cvt_f16_f32_e32 v7, v7
	s_branch .LBB55_277
.LBB55_275:
	s_mov_b64 s[18:19], -1
                                        ; implicit-def: $vgpr7
.LBB55_276:
	s_mov_b64 s[6:7], 0
.LBB55_277:
	s_and_b64 vcc, exec, s[6:7]
	s_cbranch_vccz .LBB55_295
; %bb.278:
	v_mov_b32_e32 v7, 27
	v_cmp_lt_i16_sdwa s[0:1], v4, v7 src0_sel:BYTE_0 src1_sel:DWORD
	s_and_b64 vcc, exec, s[0:1]
	s_cbranch_vccnz .LBB55_281
; %bb.279:
	v_cmp_gt_i16_sdwa s[0:1], v4, v7 src0_sel:BYTE_0 src1_sel:DWORD
	s_and_b64 vcc, exec, s[0:1]
	s_cbranch_vccz .LBB55_282
; %bb.280:
	global_load_dword v7, v[0:1], off
	s_mov_b64 s[0:1], 0
	s_waitcnt vmcnt(0)
	v_cvt_f32_u32_e32 v7, v7
	v_cvt_f16_f32_e32 v7, v7
	s_branch .LBB55_283
.LBB55_281:
	s_mov_b64 s[0:1], -1
                                        ; implicit-def: $vgpr7
	s_branch .LBB55_286
.LBB55_282:
	s_mov_b64 s[0:1], -1
                                        ; implicit-def: $vgpr7
.LBB55_283:
	s_andn2_b64 vcc, exec, s[0:1]
	s_cbranch_vccnz .LBB55_285
; %bb.284:
	global_load_ushort v7, v[0:1], off
	s_waitcnt vmcnt(0)
	v_cvt_f16_u16_e32 v7, v7
.LBB55_285:
	s_mov_b64 s[0:1], 0
.LBB55_286:
	s_andn2_b64 vcc, exec, s[0:1]
	s_cbranch_vccnz .LBB55_294
; %bb.287:
	global_load_ubyte v8, v[0:1], off
	s_movk_i32 s0, 0x7f
                                        ; implicit-def: $sgpr15
	s_waitcnt vmcnt(0)
	v_cmp_lt_i16_e32 vcc, s0, v8
	s_mov_b64 s[0:1], 0
	s_and_saveexec_b64 s[6:7], vcc
	s_xor_b64 s[6:7], exec, s[6:7]
	s_cbranch_execz .LBB55_308
; %bb.288:
	s_movk_i32 s0, 0x80
	v_cmp_eq_u16_e32 vcc, s0, v8
	s_mov_b64 s[0:1], -1
                                        ; implicit-def: $sgpr15
	s_and_saveexec_b64 s[24:25], vcc
; %bb.289:
	s_movk_i32 s15, 0x7e00
	s_xor_b64 s[0:1], exec, -1
; %bb.290:
	s_or_b64 exec, exec, s[24:25]
	s_and_b64 s[0:1], s[0:1], exec
	s_or_saveexec_b64 s[6:7], s[6:7]
	v_mov_b32_e32 v7, s15
	s_xor_b64 exec, exec, s[6:7]
	s_cbranch_execnz .LBB55_309
.LBB55_291:
	s_or_b64 exec, exec, s[6:7]
	s_and_saveexec_b64 s[6:7], s[0:1]
	s_cbranch_execz .LBB55_293
.LBB55_292:
	v_lshlrev_b32_e32 v7, 24, v8
	v_and_b32_e32 v8, 0xffff, v8
	v_and_b32_e32 v9, 7, v8
	v_ffbh_u32_e32 v11, v9
	v_min_u32_e32 v11, 32, v11
	v_subrev_u32_e32 v12, 28, v11
	v_bfe_u32 v10, v8, 3, 4
	v_lshlrev_b32_e32 v8, v12, v8
	v_sub_u32_e32 v11, 29, v11
	v_and_b32_e32 v8, 7, v8
	v_cmp_eq_u32_e32 vcc, 0, v10
	v_cndmask_b32_e32 v10, v10, v11, vcc
	v_cndmask_b32_e32 v8, v9, v8, vcc
	v_mov_b32_e32 v9, 0x3b800000
	v_lshlrev_b32_e32 v8, 20, v8
	v_and_b32_e32 v7, 0x80000000, v7
	v_lshl_add_u32 v9, v10, 23, v9
	v_or3_b32 v7, v7, v9, v8
	v_cvt_f16_f32_e32 v7, v7
.LBB55_293:
	s_or_b64 exec, exec, s[6:7]
.LBB55_294:
	s_mov_b64 s[0:1], -1
.LBB55_295:
	s_mov_b64 s[6:7], 0
.LBB55_296:
	s_and_b64 vcc, exec, s[6:7]
	s_cbranch_vccz .LBB55_331
; %bb.297:
	v_mov_b32_e32 v7, 22
	v_cmp_gt_i16_sdwa s[6:7], v4, v7 src0_sel:BYTE_0 src1_sel:DWORD
	s_and_b64 vcc, exec, s[6:7]
	s_cbranch_vccz .LBB55_307
; %bb.298:
	v_mov_b32_e32 v7, 24
	v_cmp_lt_i16_sdwa s[0:1], v4, v7 src0_sel:BYTE_0 src1_sel:DWORD
	s_and_b64 vcc, exec, s[0:1]
	s_cbranch_vccnz .LBB55_310
; %bb.299:
	v_cmp_gt_i16_sdwa s[0:1], v4, v7 src0_sel:BYTE_0 src1_sel:DWORD
	s_and_b64 vcc, exec, s[0:1]
	s_cbranch_vccz .LBB55_311
; %bb.300:
	global_load_ubyte v8, v[0:1], off
	s_movk_i32 s0, 0x7f
                                        ; implicit-def: $sgpr15
	s_waitcnt vmcnt(0)
	v_cmp_lt_i16_e32 vcc, s0, v8
	s_mov_b64 s[0:1], 0
	s_and_saveexec_b64 s[6:7], vcc
	s_xor_b64 s[6:7], exec, s[6:7]
	s_cbranch_execz .LBB55_323
; %bb.301:
	s_movk_i32 s0, 0x80
	v_cmp_eq_u16_e32 vcc, s0, v8
	s_mov_b64 s[0:1], -1
                                        ; implicit-def: $sgpr15
	s_and_saveexec_b64 s[24:25], vcc
; %bb.302:
	s_movk_i32 s15, 0x7e00
	s_xor_b64 s[0:1], exec, -1
; %bb.303:
	s_or_b64 exec, exec, s[24:25]
	s_and_b64 s[0:1], s[0:1], exec
	s_or_saveexec_b64 s[6:7], s[6:7]
	v_mov_b32_e32 v7, s15
	s_xor_b64 exec, exec, s[6:7]
	s_cbranch_execnz .LBB55_324
.LBB55_304:
	s_or_b64 exec, exec, s[6:7]
	s_and_saveexec_b64 s[6:7], s[0:1]
	s_cbranch_execz .LBB55_306
.LBB55_305:
	v_lshlrev_b32_e32 v7, 24, v8
	v_and_b32_e32 v8, 0xffff, v8
	v_and_b32_e32 v9, 3, v8
	v_ffbh_u32_e32 v11, v9
	v_min_u32_e32 v11, 32, v11
	v_subrev_u32_e32 v12, 29, v11
	v_bfe_u32 v10, v8, 2, 5
	v_lshlrev_b32_e32 v8, v12, v8
	v_sub_u32_e32 v11, 30, v11
	v_and_b32_e32 v8, 3, v8
	v_cmp_eq_u32_e32 vcc, 0, v10
	v_cndmask_b32_e32 v10, v10, v11, vcc
	v_cndmask_b32_e32 v8, v9, v8, vcc
	v_mov_b32_e32 v9, 0x37800000
	v_lshlrev_b32_e32 v8, 21, v8
	v_and_b32_e32 v7, 0x80000000, v7
	v_lshl_add_u32 v9, v10, 23, v9
	v_or3_b32 v7, v7, v9, v8
	v_cvt_f16_f32_e32 v7, v7
.LBB55_306:
	s_or_b64 exec, exec, s[6:7]
	s_mov_b64 s[0:1], 0
	s_branch .LBB55_312
.LBB55_307:
	s_mov_b64 s[6:7], -1
                                        ; implicit-def: $vgpr7
	s_branch .LBB55_318
.LBB55_308:
	s_or_saveexec_b64 s[6:7], s[6:7]
	v_mov_b32_e32 v7, s15
	s_xor_b64 exec, exec, s[6:7]
	s_cbranch_execz .LBB55_291
.LBB55_309:
	v_cmp_ne_u16_e32 vcc, 0, v8
	s_andn2_b64 s[0:1], s[0:1], exec
	s_and_b64 s[24:25], vcc, exec
	s_or_b64 s[0:1], s[0:1], s[24:25]
	v_mov_b32_e32 v7, v8
	s_or_b64 exec, exec, s[6:7]
	s_and_saveexec_b64 s[6:7], s[0:1]
	s_cbranch_execnz .LBB55_292
	s_branch .LBB55_293
.LBB55_310:
	s_mov_b64 s[0:1], -1
                                        ; implicit-def: $vgpr7
	s_branch .LBB55_315
.LBB55_311:
	s_mov_b64 s[0:1], -1
                                        ; implicit-def: $vgpr7
.LBB55_312:
	s_and_b64 vcc, exec, s[0:1]
	s_cbranch_vccz .LBB55_314
; %bb.313:
	global_load_ubyte v7, v[0:1], off
	s_mov_b32 s0, 0x7f800000
	s_waitcnt vmcnt(0)
	v_lshlrev_b32_e32 v7, 24, v7
	v_and_b32_e32 v8, 0x7f000000, v7
	v_ffbh_u32_e32 v9, v8
	v_min_u32_e32 v9, 32, v9
	v_sub_u32_e64 v9, v9, 4 clamp
	v_lshlrev_b32_e32 v11, v9, v8
	v_lshlrev_b32_e32 v9, 23, v9
	v_lshrrev_b32_e32 v11, 4, v11
	v_add_u32_e32 v10, 0x1000000, v8
	v_sub_u32_e32 v9, v11, v9
	v_ashrrev_i32_e32 v10, 8, v10
	v_add_u32_e32 v9, 0x3c000000, v9
	v_and_or_b32 v9, v10, s0, v9
	v_cmp_ne_u32_e32 vcc, 0, v8
	v_cndmask_b32_e32 v8, 0, v9, vcc
	s_brev_b32 s0, 1
	v_and_or_b32 v7, v7, s0, v8
	v_cvt_f16_f32_e32 v7, v7
.LBB55_314:
	s_mov_b64 s[0:1], 0
.LBB55_315:
	s_andn2_b64 vcc, exec, s[0:1]
	s_cbranch_vccnz .LBB55_317
; %bb.316:
	global_load_ubyte v7, v[0:1], off
	s_movk_i32 s0, 0x7f00
	s_brev_b32 s1, 16
	s_waitcnt vmcnt(0)
	v_lshlrev_b16_e32 v8, 8, v7
	v_lshlrev_b32_e32 v7, 25, v7
	v_lshrrev_b32_e32 v9, 4, v7
	v_and_or_b32 v10, v8, s0, 0.5
	v_or_b32_e32 v9, 0x70000000, v9
	v_add_f32_e32 v10, -0.5, v10
	v_mul_f32_e32 v9, 0x7800000, v9
	v_cmp_gt_u32_e32 vcc, s1, v7
	v_bfe_i32 v8, v8, 0, 16
	v_cndmask_b32_e32 v7, v9, v10, vcc
	s_brev_b32 s0, 1
	v_and_or_b32 v7, v8, s0, v7
	v_cvt_f16_f32_e32 v7, v7
.LBB55_317:
	s_mov_b64 s[6:7], 0
	s_mov_b64 s[0:1], -1
.LBB55_318:
	s_andn2_b64 vcc, exec, s[6:7]
	s_cbranch_vccnz .LBB55_331
; %bb.319:
	v_mov_b32_e32 v7, 14
	v_cmp_gt_i16_sdwa s[6:7], v4, v7 src0_sel:BYTE_0 src1_sel:DWORD
	s_and_b64 vcc, exec, s[6:7]
	s_cbranch_vccz .LBB55_322
; %bb.320:
	v_mov_b32_e32 v7, 15
	v_cmp_eq_u16_sdwa s[6:7], v4, v7 src0_sel:BYTE_0 src1_sel:DWORD
	s_and_b64 vcc, exec, s[6:7]
	s_cbranch_vccz .LBB55_325
; %bb.321:
	global_load_ushort v7, v[0:1], off
	s_mov_b64 s[0:1], -1
	s_mov_b64 s[18:19], 0
	s_waitcnt vmcnt(0)
	v_lshlrev_b32_e32 v7, 16, v7
	v_cvt_f16_f32_e32 v7, v7
	s_branch .LBB55_326
.LBB55_322:
	s_mov_b64 s[6:7], -1
                                        ; implicit-def: $vgpr7
	s_branch .LBB55_327
.LBB55_323:
	s_or_saveexec_b64 s[6:7], s[6:7]
	v_mov_b32_e32 v7, s15
	s_xor_b64 exec, exec, s[6:7]
	s_cbranch_execz .LBB55_304
.LBB55_324:
	v_cmp_ne_u16_e32 vcc, 0, v8
	s_andn2_b64 s[0:1], s[0:1], exec
	s_and_b64 s[24:25], vcc, exec
	s_or_b64 s[0:1], s[0:1], s[24:25]
	v_mov_b32_e32 v7, v8
	s_or_b64 exec, exec, s[6:7]
	s_and_saveexec_b64 s[6:7], s[0:1]
	s_cbranch_execnz .LBB55_305
	s_branch .LBB55_306
.LBB55_325:
	s_mov_b64 s[18:19], -1
                                        ; implicit-def: $vgpr7
.LBB55_326:
	s_mov_b64 s[6:7], 0
.LBB55_327:
	s_and_b64 vcc, exec, s[6:7]
	s_cbranch_vccz .LBB55_331
; %bb.328:
	v_mov_b32_e32 v7, 11
	v_cmp_eq_u16_sdwa s[6:7], v4, v7 src0_sel:BYTE_0 src1_sel:DWORD
	s_and_b64 vcc, exec, s[6:7]
	s_cbranch_vccz .LBB55_330
; %bb.329:
	global_load_ubyte v7, v[0:1], off
	v_mov_b32_e32 v8, 0x3c00
	s_mov_b64 s[0:1], -1
	s_mov_b64 s[18:19], 0
	s_waitcnt vmcnt(0)
	v_cmp_ne_u16_e32 vcc, 0, v7
	v_cndmask_b32_e32 v7, 0, v8, vcc
	s_branch .LBB55_331
.LBB55_330:
	s_mov_b64 s[18:19], -1
                                        ; implicit-def: $vgpr7
.LBB55_331:
	s_branch .LBB55_20
.LBB55_332:
	v_mov_b32_e32 v7, 5
	v_cmp_lt_i16_sdwa s[0:1], v4, v7 src0_sel:BYTE_0 src1_sel:DWORD
	s_and_b64 vcc, exec, s[0:1]
	s_cbranch_vccnz .LBB55_337
; %bb.333:
	v_mov_b32_e32 v7, 8
	v_cmp_lt_i16_sdwa s[0:1], v4, v7 src0_sel:BYTE_0 src1_sel:DWORD
	s_and_b64 vcc, exec, s[0:1]
	s_cbranch_vccnz .LBB55_338
; %bb.334:
	;; [unrolled: 5-line block ×3, first 2 shown]
	v_cmp_gt_i16_sdwa s[0:1], v4, v7 src0_sel:BYTE_0 src1_sel:DWORD
	s_and_b64 vcc, exec, s[0:1]
	s_cbranch_vccz .LBB55_340
; %bb.336:
	global_load_dwordx2 v[8:9], v[0:1], off
	s_mov_b64 s[0:1], 0
	s_waitcnt vmcnt(0)
	v_cvt_f32_f64_e32 v7, v[8:9]
	v_cvt_f16_f32_e32 v7, v7
	s_branch .LBB55_341
.LBB55_337:
	s_mov_b64 s[0:1], -1
                                        ; implicit-def: $vgpr7
	s_branch .LBB55_359
.LBB55_338:
	s_mov_b64 s[0:1], -1
                                        ; implicit-def: $vgpr7
	s_branch .LBB55_347
.LBB55_339:
	s_mov_b64 s[0:1], -1
                                        ; implicit-def: $vgpr7
	s_branch .LBB55_344
.LBB55_340:
	s_mov_b64 s[0:1], -1
                                        ; implicit-def: $vgpr7
.LBB55_341:
	s_andn2_b64 vcc, exec, s[0:1]
	s_cbranch_vccnz .LBB55_343
; %bb.342:
	global_load_dword v7, v[0:1], off
	s_waitcnt vmcnt(0)
	v_cvt_f16_f32_e32 v7, v7
.LBB55_343:
	s_mov_b64 s[0:1], 0
.LBB55_344:
	s_andn2_b64 vcc, exec, s[0:1]
	s_cbranch_vccnz .LBB55_346
; %bb.345:
	global_load_dword v7, v[0:1], off
.LBB55_346:
	s_mov_b64 s[0:1], 0
.LBB55_347:
	s_andn2_b64 vcc, exec, s[0:1]
	s_cbranch_vccnz .LBB55_358
; %bb.348:
	s_waitcnt vmcnt(0)
	v_mov_b32_e32 v7, 6
	v_cmp_lt_i16_sdwa s[0:1], v4, v7 src0_sel:BYTE_0 src1_sel:DWORD
	s_and_b64 vcc, exec, s[0:1]
	s_cbranch_vccnz .LBB55_351
; %bb.349:
	v_cmp_gt_i16_sdwa s[0:1], v4, v7 src0_sel:BYTE_0 src1_sel:DWORD
	s_and_b64 vcc, exec, s[0:1]
	s_cbranch_vccz .LBB55_352
; %bb.350:
	global_load_dwordx2 v[8:9], v[0:1], off
	s_mov_b64 s[0:1], 0
	s_waitcnt vmcnt(0)
	v_cvt_f32_f64_e32 v7, v[8:9]
	v_cvt_f16_f32_e32 v7, v7
	s_branch .LBB55_353
.LBB55_351:
	s_mov_b64 s[0:1], -1
                                        ; implicit-def: $vgpr7
	s_branch .LBB55_356
.LBB55_352:
	s_mov_b64 s[0:1], -1
                                        ; implicit-def: $vgpr7
.LBB55_353:
	s_andn2_b64 vcc, exec, s[0:1]
	s_cbranch_vccnz .LBB55_355
; %bb.354:
	global_load_dword v7, v[0:1], off
	s_waitcnt vmcnt(0)
	v_cvt_f16_f32_e32 v7, v7
.LBB55_355:
	s_mov_b64 s[0:1], 0
.LBB55_356:
	s_andn2_b64 vcc, exec, s[0:1]
	s_cbranch_vccnz .LBB55_358
; %bb.357:
	global_load_ushort v7, v[0:1], off
.LBB55_358:
	s_mov_b64 s[0:1], 0
.LBB55_359:
	s_andn2_b64 vcc, exec, s[0:1]
	s_cbranch_vccnz .LBB55_379
; %bb.360:
	s_waitcnt vmcnt(0)
	v_mov_b32_e32 v7, 2
	v_cmp_lt_i16_sdwa s[0:1], v4, v7 src0_sel:BYTE_0 src1_sel:DWORD
	s_and_b64 vcc, exec, s[0:1]
	s_cbranch_vccnz .LBB55_364
; %bb.361:
	v_mov_b32_e32 v7, 3
	v_cmp_lt_i16_sdwa s[0:1], v4, v7 src0_sel:BYTE_0 src1_sel:DWORD
	s_and_b64 vcc, exec, s[0:1]
	s_cbranch_vccnz .LBB55_365
; %bb.362:
	v_cmp_gt_i16_sdwa s[0:1], v4, v7 src0_sel:BYTE_0 src1_sel:DWORD
	s_and_b64 vcc, exec, s[0:1]
	s_cbranch_vccz .LBB55_366
; %bb.363:
	global_load_dwordx2 v[8:9], v[0:1], off
	s_mov_b64 s[0:1], 0
	s_waitcnt vmcnt(0)
	v_xor_b32_e32 v10, v8, v9
	v_ffbh_i32_e32 v7, v9
	v_ashrrev_i32_e32 v10, 31, v10
	v_add_u32_e32 v7, -1, v7
	v_add_u32_e32 v10, 32, v10
	v_min_u32_e32 v7, v7, v10
	v_lshlrev_b64 v[8:9], v7, v[8:9]
	v_min_u32_e32 v8, 1, v8
	v_or_b32_e32 v8, v9, v8
	v_cvt_f32_i32_e32 v8, v8
	v_sub_u32_e32 v7, 32, v7
	v_ldexp_f32 v7, v8, v7
	v_cvt_f16_f32_e32 v7, v7
	s_branch .LBB55_367
.LBB55_364:
	s_mov_b64 s[0:1], -1
                                        ; implicit-def: $vgpr7
	s_branch .LBB55_373
.LBB55_365:
	s_mov_b64 s[0:1], -1
                                        ; implicit-def: $vgpr7
	s_branch .LBB55_370
.LBB55_366:
	s_mov_b64 s[0:1], -1
                                        ; implicit-def: $vgpr7
.LBB55_367:
	s_andn2_b64 vcc, exec, s[0:1]
	s_cbranch_vccnz .LBB55_369
; %bb.368:
	global_load_dword v7, v[0:1], off
	s_waitcnt vmcnt(0)
	v_cvt_f32_i32_e32 v7, v7
	v_cvt_f16_f32_e32 v7, v7
.LBB55_369:
	s_mov_b64 s[0:1], 0
.LBB55_370:
	s_andn2_b64 vcc, exec, s[0:1]
	s_cbranch_vccnz .LBB55_372
; %bb.371:
	global_load_ushort v7, v[0:1], off
	s_waitcnt vmcnt(0)
	v_cvt_f16_i16_e32 v7, v7
.LBB55_372:
	s_mov_b64 s[0:1], 0
.LBB55_373:
	s_andn2_b64 vcc, exec, s[0:1]
	s_cbranch_vccnz .LBB55_379
; %bb.374:
	v_mov_b32_e32 v7, 0
	v_cmp_gt_i16_sdwa s[0:1], v4, v7 src0_sel:BYTE_0 src1_sel:DWORD
	s_and_b64 vcc, exec, s[0:1]
	s_cbranch_vccz .LBB55_376
; %bb.375:
	global_load_sbyte v7, v[0:1], off
	s_mov_b64 s[0:1], 0
	s_waitcnt vmcnt(0)
	v_cvt_f16_i16_e32 v7, v7
	s_branch .LBB55_377
.LBB55_376:
	s_mov_b64 s[0:1], -1
                                        ; implicit-def: $vgpr7
.LBB55_377:
	s_andn2_b64 vcc, exec, s[0:1]
	s_cbranch_vccnz .LBB55_379
; %bb.378:
	global_load_ubyte v0, v[0:1], off
	s_waitcnt vmcnt(0)
	v_cvt_f16_u16_e32 v7, v0
.LBB55_379:
	s_branch .LBB55_21
.LBB55_380:
	s_mov_b64 s[0:1], 0
.LBB55_381:
                                        ; implicit-def: $vgpr3
	s_mov_b64 s[24:25], 0
.LBB55_382:
	s_and_b64 s[6:7], s[0:1], exec
	s_and_b64 s[18:19], s[18:19], exec
	;; [unrolled: 1-line block ×3, first 2 shown]
	s_orn2_b64 s[0:1], s[24:25], exec
.LBB55_383:
	s_or_b64 exec, exec, s[22:23]
	s_mov_b64 s[30:31], 0
	s_mov_b64 s[28:29], 0
                                        ; implicit-def: $vgpr7
                                        ; implicit-def: $vgpr0_vgpr1
                                        ; implicit-def: $vgpr6
	s_and_saveexec_b64 s[22:23], s[0:1]
	s_cbranch_execz .LBB55_392
; %bb.384:
	v_cmp_gt_i32_e32 vcc, s33, v3
	s_mov_b64 s[0:1], -1
	s_mov_b64 s[24:25], s[20:21]
	s_mov_b64 s[26:27], s[18:19]
	;; [unrolled: 1-line block ×3, first 2 shown]
	s_and_saveexec_b64 s[30:31], vcc
	s_cbranch_execz .LBB55_773
; %bb.385:
	v_mul_lo_u32 v0, v3, s13
	v_ashrrev_i32_e32 v1, 31, v0
	s_waitcnt vmcnt(0)
	v_mov_b32_e32 v6, s11
	v_add_co_u32_e32 v0, vcc, s10, v0
	v_addc_co_u32_e32 v1, vcc, v6, v1, vcc
	v_mov_b32_e32 v6, 11
	v_cmp_lt_i16_sdwa s[0:1], v5, v6 src0_sel:BYTE_0 src1_sel:DWORD
	s_and_b64 vcc, exec, s[0:1]
	s_cbranch_vccnz .LBB55_395
; %bb.386:
	v_mov_b32_e32 v6, 25
	v_cmp_gt_i16_sdwa s[0:1], v5, v6 src0_sel:BYTE_0 src1_sel:DWORD
	s_and_b64 vcc, exec, s[0:1]
	s_cbranch_vccz .LBB55_404
; %bb.387:
	v_mov_b32_e32 v6, 28
	v_cmp_gt_i16_sdwa s[0:1], v5, v6 src0_sel:BYTE_0 src1_sel:DWORD
	s_and_b64 vcc, exec, s[0:1]
	s_cbranch_vccz .LBB55_406
	;; [unrolled: 5-line block ×4, first 2 shown]
; %bb.390:
	v_mov_b32_e32 v6, 46
	v_cmp_eq_u16_sdwa s[0:1], v5, v6 src0_sel:BYTE_0 src1_sel:DWORD
	s_mov_b64 s[26:27], 0
	s_and_b64 vcc, exec, s[0:1]
	s_cbranch_vccz .LBB55_414
; %bb.391:
	global_load_dword v6, v[0:1], off
	s_mov_b64 s[0:1], -1
	s_mov_b64 s[24:25], 0
	s_waitcnt vmcnt(0)
	v_lshlrev_b32_e32 v6, 16, v6
	v_cvt_f16_f32_e32 v6, v6
	s_branch .LBB55_415
.LBB55_392:
	s_or_b64 exec, exec, s[22:23]
	s_mov_b64 s[22:23], 0
	s_and_saveexec_b64 s[0:1], s[20:21]
	s_cbranch_execnz .LBB55_1248
.LBB55_393:
	s_or_b64 exec, exec, s[0:1]
	s_and_saveexec_b64 s[0:1], s[26:27]
	s_xor_b64 s[0:1], exec, s[0:1]
	s_cbranch_execz .LBB55_1249
.LBB55_394:
	global_load_ubyte v5, v[0:1], off
	s_waitcnt vmcnt(1)
	v_mov_b32_e32 v6, 0x3c00
	s_or_b64 s[28:29], s[28:29], exec
	s_waitcnt vmcnt(0)
	v_cmp_ne_u16_e32 vcc, 0, v5
	v_cndmask_b32_e32 v6, 0, v6, vcc
	s_or_b64 exec, exec, s[0:1]
	s_and_saveexec_b64 s[0:1], s[30:31]
	s_cbranch_execz .LBB55_1295
	s_branch .LBB55_1250
.LBB55_395:
	s_mov_b64 s[0:1], 0
                                        ; implicit-def: $vgpr6
	s_mov_b64 s[24:25], s[20:21]
	s_cbranch_execnz .LBB55_481
.LBB55_396:
	s_andn2_b64 vcc, exec, s[0:1]
	s_cbranch_vccnz .LBB55_529
.LBB55_397:
	v_mul_lo_u32 v0, v3, s14
	v_ashrrev_i32_e32 v1, 31, v0
	v_mov_b32_e32 v7, s3
	v_add_co_u32_e32 v0, vcc, s2, v0
	v_addc_co_u32_e32 v1, vcc, v7, v1, vcc
	v_mov_b32_e32 v7, 11
	v_cmp_lt_i16_sdwa s[0:1], v4, v7 src0_sel:BYTE_0 src1_sel:DWORD
	s_and_b64 vcc, exec, s[0:1]
	s_cbranch_vccnz .LBB55_405
; %bb.398:
	v_mov_b32_e32 v7, 25
	v_cmp_gt_i16_sdwa s[0:1], v4, v7 src0_sel:BYTE_0 src1_sel:DWORD
	s_and_b64 vcc, exec, s[0:1]
	s_cbranch_vccz .LBB55_407
; %bb.399:
	v_mov_b32_e32 v7, 28
	v_cmp_gt_i16_sdwa s[0:1], v4, v7 src0_sel:BYTE_0 src1_sel:DWORD
	s_and_b64 vcc, exec, s[0:1]
	s_cbranch_vccz .LBB55_409
	;; [unrolled: 5-line block ×4, first 2 shown]
; %bb.402:
	v_mov_b32_e32 v7, 46
	v_cmp_eq_u16_sdwa s[0:1], v4, v7 src0_sel:BYTE_0 src1_sel:DWORD
	s_mov_b64 s[28:29], 0
	s_and_b64 vcc, exec, s[0:1]
	s_cbranch_vccz .LBB55_533
; %bb.403:
	global_load_dword v7, v[0:1], off
	s_mov_b64 s[0:1], -1
	s_mov_b64 s[26:27], 0
	s_waitcnt vmcnt(0)
	v_lshlrev_b32_e32 v7, 16, v7
	v_cvt_f16_f32_e32 v7, v7
	s_branch .LBB55_534
.LBB55_404:
	s_mov_b64 s[26:27], -1
	s_mov_b64 s[0:1], 0
	s_mov_b64 s[24:25], s[20:21]
                                        ; implicit-def: $vgpr6
	s_branch .LBB55_445
.LBB55_405:
	s_mov_b64 s[28:29], -1
	s_mov_b64 s[0:1], 0
                                        ; implicit-def: $vgpr7
	s_mov_b64 s[26:27], s[18:19]
	s_branch .LBB55_599
.LBB55_406:
	s_mov_b64 s[26:27], -1
	s_mov_b64 s[0:1], 0
	s_mov_b64 s[24:25], s[20:21]
                                        ; implicit-def: $vgpr6
	s_branch .LBB55_426
.LBB55_407:
	s_mov_b64 s[28:29], -1
	s_mov_b64 s[0:1], 0
	s_mov_b64 s[26:27], s[18:19]
                                        ; implicit-def: $vgpr7
	s_branch .LBB55_563
.LBB55_408:
	s_mov_b64 s[26:27], -1
	s_mov_b64 s[0:1], 0
	s_mov_b64 s[24:25], s[20:21]
                                        ; implicit-def: $vgpr6
	s_branch .LBB55_421
.LBB55_409:
	s_mov_b64 s[28:29], -1
	s_mov_b64 s[0:1], 0
	s_mov_b64 s[26:27], s[18:19]
                                        ; implicit-def: $vgpr7
	s_branch .LBB55_544
.LBB55_410:
	s_mov_b64 s[26:27], -1
	s_mov_b64 s[0:1], 0
	s_mov_b64 s[24:25], s[20:21]
                                        ; implicit-def: $vgpr6
	s_branch .LBB55_415
.LBB55_411:
	s_mov_b64 s[28:29], -1
	s_mov_b64 s[0:1], 0
	s_mov_b64 s[26:27], s[18:19]
                                        ; implicit-def: $vgpr7
	s_branch .LBB55_539
.LBB55_412:
	s_or_saveexec_b64 s[28:29], s[28:29]
                                        ; implicit-def: $sgpr15
	s_xor_b64 exec, exec, s[28:29]
	s_cbranch_execz .LBB55_180
.LBB55_413:
	s_mov_b32 s15, 0x46000000
	v_add_f32_e64 v8, |v7|, s15
	v_and_b32_e32 v8, 0xff, v8
	v_cmp_ne_u32_e32 vcc, 0, v8
	s_andn2_b64 s[24:25], s[24:25], exec
	s_and_b64 s[30:31], vcc, exec
	s_mov_b32 s15, 0
	s_or_b64 s[24:25], s[24:25], s[30:31]
	s_or_b64 exec, exec, s[28:29]
	v_mov_b32_e32 v9, s15
	s_and_saveexec_b64 s[28:29], s[24:25]
	s_cbranch_execnz .LBB55_181
	s_branch .LBB55_182
.LBB55_414:
	s_mov_b64 s[24:25], -1
                                        ; implicit-def: $vgpr6
	s_mov_b64 s[0:1], 0
.LBB55_415:
	s_and_b64 vcc, exec, s[26:27]
	s_cbranch_vccz .LBB55_420
; %bb.416:
	v_mov_b32_e32 v6, 44
	v_cmp_eq_u16_sdwa s[24:25], v5, v6 src0_sel:BYTE_0 src1_sel:DWORD
	s_and_b64 vcc, exec, s[24:25]
	s_cbranch_vccz .LBB55_419
; %bb.417:
	global_load_ubyte v6, v[0:1], off
	s_movk_i32 s15, 0xff
	v_mov_b32_e32 v8, 0x7e00
	s_mov_b64 s[0:1], -1
	s_mov_b64 s[24:25], 0
	s_waitcnt vmcnt(0)
	v_lshlrev_b32_e32 v7, 23, v6
	v_cvt_f16_f32_e32 v7, v7
	v_cmp_ne_u32_e32 vcc, s15, v6
	v_cndmask_b32_e32 v7, v8, v7, vcc
	v_cmp_ne_u32_e32 vcc, 0, v6
	v_cndmask_b32_e32 v6, 0, v7, vcc
	s_branch .LBB55_420
.LBB55_418:
	s_mov_b64 s[28:29], -1
	s_mov_b64 s[0:1], 0
	s_mov_b64 s[26:27], s[18:19]
                                        ; implicit-def: $vgpr7
	s_branch .LBB55_534
.LBB55_419:
	s_mov_b64 s[24:25], -1
                                        ; implicit-def: $vgpr6
.LBB55_420:
	s_mov_b64 s[26:27], 0
.LBB55_421:
	s_and_b64 vcc, exec, s[26:27]
	s_cbranch_vccz .LBB55_425
; %bb.422:
	v_mov_b32_e32 v6, 29
	v_cmp_eq_u16_sdwa s[24:25], v5, v6 src0_sel:BYTE_0 src1_sel:DWORD
	s_and_b64 vcc, exec, s[24:25]
	s_cbranch_vccz .LBB55_424
; %bb.423:
	global_load_dwordx2 v[6:7], v[0:1], off
	s_mov_b64 s[0:1], -1
	s_mov_b64 s[24:25], 0
	s_mov_b64 s[26:27], 0
	s_waitcnt vmcnt(0)
	v_ffbh_u32_e32 v8, v7
	v_min_u32_e32 v8, 32, v8
	v_lshlrev_b64 v[6:7], v8, v[6:7]
	v_min_u32_e32 v6, 1, v6
	v_or_b32_e32 v6, v7, v6
	v_cvt_f32_u32_e32 v6, v6
	v_sub_u32_e32 v7, 32, v8
	v_ldexp_f32 v6, v6, v7
	v_cvt_f16_f32_e32 v6, v6
	s_branch .LBB55_426
.LBB55_424:
	s_mov_b64 s[24:25], -1
                                        ; implicit-def: $vgpr6
.LBB55_425:
	s_mov_b64 s[26:27], 0
.LBB55_426:
	s_and_b64 vcc, exec, s[26:27]
	s_cbranch_vccz .LBB55_444
; %bb.427:
	v_mov_b32_e32 v6, 27
	v_cmp_lt_i16_sdwa s[0:1], v5, v6 src0_sel:BYTE_0 src1_sel:DWORD
	s_and_b64 vcc, exec, s[0:1]
	s_cbranch_vccnz .LBB55_430
; %bb.428:
	v_cmp_gt_i16_sdwa s[0:1], v5, v6 src0_sel:BYTE_0 src1_sel:DWORD
	s_and_b64 vcc, exec, s[0:1]
	s_cbranch_vccz .LBB55_431
; %bb.429:
	global_load_dword v6, v[0:1], off
	s_mov_b64 s[0:1], 0
	s_waitcnt vmcnt(0)
	v_cvt_f32_u32_e32 v6, v6
	v_cvt_f16_f32_e32 v6, v6
	s_branch .LBB55_432
.LBB55_430:
	s_mov_b64 s[0:1], -1
                                        ; implicit-def: $vgpr6
	s_branch .LBB55_435
.LBB55_431:
	s_mov_b64 s[0:1], -1
                                        ; implicit-def: $vgpr6
.LBB55_432:
	s_andn2_b64 vcc, exec, s[0:1]
	s_cbranch_vccnz .LBB55_434
; %bb.433:
	global_load_ushort v6, v[0:1], off
	s_waitcnt vmcnt(0)
	v_cvt_f16_u16_e32 v6, v6
.LBB55_434:
	s_mov_b64 s[0:1], 0
.LBB55_435:
	s_andn2_b64 vcc, exec, s[0:1]
	s_cbranch_vccnz .LBB55_443
; %bb.436:
	global_load_ubyte v7, v[0:1], off
	s_movk_i32 s0, 0x7f
                                        ; implicit-def: $sgpr15
	s_waitcnt vmcnt(0)
	v_cmp_lt_i16_e32 vcc, s0, v7
	s_mov_b64 s[0:1], 0
	s_and_saveexec_b64 s[26:27], vcc
	s_xor_b64 s[26:27], exec, s[26:27]
	s_cbranch_execz .LBB55_457
; %bb.437:
	s_movk_i32 s0, 0x80
	v_cmp_eq_u16_e32 vcc, s0, v7
	s_mov_b64 s[0:1], -1
                                        ; implicit-def: $sgpr15
	s_and_saveexec_b64 s[28:29], vcc
; %bb.438:
	s_movk_i32 s15, 0x7e00
	s_xor_b64 s[0:1], exec, -1
; %bb.439:
	s_or_b64 exec, exec, s[28:29]
	s_and_b64 s[0:1], s[0:1], exec
	s_or_saveexec_b64 s[26:27], s[26:27]
	v_mov_b32_e32 v6, s15
	s_xor_b64 exec, exec, s[26:27]
	s_cbranch_execnz .LBB55_458
.LBB55_440:
	s_or_b64 exec, exec, s[26:27]
	s_and_saveexec_b64 s[26:27], s[0:1]
	s_cbranch_execz .LBB55_442
.LBB55_441:
	v_lshlrev_b32_e32 v6, 24, v7
	v_and_b32_e32 v7, 0xffff, v7
	v_and_b32_e32 v8, 7, v7
	v_ffbh_u32_e32 v10, v8
	v_min_u32_e32 v10, 32, v10
	v_subrev_u32_e32 v11, 28, v10
	v_bfe_u32 v9, v7, 3, 4
	v_lshlrev_b32_e32 v7, v11, v7
	v_sub_u32_e32 v10, 29, v10
	v_and_b32_e32 v7, 7, v7
	v_cmp_eq_u32_e32 vcc, 0, v9
	v_cndmask_b32_e32 v9, v9, v10, vcc
	v_cndmask_b32_e32 v7, v8, v7, vcc
	v_mov_b32_e32 v8, 0x3b800000
	v_lshlrev_b32_e32 v7, 20, v7
	v_and_b32_e32 v6, 0x80000000, v6
	v_lshl_add_u32 v8, v9, 23, v8
	v_or3_b32 v6, v6, v8, v7
	v_cvt_f16_f32_e32 v6, v6
.LBB55_442:
	s_or_b64 exec, exec, s[26:27]
.LBB55_443:
	s_mov_b64 s[0:1], -1
.LBB55_444:
	s_mov_b64 s[26:27], 0
.LBB55_445:
	s_and_b64 vcc, exec, s[26:27]
	s_cbranch_vccz .LBB55_480
; %bb.446:
	v_mov_b32_e32 v6, 22
	v_cmp_gt_i16_sdwa s[26:27], v5, v6 src0_sel:BYTE_0 src1_sel:DWORD
	s_and_b64 vcc, exec, s[26:27]
	s_cbranch_vccz .LBB55_456
; %bb.447:
	v_mov_b32_e32 v6, 24
	v_cmp_lt_i16_sdwa s[0:1], v5, v6 src0_sel:BYTE_0 src1_sel:DWORD
	s_and_b64 vcc, exec, s[0:1]
	s_cbranch_vccnz .LBB55_459
; %bb.448:
	v_cmp_gt_i16_sdwa s[0:1], v5, v6 src0_sel:BYTE_0 src1_sel:DWORD
	s_and_b64 vcc, exec, s[0:1]
	s_cbranch_vccz .LBB55_460
; %bb.449:
	global_load_ubyte v7, v[0:1], off
	s_movk_i32 s0, 0x7f
                                        ; implicit-def: $sgpr15
	s_waitcnt vmcnt(0)
	v_cmp_lt_i16_e32 vcc, s0, v7
	s_mov_b64 s[0:1], 0
	s_and_saveexec_b64 s[26:27], vcc
	s_xor_b64 s[26:27], exec, s[26:27]
	s_cbranch_execz .LBB55_472
; %bb.450:
	s_movk_i32 s0, 0x80
	v_cmp_eq_u16_e32 vcc, s0, v7
	s_mov_b64 s[0:1], -1
                                        ; implicit-def: $sgpr15
	s_and_saveexec_b64 s[28:29], vcc
; %bb.451:
	s_movk_i32 s15, 0x7e00
	s_xor_b64 s[0:1], exec, -1
; %bb.452:
	s_or_b64 exec, exec, s[28:29]
	s_and_b64 s[0:1], s[0:1], exec
	s_or_saveexec_b64 s[26:27], s[26:27]
	v_mov_b32_e32 v6, s15
	s_xor_b64 exec, exec, s[26:27]
	s_cbranch_execnz .LBB55_473
.LBB55_453:
	s_or_b64 exec, exec, s[26:27]
	s_and_saveexec_b64 s[26:27], s[0:1]
	s_cbranch_execz .LBB55_455
.LBB55_454:
	v_lshlrev_b32_e32 v6, 24, v7
	v_and_b32_e32 v7, 0xffff, v7
	v_and_b32_e32 v8, 3, v7
	v_ffbh_u32_e32 v10, v8
	v_min_u32_e32 v10, 32, v10
	v_subrev_u32_e32 v11, 29, v10
	v_bfe_u32 v9, v7, 2, 5
	v_lshlrev_b32_e32 v7, v11, v7
	v_sub_u32_e32 v10, 30, v10
	v_and_b32_e32 v7, 3, v7
	v_cmp_eq_u32_e32 vcc, 0, v9
	v_cndmask_b32_e32 v9, v9, v10, vcc
	v_cndmask_b32_e32 v7, v8, v7, vcc
	v_mov_b32_e32 v8, 0x37800000
	v_lshlrev_b32_e32 v7, 21, v7
	v_and_b32_e32 v6, 0x80000000, v6
	v_lshl_add_u32 v8, v9, 23, v8
	v_or3_b32 v6, v6, v8, v7
	v_cvt_f16_f32_e32 v6, v6
.LBB55_455:
	s_or_b64 exec, exec, s[26:27]
	s_mov_b64 s[0:1], 0
	s_branch .LBB55_461
.LBB55_456:
	s_mov_b64 s[26:27], -1
                                        ; implicit-def: $vgpr6
	s_branch .LBB55_467
.LBB55_457:
	s_or_saveexec_b64 s[26:27], s[26:27]
	v_mov_b32_e32 v6, s15
	s_xor_b64 exec, exec, s[26:27]
	s_cbranch_execz .LBB55_440
.LBB55_458:
	v_cmp_ne_u16_e32 vcc, 0, v7
	s_andn2_b64 s[0:1], s[0:1], exec
	s_and_b64 s[28:29], vcc, exec
	s_or_b64 s[0:1], s[0:1], s[28:29]
	v_mov_b32_e32 v6, v7
	s_or_b64 exec, exec, s[26:27]
	s_and_saveexec_b64 s[26:27], s[0:1]
	s_cbranch_execnz .LBB55_441
	s_branch .LBB55_442
.LBB55_459:
	s_mov_b64 s[0:1], -1
                                        ; implicit-def: $vgpr6
	s_branch .LBB55_464
.LBB55_460:
	s_mov_b64 s[0:1], -1
                                        ; implicit-def: $vgpr6
.LBB55_461:
	s_and_b64 vcc, exec, s[0:1]
	s_cbranch_vccz .LBB55_463
; %bb.462:
	global_load_ubyte v6, v[0:1], off
	s_mov_b32 s0, 0x7f800000
	s_waitcnt vmcnt(0)
	v_lshlrev_b32_e32 v6, 24, v6
	v_and_b32_e32 v7, 0x7f000000, v6
	v_ffbh_u32_e32 v8, v7
	v_min_u32_e32 v8, 32, v8
	v_sub_u32_e64 v8, v8, 4 clamp
	v_lshlrev_b32_e32 v10, v8, v7
	v_lshlrev_b32_e32 v8, 23, v8
	v_lshrrev_b32_e32 v10, 4, v10
	v_add_u32_e32 v9, 0x1000000, v7
	v_sub_u32_e32 v8, v10, v8
	v_ashrrev_i32_e32 v9, 8, v9
	v_add_u32_e32 v8, 0x3c000000, v8
	v_and_or_b32 v8, v9, s0, v8
	v_cmp_ne_u32_e32 vcc, 0, v7
	v_cndmask_b32_e32 v7, 0, v8, vcc
	s_brev_b32 s0, 1
	v_and_or_b32 v6, v6, s0, v7
	v_cvt_f16_f32_e32 v6, v6
.LBB55_463:
	s_mov_b64 s[0:1], 0
.LBB55_464:
	s_andn2_b64 vcc, exec, s[0:1]
	s_cbranch_vccnz .LBB55_466
; %bb.465:
	global_load_ubyte v6, v[0:1], off
	s_movk_i32 s0, 0x7f00
	s_brev_b32 s1, 16
	s_waitcnt vmcnt(0)
	v_lshlrev_b16_e32 v7, 8, v6
	v_lshlrev_b32_e32 v6, 25, v6
	v_lshrrev_b32_e32 v8, 4, v6
	v_and_or_b32 v9, v7, s0, 0.5
	v_or_b32_e32 v8, 0x70000000, v8
	v_add_f32_e32 v9, -0.5, v9
	v_mul_f32_e32 v8, 0x7800000, v8
	v_cmp_gt_u32_e32 vcc, s1, v6
	v_bfe_i32 v7, v7, 0, 16
	v_cndmask_b32_e32 v6, v8, v9, vcc
	s_brev_b32 s0, 1
	v_and_or_b32 v6, v7, s0, v6
	v_cvt_f16_f32_e32 v6, v6
.LBB55_466:
	s_mov_b64 s[26:27], 0
	s_mov_b64 s[0:1], -1
.LBB55_467:
	s_andn2_b64 vcc, exec, s[26:27]
	s_cbranch_vccnz .LBB55_480
; %bb.468:
	v_mov_b32_e32 v6, 14
	v_cmp_gt_i16_sdwa s[26:27], v5, v6 src0_sel:BYTE_0 src1_sel:DWORD
	s_and_b64 vcc, exec, s[26:27]
	s_cbranch_vccz .LBB55_471
; %bb.469:
	v_mov_b32_e32 v6, 15
	v_cmp_eq_u16_sdwa s[24:25], v5, v6 src0_sel:BYTE_0 src1_sel:DWORD
	s_and_b64 vcc, exec, s[24:25]
	s_cbranch_vccz .LBB55_474
; %bb.470:
	global_load_ushort v6, v[0:1], off
	s_mov_b64 s[0:1], -1
	s_mov_b64 s[24:25], 0
	s_waitcnt vmcnt(0)
	v_lshlrev_b32_e32 v6, 16, v6
	v_cvt_f16_f32_e32 v6, v6
	s_branch .LBB55_475
.LBB55_471:
	s_mov_b64 s[26:27], -1
                                        ; implicit-def: $vgpr6
	s_branch .LBB55_476
.LBB55_472:
	s_or_saveexec_b64 s[26:27], s[26:27]
	v_mov_b32_e32 v6, s15
	s_xor_b64 exec, exec, s[26:27]
	s_cbranch_execz .LBB55_453
.LBB55_473:
	v_cmp_ne_u16_e32 vcc, 0, v7
	s_andn2_b64 s[0:1], s[0:1], exec
	s_and_b64 s[28:29], vcc, exec
	s_or_b64 s[0:1], s[0:1], s[28:29]
	v_mov_b32_e32 v6, v7
	s_or_b64 exec, exec, s[26:27]
	s_and_saveexec_b64 s[26:27], s[0:1]
	s_cbranch_execnz .LBB55_454
	s_branch .LBB55_455
.LBB55_474:
	s_mov_b64 s[24:25], -1
                                        ; implicit-def: $vgpr6
.LBB55_475:
	s_mov_b64 s[26:27], 0
.LBB55_476:
	s_and_b64 vcc, exec, s[26:27]
	s_cbranch_vccz .LBB55_480
; %bb.477:
	v_mov_b32_e32 v6, 11
	v_cmp_eq_u16_sdwa s[24:25], v5, v6 src0_sel:BYTE_0 src1_sel:DWORD
	s_and_b64 vcc, exec, s[24:25]
	s_cbranch_vccz .LBB55_479
; %bb.478:
	global_load_ubyte v6, v[0:1], off
	v_mov_b32_e32 v7, 0x3c00
	s_mov_b64 s[0:1], -1
	s_mov_b64 s[24:25], 0
	s_waitcnt vmcnt(0)
	v_cmp_ne_u16_e32 vcc, 0, v6
	v_cndmask_b32_e32 v6, 0, v7, vcc
	s_branch .LBB55_480
.LBB55_479:
	s_mov_b64 s[24:25], -1
                                        ; implicit-def: $vgpr6
.LBB55_480:
	s_branch .LBB55_396
.LBB55_481:
	v_mov_b32_e32 v6, 5
	v_cmp_lt_i16_sdwa s[0:1], v5, v6 src0_sel:BYTE_0 src1_sel:DWORD
	s_and_b64 vcc, exec, s[0:1]
	s_cbranch_vccnz .LBB55_486
; %bb.482:
	v_mov_b32_e32 v6, 8
	v_cmp_lt_i16_sdwa s[0:1], v5, v6 src0_sel:BYTE_0 src1_sel:DWORD
	s_and_b64 vcc, exec, s[0:1]
	s_cbranch_vccnz .LBB55_487
; %bb.483:
	v_mov_b32_e32 v6, 9
	v_cmp_lt_i16_sdwa s[0:1], v5, v6 src0_sel:BYTE_0 src1_sel:DWORD
	s_and_b64 vcc, exec, s[0:1]
	s_cbranch_vccnz .LBB55_488
; %bb.484:
	v_cmp_gt_i16_sdwa s[0:1], v5, v6 src0_sel:BYTE_0 src1_sel:DWORD
	s_and_b64 vcc, exec, s[0:1]
	s_cbranch_vccz .LBB55_489
; %bb.485:
	global_load_dwordx2 v[6:7], v[0:1], off
	s_mov_b64 s[0:1], 0
	s_waitcnt vmcnt(0)
	v_cvt_f32_f64_e32 v6, v[6:7]
	v_cvt_f16_f32_e32 v6, v6
	s_branch .LBB55_490
.LBB55_486:
	s_mov_b64 s[0:1], -1
                                        ; implicit-def: $vgpr6
	s_branch .LBB55_508
.LBB55_487:
	s_mov_b64 s[0:1], -1
                                        ; implicit-def: $vgpr6
	s_branch .LBB55_496
.LBB55_488:
	s_mov_b64 s[0:1], -1
                                        ; implicit-def: $vgpr6
	s_branch .LBB55_493
.LBB55_489:
	s_mov_b64 s[0:1], -1
                                        ; implicit-def: $vgpr6
.LBB55_490:
	s_andn2_b64 vcc, exec, s[0:1]
	s_cbranch_vccnz .LBB55_492
; %bb.491:
	global_load_dword v6, v[0:1], off
	s_waitcnt vmcnt(0)
	v_cvt_f16_f32_e32 v6, v6
.LBB55_492:
	s_mov_b64 s[0:1], 0
.LBB55_493:
	s_andn2_b64 vcc, exec, s[0:1]
	s_cbranch_vccnz .LBB55_495
; %bb.494:
	global_load_dword v6, v[0:1], off
.LBB55_495:
	s_mov_b64 s[0:1], 0
.LBB55_496:
	s_andn2_b64 vcc, exec, s[0:1]
	s_cbranch_vccnz .LBB55_507
; %bb.497:
	s_waitcnt vmcnt(0)
	v_mov_b32_e32 v6, 6
	v_cmp_lt_i16_sdwa s[0:1], v5, v6 src0_sel:BYTE_0 src1_sel:DWORD
	s_and_b64 vcc, exec, s[0:1]
	s_cbranch_vccnz .LBB55_500
; %bb.498:
	v_cmp_gt_i16_sdwa s[0:1], v5, v6 src0_sel:BYTE_0 src1_sel:DWORD
	s_and_b64 vcc, exec, s[0:1]
	s_cbranch_vccz .LBB55_501
; %bb.499:
	global_load_dwordx2 v[6:7], v[0:1], off
	s_mov_b64 s[0:1], 0
	s_waitcnt vmcnt(0)
	v_cvt_f32_f64_e32 v6, v[6:7]
	v_cvt_f16_f32_e32 v6, v6
	s_branch .LBB55_502
.LBB55_500:
	s_mov_b64 s[0:1], -1
                                        ; implicit-def: $vgpr6
	s_branch .LBB55_505
.LBB55_501:
	s_mov_b64 s[0:1], -1
                                        ; implicit-def: $vgpr6
.LBB55_502:
	s_andn2_b64 vcc, exec, s[0:1]
	s_cbranch_vccnz .LBB55_504
; %bb.503:
	global_load_dword v6, v[0:1], off
	s_waitcnt vmcnt(0)
	v_cvt_f16_f32_e32 v6, v6
.LBB55_504:
	s_mov_b64 s[0:1], 0
.LBB55_505:
	s_andn2_b64 vcc, exec, s[0:1]
	s_cbranch_vccnz .LBB55_507
; %bb.506:
	global_load_ushort v6, v[0:1], off
.LBB55_507:
	s_mov_b64 s[0:1], 0
.LBB55_508:
	s_andn2_b64 vcc, exec, s[0:1]
	s_cbranch_vccnz .LBB55_528
; %bb.509:
	s_waitcnt vmcnt(0)
	v_mov_b32_e32 v6, 2
	v_cmp_lt_i16_sdwa s[0:1], v5, v6 src0_sel:BYTE_0 src1_sel:DWORD
	s_and_b64 vcc, exec, s[0:1]
	s_cbranch_vccnz .LBB55_513
; %bb.510:
	v_mov_b32_e32 v6, 3
	v_cmp_lt_i16_sdwa s[0:1], v5, v6 src0_sel:BYTE_0 src1_sel:DWORD
	s_and_b64 vcc, exec, s[0:1]
	s_cbranch_vccnz .LBB55_514
; %bb.511:
	v_cmp_gt_i16_sdwa s[0:1], v5, v6 src0_sel:BYTE_0 src1_sel:DWORD
	s_and_b64 vcc, exec, s[0:1]
	s_cbranch_vccz .LBB55_515
; %bb.512:
	global_load_dwordx2 v[6:7], v[0:1], off
	s_mov_b64 s[0:1], 0
	s_waitcnt vmcnt(0)
	v_xor_b32_e32 v9, v6, v7
	v_ffbh_i32_e32 v8, v7
	v_ashrrev_i32_e32 v9, 31, v9
	v_add_u32_e32 v8, -1, v8
	v_add_u32_e32 v9, 32, v9
	v_min_u32_e32 v8, v8, v9
	v_lshlrev_b64 v[6:7], v8, v[6:7]
	v_min_u32_e32 v6, 1, v6
	v_or_b32_e32 v6, v7, v6
	v_cvt_f32_i32_e32 v6, v6
	v_sub_u32_e32 v7, 32, v8
	v_ldexp_f32 v6, v6, v7
	v_cvt_f16_f32_e32 v6, v6
	s_branch .LBB55_516
.LBB55_513:
	s_mov_b64 s[0:1], -1
                                        ; implicit-def: $vgpr6
	s_branch .LBB55_522
.LBB55_514:
	s_mov_b64 s[0:1], -1
                                        ; implicit-def: $vgpr6
	s_branch .LBB55_519
.LBB55_515:
	s_mov_b64 s[0:1], -1
                                        ; implicit-def: $vgpr6
.LBB55_516:
	s_andn2_b64 vcc, exec, s[0:1]
	s_cbranch_vccnz .LBB55_518
; %bb.517:
	global_load_dword v6, v[0:1], off
	s_waitcnt vmcnt(0)
	v_cvt_f32_i32_e32 v6, v6
	v_cvt_f16_f32_e32 v6, v6
.LBB55_518:
	s_mov_b64 s[0:1], 0
.LBB55_519:
	s_andn2_b64 vcc, exec, s[0:1]
	s_cbranch_vccnz .LBB55_521
; %bb.520:
	global_load_ushort v6, v[0:1], off
	s_waitcnt vmcnt(0)
	v_cvt_f16_i16_e32 v6, v6
.LBB55_521:
	s_mov_b64 s[0:1], 0
.LBB55_522:
	s_andn2_b64 vcc, exec, s[0:1]
	s_cbranch_vccnz .LBB55_528
; %bb.523:
	v_mov_b32_e32 v6, 0
	v_cmp_gt_i16_sdwa s[0:1], v5, v6 src0_sel:BYTE_0 src1_sel:DWORD
	s_and_b64 vcc, exec, s[0:1]
	s_cbranch_vccz .LBB55_525
; %bb.524:
	global_load_sbyte v6, v[0:1], off
	s_mov_b64 s[0:1], 0
	s_waitcnt vmcnt(0)
	v_cvt_f16_i16_e32 v6, v6
	s_branch .LBB55_526
.LBB55_525:
	s_mov_b64 s[0:1], -1
                                        ; implicit-def: $vgpr6
.LBB55_526:
	s_andn2_b64 vcc, exec, s[0:1]
	s_cbranch_vccnz .LBB55_528
; %bb.527:
	global_load_ubyte v0, v[0:1], off
	s_waitcnt vmcnt(0)
	v_cvt_f16_u16_e32 v6, v0
.LBB55_528:
	s_branch .LBB55_397
.LBB55_529:
	s_mov_b64 s[34:35], 0
	s_mov_b64 s[0:1], s[6:7]
	;; [unrolled: 1-line block ×3, first 2 shown]
.LBB55_530:
                                        ; implicit-def: $vgpr3
	s_branch .LBB55_772
.LBB55_531:
	s_or_saveexec_b64 s[28:29], s[28:29]
                                        ; implicit-def: $sgpr15
	s_xor_b64 exec, exec, s[28:29]
	s_cbranch_execz .LBB55_193
.LBB55_532:
	s_mov_b32 s15, 0x42800000
	v_add_f32_e64 v8, |v7|, s15
	v_and_b32_e32 v8, 0xff, v8
	v_cmp_ne_u32_e32 vcc, 0, v8
	s_andn2_b64 s[24:25], s[24:25], exec
	s_and_b64 s[30:31], vcc, exec
	s_mov_b32 s15, 0
	s_or_b64 s[24:25], s[24:25], s[30:31]
	s_or_b64 exec, exec, s[28:29]
	v_mov_b32_e32 v9, s15
	s_and_saveexec_b64 s[28:29], s[24:25]
	s_cbranch_execnz .LBB55_194
	s_branch .LBB55_195
.LBB55_533:
	s_mov_b64 s[26:27], -1
                                        ; implicit-def: $vgpr7
	s_mov_b64 s[0:1], 0
.LBB55_534:
	s_and_b64 vcc, exec, s[28:29]
	s_cbranch_vccz .LBB55_538
; %bb.535:
	v_mov_b32_e32 v7, 44
	v_cmp_eq_u16_sdwa s[26:27], v4, v7 src0_sel:BYTE_0 src1_sel:DWORD
	s_and_b64 vcc, exec, s[26:27]
	s_cbranch_vccz .LBB55_537
; %bb.536:
	global_load_ubyte v7, v[0:1], off
	s_movk_i32 s15, 0xff
	v_mov_b32_e32 v9, 0x7e00
	s_mov_b64 s[0:1], -1
	s_mov_b64 s[26:27], 0
	s_waitcnt vmcnt(0)
	v_lshlrev_b32_e32 v8, 23, v7
	v_cvt_f16_f32_e32 v8, v8
	v_cmp_ne_u32_e32 vcc, s15, v7
	v_cndmask_b32_e32 v8, v9, v8, vcc
	v_cmp_ne_u32_e32 vcc, 0, v7
	v_cndmask_b32_e32 v7, 0, v8, vcc
	s_branch .LBB55_538
.LBB55_537:
	s_mov_b64 s[26:27], -1
                                        ; implicit-def: $vgpr7
.LBB55_538:
	s_mov_b64 s[28:29], 0
.LBB55_539:
	s_and_b64 vcc, exec, s[28:29]
	s_cbranch_vccz .LBB55_543
; %bb.540:
	v_mov_b32_e32 v7, 29
	v_cmp_eq_u16_sdwa s[26:27], v4, v7 src0_sel:BYTE_0 src1_sel:DWORD
	s_and_b64 vcc, exec, s[26:27]
	s_cbranch_vccz .LBB55_542
; %bb.541:
	global_load_dwordx2 v[8:9], v[0:1], off
	s_mov_b64 s[0:1], -1
	s_mov_b64 s[26:27], 0
	s_mov_b64 s[28:29], 0
	s_waitcnt vmcnt(0)
	v_ffbh_u32_e32 v7, v9
	v_min_u32_e32 v7, 32, v7
	v_lshlrev_b64 v[8:9], v7, v[8:9]
	v_min_u32_e32 v8, 1, v8
	v_or_b32_e32 v8, v9, v8
	v_cvt_f32_u32_e32 v8, v8
	v_sub_u32_e32 v7, 32, v7
	v_ldexp_f32 v7, v8, v7
	v_cvt_f16_f32_e32 v7, v7
	s_branch .LBB55_544
.LBB55_542:
	s_mov_b64 s[26:27], -1
                                        ; implicit-def: $vgpr7
.LBB55_543:
	s_mov_b64 s[28:29], 0
.LBB55_544:
	s_and_b64 vcc, exec, s[28:29]
	s_cbranch_vccz .LBB55_562
; %bb.545:
	v_mov_b32_e32 v7, 27
	v_cmp_lt_i16_sdwa s[0:1], v4, v7 src0_sel:BYTE_0 src1_sel:DWORD
	s_and_b64 vcc, exec, s[0:1]
	s_cbranch_vccnz .LBB55_548
; %bb.546:
	v_cmp_gt_i16_sdwa s[0:1], v4, v7 src0_sel:BYTE_0 src1_sel:DWORD
	s_and_b64 vcc, exec, s[0:1]
	s_cbranch_vccz .LBB55_549
; %bb.547:
	global_load_dword v7, v[0:1], off
	s_mov_b64 s[0:1], 0
	s_waitcnt vmcnt(0)
	v_cvt_f32_u32_e32 v7, v7
	v_cvt_f16_f32_e32 v7, v7
	s_branch .LBB55_550
.LBB55_548:
	s_mov_b64 s[0:1], -1
                                        ; implicit-def: $vgpr7
	s_branch .LBB55_553
.LBB55_549:
	s_mov_b64 s[0:1], -1
                                        ; implicit-def: $vgpr7
.LBB55_550:
	s_andn2_b64 vcc, exec, s[0:1]
	s_cbranch_vccnz .LBB55_552
; %bb.551:
	global_load_ushort v7, v[0:1], off
	s_waitcnt vmcnt(0)
	v_cvt_f16_u16_e32 v7, v7
.LBB55_552:
	s_mov_b64 s[0:1], 0
.LBB55_553:
	s_andn2_b64 vcc, exec, s[0:1]
	s_cbranch_vccnz .LBB55_561
; %bb.554:
	global_load_ubyte v8, v[0:1], off
	s_movk_i32 s0, 0x7f
                                        ; implicit-def: $sgpr15
	s_waitcnt vmcnt(0)
	v_cmp_lt_i16_e32 vcc, s0, v8
	s_mov_b64 s[0:1], 0
	s_and_saveexec_b64 s[28:29], vcc
	s_xor_b64 s[28:29], exec, s[28:29]
	s_cbranch_execz .LBB55_575
; %bb.555:
	s_movk_i32 s0, 0x80
	v_cmp_eq_u16_e32 vcc, s0, v8
	s_mov_b64 s[0:1], -1
                                        ; implicit-def: $sgpr15
	s_and_saveexec_b64 s[34:35], vcc
; %bb.556:
	s_movk_i32 s15, 0x7e00
	s_xor_b64 s[0:1], exec, -1
; %bb.557:
	s_or_b64 exec, exec, s[34:35]
	s_and_b64 s[0:1], s[0:1], exec
	s_or_saveexec_b64 s[28:29], s[28:29]
	v_mov_b32_e32 v7, s15
	s_xor_b64 exec, exec, s[28:29]
	s_cbranch_execnz .LBB55_576
.LBB55_558:
	s_or_b64 exec, exec, s[28:29]
	s_and_saveexec_b64 s[28:29], s[0:1]
	s_cbranch_execz .LBB55_560
.LBB55_559:
	v_lshlrev_b32_e32 v7, 24, v8
	v_and_b32_e32 v8, 0xffff, v8
	v_and_b32_e32 v9, 7, v8
	v_ffbh_u32_e32 v11, v9
	v_min_u32_e32 v11, 32, v11
	v_subrev_u32_e32 v12, 28, v11
	v_bfe_u32 v10, v8, 3, 4
	v_lshlrev_b32_e32 v8, v12, v8
	v_sub_u32_e32 v11, 29, v11
	v_and_b32_e32 v8, 7, v8
	v_cmp_eq_u32_e32 vcc, 0, v10
	v_cndmask_b32_e32 v10, v10, v11, vcc
	v_cndmask_b32_e32 v8, v9, v8, vcc
	v_mov_b32_e32 v9, 0x3b800000
	v_lshlrev_b32_e32 v8, 20, v8
	v_and_b32_e32 v7, 0x80000000, v7
	v_lshl_add_u32 v9, v10, 23, v9
	v_or3_b32 v7, v7, v9, v8
	v_cvt_f16_f32_e32 v7, v7
.LBB55_560:
	s_or_b64 exec, exec, s[28:29]
.LBB55_561:
	s_mov_b64 s[0:1], -1
.LBB55_562:
	s_mov_b64 s[28:29], 0
.LBB55_563:
	s_and_b64 vcc, exec, s[28:29]
	s_cbranch_vccz .LBB55_598
; %bb.564:
	v_mov_b32_e32 v7, 22
	v_cmp_gt_i16_sdwa s[28:29], v4, v7 src0_sel:BYTE_0 src1_sel:DWORD
	s_and_b64 vcc, exec, s[28:29]
	s_cbranch_vccz .LBB55_574
; %bb.565:
	v_mov_b32_e32 v7, 24
	v_cmp_lt_i16_sdwa s[0:1], v4, v7 src0_sel:BYTE_0 src1_sel:DWORD
	s_and_b64 vcc, exec, s[0:1]
	s_cbranch_vccnz .LBB55_577
; %bb.566:
	v_cmp_gt_i16_sdwa s[0:1], v4, v7 src0_sel:BYTE_0 src1_sel:DWORD
	s_and_b64 vcc, exec, s[0:1]
	s_cbranch_vccz .LBB55_578
; %bb.567:
	global_load_ubyte v8, v[0:1], off
	s_movk_i32 s0, 0x7f
                                        ; implicit-def: $sgpr15
	s_waitcnt vmcnt(0)
	v_cmp_lt_i16_e32 vcc, s0, v8
	s_mov_b64 s[0:1], 0
	s_and_saveexec_b64 s[28:29], vcc
	s_xor_b64 s[28:29], exec, s[28:29]
	s_cbranch_execz .LBB55_590
; %bb.568:
	s_movk_i32 s0, 0x80
	v_cmp_eq_u16_e32 vcc, s0, v8
	s_mov_b64 s[0:1], -1
                                        ; implicit-def: $sgpr15
	s_and_saveexec_b64 s[34:35], vcc
; %bb.569:
	s_movk_i32 s15, 0x7e00
	s_xor_b64 s[0:1], exec, -1
; %bb.570:
	s_or_b64 exec, exec, s[34:35]
	s_and_b64 s[0:1], s[0:1], exec
	s_or_saveexec_b64 s[28:29], s[28:29]
	v_mov_b32_e32 v7, s15
	s_xor_b64 exec, exec, s[28:29]
	s_cbranch_execnz .LBB55_591
.LBB55_571:
	s_or_b64 exec, exec, s[28:29]
	s_and_saveexec_b64 s[28:29], s[0:1]
	s_cbranch_execz .LBB55_573
.LBB55_572:
	v_lshlrev_b32_e32 v7, 24, v8
	v_and_b32_e32 v8, 0xffff, v8
	v_and_b32_e32 v9, 3, v8
	v_ffbh_u32_e32 v11, v9
	v_min_u32_e32 v11, 32, v11
	v_subrev_u32_e32 v12, 29, v11
	v_bfe_u32 v10, v8, 2, 5
	v_lshlrev_b32_e32 v8, v12, v8
	v_sub_u32_e32 v11, 30, v11
	v_and_b32_e32 v8, 3, v8
	v_cmp_eq_u32_e32 vcc, 0, v10
	v_cndmask_b32_e32 v10, v10, v11, vcc
	v_cndmask_b32_e32 v8, v9, v8, vcc
	v_mov_b32_e32 v9, 0x37800000
	v_lshlrev_b32_e32 v8, 21, v8
	v_and_b32_e32 v7, 0x80000000, v7
	v_lshl_add_u32 v9, v10, 23, v9
	v_or3_b32 v7, v7, v9, v8
	v_cvt_f16_f32_e32 v7, v7
.LBB55_573:
	s_or_b64 exec, exec, s[28:29]
	s_mov_b64 s[0:1], 0
	s_branch .LBB55_579
.LBB55_574:
	s_mov_b64 s[28:29], -1
                                        ; implicit-def: $vgpr7
	s_branch .LBB55_585
.LBB55_575:
	s_or_saveexec_b64 s[28:29], s[28:29]
	v_mov_b32_e32 v7, s15
	s_xor_b64 exec, exec, s[28:29]
	s_cbranch_execz .LBB55_558
.LBB55_576:
	v_cmp_ne_u16_e32 vcc, 0, v8
	s_andn2_b64 s[0:1], s[0:1], exec
	s_and_b64 s[34:35], vcc, exec
	s_or_b64 s[0:1], s[0:1], s[34:35]
	v_mov_b32_e32 v7, v8
	s_or_b64 exec, exec, s[28:29]
	s_and_saveexec_b64 s[28:29], s[0:1]
	s_cbranch_execnz .LBB55_559
	s_branch .LBB55_560
.LBB55_577:
	s_mov_b64 s[0:1], -1
                                        ; implicit-def: $vgpr7
	s_branch .LBB55_582
.LBB55_578:
	s_mov_b64 s[0:1], -1
                                        ; implicit-def: $vgpr7
.LBB55_579:
	s_and_b64 vcc, exec, s[0:1]
	s_cbranch_vccz .LBB55_581
; %bb.580:
	global_load_ubyte v7, v[0:1], off
	s_mov_b32 s0, 0x7f800000
	s_waitcnt vmcnt(0)
	v_lshlrev_b32_e32 v7, 24, v7
	v_and_b32_e32 v8, 0x7f000000, v7
	v_ffbh_u32_e32 v9, v8
	v_min_u32_e32 v9, 32, v9
	v_sub_u32_e64 v9, v9, 4 clamp
	v_lshlrev_b32_e32 v11, v9, v8
	v_lshlrev_b32_e32 v9, 23, v9
	v_lshrrev_b32_e32 v11, 4, v11
	v_add_u32_e32 v10, 0x1000000, v8
	v_sub_u32_e32 v9, v11, v9
	v_ashrrev_i32_e32 v10, 8, v10
	v_add_u32_e32 v9, 0x3c000000, v9
	v_and_or_b32 v9, v10, s0, v9
	v_cmp_ne_u32_e32 vcc, 0, v8
	v_cndmask_b32_e32 v8, 0, v9, vcc
	s_brev_b32 s0, 1
	v_and_or_b32 v7, v7, s0, v8
	v_cvt_f16_f32_e32 v7, v7
.LBB55_581:
	s_mov_b64 s[0:1], 0
.LBB55_582:
	s_andn2_b64 vcc, exec, s[0:1]
	s_cbranch_vccnz .LBB55_584
; %bb.583:
	global_load_ubyte v7, v[0:1], off
	s_movk_i32 s0, 0x7f00
	s_brev_b32 s1, 16
	s_waitcnt vmcnt(0)
	v_lshlrev_b16_e32 v8, 8, v7
	v_lshlrev_b32_e32 v7, 25, v7
	v_lshrrev_b32_e32 v9, 4, v7
	v_and_or_b32 v10, v8, s0, 0.5
	v_or_b32_e32 v9, 0x70000000, v9
	v_add_f32_e32 v10, -0.5, v10
	v_mul_f32_e32 v9, 0x7800000, v9
	v_cmp_gt_u32_e32 vcc, s1, v7
	v_bfe_i32 v8, v8, 0, 16
	v_cndmask_b32_e32 v7, v9, v10, vcc
	s_brev_b32 s0, 1
	v_and_or_b32 v7, v8, s0, v7
	v_cvt_f16_f32_e32 v7, v7
.LBB55_584:
	s_mov_b64 s[28:29], 0
	s_mov_b64 s[0:1], -1
.LBB55_585:
	s_andn2_b64 vcc, exec, s[28:29]
	s_cbranch_vccnz .LBB55_598
; %bb.586:
	v_mov_b32_e32 v7, 14
	v_cmp_gt_i16_sdwa s[28:29], v4, v7 src0_sel:BYTE_0 src1_sel:DWORD
	s_and_b64 vcc, exec, s[28:29]
	s_cbranch_vccz .LBB55_589
; %bb.587:
	v_mov_b32_e32 v7, 15
	v_cmp_eq_u16_sdwa s[26:27], v4, v7 src0_sel:BYTE_0 src1_sel:DWORD
	s_and_b64 vcc, exec, s[26:27]
	s_cbranch_vccz .LBB55_592
; %bb.588:
	global_load_ushort v7, v[0:1], off
	s_mov_b64 s[0:1], -1
	s_mov_b64 s[26:27], 0
	s_waitcnt vmcnt(0)
	v_lshlrev_b32_e32 v7, 16, v7
	v_cvt_f16_f32_e32 v7, v7
	s_branch .LBB55_593
.LBB55_589:
	s_mov_b64 s[28:29], -1
                                        ; implicit-def: $vgpr7
	s_branch .LBB55_594
.LBB55_590:
	s_or_saveexec_b64 s[28:29], s[28:29]
	v_mov_b32_e32 v7, s15
	s_xor_b64 exec, exec, s[28:29]
	s_cbranch_execz .LBB55_571
.LBB55_591:
	v_cmp_ne_u16_e32 vcc, 0, v8
	s_andn2_b64 s[0:1], s[0:1], exec
	s_and_b64 s[34:35], vcc, exec
	s_or_b64 s[0:1], s[0:1], s[34:35]
	v_mov_b32_e32 v7, v8
	s_or_b64 exec, exec, s[28:29]
	s_and_saveexec_b64 s[28:29], s[0:1]
	s_cbranch_execnz .LBB55_572
	s_branch .LBB55_573
.LBB55_592:
	s_mov_b64 s[26:27], -1
                                        ; implicit-def: $vgpr7
.LBB55_593:
	s_mov_b64 s[28:29], 0
.LBB55_594:
	s_and_b64 vcc, exec, s[28:29]
	s_cbranch_vccz .LBB55_598
; %bb.595:
	v_mov_b32_e32 v7, 11
	v_cmp_eq_u16_sdwa s[26:27], v4, v7 src0_sel:BYTE_0 src1_sel:DWORD
	s_and_b64 vcc, exec, s[26:27]
	s_cbranch_vccz .LBB55_597
; %bb.596:
	global_load_ubyte v7, v[0:1], off
	v_mov_b32_e32 v8, 0x3c00
	s_mov_b64 s[0:1], -1
	s_mov_b64 s[26:27], 0
	s_waitcnt vmcnt(0)
	v_cmp_ne_u16_e32 vcc, 0, v7
	v_cndmask_b32_e32 v7, 0, v8, vcc
	s_branch .LBB55_598
.LBB55_597:
	s_mov_b64 s[26:27], -1
                                        ; implicit-def: $vgpr7
.LBB55_598:
	s_mov_b64 s[28:29], 0
.LBB55_599:
	s_and_b64 vcc, exec, s[28:29]
	s_cbranch_vccz .LBB55_648
; %bb.600:
	v_mov_b32_e32 v7, 5
	v_cmp_lt_i16_sdwa s[0:1], v4, v7 src0_sel:BYTE_0 src1_sel:DWORD
	s_and_b64 vcc, exec, s[0:1]
	s_cbranch_vccnz .LBB55_605
; %bb.601:
	v_mov_b32_e32 v7, 8
	v_cmp_lt_i16_sdwa s[0:1], v4, v7 src0_sel:BYTE_0 src1_sel:DWORD
	s_and_b64 vcc, exec, s[0:1]
	s_cbranch_vccnz .LBB55_606
	;; [unrolled: 5-line block ×3, first 2 shown]
; %bb.603:
	v_cmp_gt_i16_sdwa s[0:1], v4, v7 src0_sel:BYTE_0 src1_sel:DWORD
	s_and_b64 vcc, exec, s[0:1]
	s_cbranch_vccz .LBB55_608
; %bb.604:
	global_load_dwordx2 v[8:9], v[0:1], off
	s_mov_b64 s[0:1], 0
	s_waitcnt vmcnt(0)
	v_cvt_f32_f64_e32 v7, v[8:9]
	v_cvt_f16_f32_e32 v7, v7
	s_branch .LBB55_609
.LBB55_605:
	s_mov_b64 s[0:1], -1
                                        ; implicit-def: $vgpr7
	s_branch .LBB55_627
.LBB55_606:
	s_mov_b64 s[0:1], -1
                                        ; implicit-def: $vgpr7
	s_branch .LBB55_615
.LBB55_607:
	s_mov_b64 s[0:1], -1
                                        ; implicit-def: $vgpr7
	s_branch .LBB55_612
.LBB55_608:
	s_mov_b64 s[0:1], -1
                                        ; implicit-def: $vgpr7
.LBB55_609:
	s_andn2_b64 vcc, exec, s[0:1]
	s_cbranch_vccnz .LBB55_611
; %bb.610:
	global_load_dword v7, v[0:1], off
	s_waitcnt vmcnt(0)
	v_cvt_f16_f32_e32 v7, v7
.LBB55_611:
	s_mov_b64 s[0:1], 0
.LBB55_612:
	s_andn2_b64 vcc, exec, s[0:1]
	s_cbranch_vccnz .LBB55_614
; %bb.613:
	global_load_dword v7, v[0:1], off
.LBB55_614:
	s_mov_b64 s[0:1], 0
.LBB55_615:
	s_andn2_b64 vcc, exec, s[0:1]
	s_cbranch_vccnz .LBB55_626
; %bb.616:
	s_waitcnt vmcnt(0)
	v_mov_b32_e32 v7, 6
	v_cmp_lt_i16_sdwa s[0:1], v4, v7 src0_sel:BYTE_0 src1_sel:DWORD
	s_and_b64 vcc, exec, s[0:1]
	s_cbranch_vccnz .LBB55_619
; %bb.617:
	v_cmp_gt_i16_sdwa s[0:1], v4, v7 src0_sel:BYTE_0 src1_sel:DWORD
	s_and_b64 vcc, exec, s[0:1]
	s_cbranch_vccz .LBB55_620
; %bb.618:
	global_load_dwordx2 v[8:9], v[0:1], off
	s_mov_b64 s[0:1], 0
	s_waitcnt vmcnt(0)
	v_cvt_f32_f64_e32 v7, v[8:9]
	v_cvt_f16_f32_e32 v7, v7
	s_branch .LBB55_621
.LBB55_619:
	s_mov_b64 s[0:1], -1
                                        ; implicit-def: $vgpr7
	s_branch .LBB55_624
.LBB55_620:
	s_mov_b64 s[0:1], -1
                                        ; implicit-def: $vgpr7
.LBB55_621:
	s_andn2_b64 vcc, exec, s[0:1]
	s_cbranch_vccnz .LBB55_623
; %bb.622:
	global_load_dword v7, v[0:1], off
	s_waitcnt vmcnt(0)
	v_cvt_f16_f32_e32 v7, v7
.LBB55_623:
	s_mov_b64 s[0:1], 0
.LBB55_624:
	s_andn2_b64 vcc, exec, s[0:1]
	s_cbranch_vccnz .LBB55_626
; %bb.625:
	global_load_ushort v7, v[0:1], off
.LBB55_626:
	s_mov_b64 s[0:1], 0
.LBB55_627:
	s_andn2_b64 vcc, exec, s[0:1]
	s_cbranch_vccnz .LBB55_647
; %bb.628:
	s_waitcnt vmcnt(0)
	v_mov_b32_e32 v7, 2
	v_cmp_lt_i16_sdwa s[0:1], v4, v7 src0_sel:BYTE_0 src1_sel:DWORD
	s_and_b64 vcc, exec, s[0:1]
	s_cbranch_vccnz .LBB55_632
; %bb.629:
	v_mov_b32_e32 v7, 3
	v_cmp_lt_i16_sdwa s[0:1], v4, v7 src0_sel:BYTE_0 src1_sel:DWORD
	s_and_b64 vcc, exec, s[0:1]
	s_cbranch_vccnz .LBB55_633
; %bb.630:
	v_cmp_gt_i16_sdwa s[0:1], v4, v7 src0_sel:BYTE_0 src1_sel:DWORD
	s_and_b64 vcc, exec, s[0:1]
	s_cbranch_vccz .LBB55_634
; %bb.631:
	global_load_dwordx2 v[8:9], v[0:1], off
	s_mov_b64 s[0:1], 0
	s_waitcnt vmcnt(0)
	v_xor_b32_e32 v10, v8, v9
	v_ffbh_i32_e32 v7, v9
	v_ashrrev_i32_e32 v10, 31, v10
	v_add_u32_e32 v7, -1, v7
	v_add_u32_e32 v10, 32, v10
	v_min_u32_e32 v7, v7, v10
	v_lshlrev_b64 v[8:9], v7, v[8:9]
	v_min_u32_e32 v8, 1, v8
	v_or_b32_e32 v8, v9, v8
	v_cvt_f32_i32_e32 v8, v8
	v_sub_u32_e32 v7, 32, v7
	v_ldexp_f32 v7, v8, v7
	v_cvt_f16_f32_e32 v7, v7
	s_branch .LBB55_635
.LBB55_632:
	s_mov_b64 s[0:1], -1
                                        ; implicit-def: $vgpr7
	s_branch .LBB55_641
.LBB55_633:
	s_mov_b64 s[0:1], -1
                                        ; implicit-def: $vgpr7
	s_branch .LBB55_638
.LBB55_634:
	s_mov_b64 s[0:1], -1
                                        ; implicit-def: $vgpr7
.LBB55_635:
	s_andn2_b64 vcc, exec, s[0:1]
	s_cbranch_vccnz .LBB55_637
; %bb.636:
	global_load_dword v7, v[0:1], off
	s_waitcnt vmcnt(0)
	v_cvt_f32_i32_e32 v7, v7
	v_cvt_f16_f32_e32 v7, v7
.LBB55_637:
	s_mov_b64 s[0:1], 0
.LBB55_638:
	s_andn2_b64 vcc, exec, s[0:1]
	s_cbranch_vccnz .LBB55_640
; %bb.639:
	global_load_ushort v7, v[0:1], off
	s_waitcnt vmcnt(0)
	v_cvt_f16_i16_e32 v7, v7
.LBB55_640:
	s_mov_b64 s[0:1], 0
.LBB55_641:
	s_andn2_b64 vcc, exec, s[0:1]
	s_cbranch_vccnz .LBB55_647
; %bb.642:
	v_mov_b32_e32 v7, 0
	v_cmp_gt_i16_sdwa s[0:1], v4, v7 src0_sel:BYTE_0 src1_sel:DWORD
	s_and_b64 vcc, exec, s[0:1]
	s_cbranch_vccz .LBB55_644
; %bb.643:
	global_load_sbyte v7, v[0:1], off
	s_mov_b64 s[0:1], 0
	s_waitcnt vmcnt(0)
	v_cvt_f16_i16_e32 v7, v7
	s_branch .LBB55_645
.LBB55_644:
	s_mov_b64 s[0:1], -1
                                        ; implicit-def: $vgpr7
.LBB55_645:
	s_andn2_b64 vcc, exec, s[0:1]
	s_cbranch_vccnz .LBB55_647
; %bb.646:
	global_load_ubyte v0, v[0:1], off
	s_waitcnt vmcnt(0)
	v_cvt_f16_u16_e32 v7, v0
.LBB55_647:
	s_mov_b64 s[0:1], -1
.LBB55_648:
	s_andn2_b64 vcc, exec, s[0:1]
	s_cbranch_vccnz .LBB55_656
; %bb.649:
	s_waitcnt vmcnt(0)
	v_mul_f16_e32 v0, v6, v7
	v_cmp_lt_f16_e32 vcc, 0, v6
	v_cndmask_b32_e32 v6, v0, v6, vcc
	v_mul_lo_u32 v0, v3, s12
	v_ashrrev_i32_e32 v1, 31, v0
	v_mov_b32_e32 v7, s9
	v_add_co_u32_e32 v0, vcc, s8, v0
	v_addc_co_u32_e32 v1, vcc, v7, v1, vcc
	v_mov_b32_e32 v7, 11
	v_cmp_lt_i16_sdwa s[0:1], v2, v7 src0_sel:BYTE_0 src1_sel:DWORD
	s_and_b64 vcc, exec, s[0:1]
	s_cbranch_vccnz .LBB55_657
; %bb.650:
	v_mov_b32_e32 v7, 25
	v_cmp_gt_i16_sdwa s[0:1], v2, v7 src0_sel:BYTE_0 src1_sel:DWORD
	s_and_b64 vcc, exec, s[0:1]
	s_cbranch_vccz .LBB55_658
; %bb.651:
	v_mov_b32_e32 v7, 28
	v_cmp_gt_i16_sdwa s[0:1], v2, v7 src0_sel:BYTE_0 src1_sel:DWORD
	s_and_b64 vcc, exec, s[0:1]
	s_cbranch_vccz .LBB55_659
	;; [unrolled: 5-line block ×4, first 2 shown]
; %bb.654:
	v_mov_b32_e32 v7, 46
	v_cmp_eq_u16_sdwa s[28:29], v2, v7 src0_sel:BYTE_0 src1_sel:DWORD
	s_mov_b64 s[34:35], 0
	s_mov_b64 s[0:1], -1
	s_and_b64 vcc, exec, s[28:29]
	s_mov_b64 s[28:29], 0
	s_cbranch_vccz .LBB55_662
; %bb.655:
	v_cvt_f32_f16_e32 v7, v6
	s_movk_i32 s0, 0x7fff
	v_mov_b32_e32 v8, 0x7fc0
	v_cmp_o_f16_e32 vcc, v6, v6
	v_bfe_u32 v9, v7, 16, 1
	v_add3_u32 v7, v7, v9, s0
	v_lshrrev_b32_e32 v7, 16, v7
	v_cndmask_b32_e32 v7, v8, v7, vcc
	global_store_dword v[0:1], v7, off
	s_mov_b64 s[28:29], -1
	s_mov_b64 s[0:1], 0
	s_branch .LBB55_662
.LBB55_656:
	s_mov_b64 s[34:35], 0
                                        ; implicit-def: $vgpr3
	s_mov_b64 s[0:1], s[6:7]
	s_branch .LBB55_772
.LBB55_657:
	s_mov_b64 s[34:35], -1
	s_mov_b64 s[28:29], 0
	s_mov_b64 s[0:1], s[6:7]
	s_branch .LBB55_731
.LBB55_658:
	s_mov_b64 s[34:35], -1
	s_mov_b64 s[28:29], 0
	s_mov_b64 s[0:1], s[6:7]
	s_branch .LBB55_689
.LBB55_659:
	s_mov_b64 s[34:35], -1
	s_mov_b64 s[28:29], 0
	s_mov_b64 s[0:1], s[6:7]
	s_branch .LBB55_672
.LBB55_660:
	s_mov_b64 s[34:35], -1
	s_mov_b64 s[28:29], 0
	s_mov_b64 s[0:1], s[6:7]
	s_branch .LBB55_668
.LBB55_661:
	s_mov_b64 s[34:35], -1
	s_mov_b64 s[28:29], 0
	s_mov_b64 s[0:1], s[6:7]
.LBB55_662:
	s_and_b64 vcc, exec, s[34:35]
	s_cbranch_vccz .LBB55_667
; %bb.663:
	v_mov_b32_e32 v7, 44
	v_cmp_eq_u16_sdwa s[34:35], v2, v7 src0_sel:BYTE_0 src1_sel:DWORD
	s_mov_b64 s[0:1], -1
	s_and_b64 vcc, exec, s[34:35]
	s_cbranch_vccz .LBB55_667
; %bb.664:
	v_cvt_f32_f16_e32 v7, v6
	s_movk_i32 s0, 0xff
	v_mov_b32_e32 v9, 0xff
	v_bfe_u32 v8, v7, 23, 8
	v_cmp_ne_u32_e32 vcc, s0, v8
	s_and_saveexec_b64 s[28:29], vcc
; %bb.665:
	s_mov_b32 s0, 0x3fffff
	v_lshrrev_b32_e32 v9, 23, v7
	v_and_b32_e32 v10, 0x400000, v7
	v_and_or_b32 v7, v7, s0, v8
	v_cmp_ne_u32_e32 vcc, 0, v10
	v_cmp_ne_u32_e64 s[0:1], 0, v7
	s_and_b64 s[0:1], vcc, s[0:1]
	v_cndmask_b32_e64 v7, 0, 1, s[0:1]
	v_add_u32_e32 v9, v9, v7
; %bb.666:
	s_or_b64 exec, exec, s[28:29]
	s_mov_b64 s[28:29], -1
	s_mov_b64 s[0:1], 0
	global_store_byte v[0:1], v9, off
.LBB55_667:
	s_mov_b64 s[34:35], 0
.LBB55_668:
	s_and_b64 vcc, exec, s[34:35]
	s_cbranch_vccz .LBB55_671
; %bb.669:
	v_mov_b32_e32 v7, 29
	v_cmp_eq_u16_sdwa s[34:35], v2, v7 src0_sel:BYTE_0 src1_sel:DWORD
	s_mov_b64 s[0:1], -1
	s_and_b64 vcc, exec, s[34:35]
	s_cbranch_vccz .LBB55_671
; %bb.670:
	v_cvt_f32_f16_e32 v7, v6
	v_mov_b32_e32 v9, 0
	s_mov_b64 s[28:29], -1
	s_mov_b64 s[0:1], 0
	v_cvt_u32_f32_e32 v8, v7
	s_mov_b64 s[34:35], 0
	global_store_dwordx2 v[0:1], v[8:9], off
	s_branch .LBB55_672
.LBB55_671:
	s_mov_b64 s[34:35], 0
.LBB55_672:
	s_and_b64 vcc, exec, s[34:35]
	s_cbranch_vccz .LBB55_688
; %bb.673:
	v_mov_b32_e32 v7, 27
	v_cmp_lt_i16_sdwa s[34:35], v2, v7 src0_sel:BYTE_0 src1_sel:DWORD
	s_mov_b64 s[28:29], -1
	s_and_b64 vcc, exec, s[34:35]
	s_cbranch_vccnz .LBB55_679
; %bb.674:
	v_cmp_gt_i16_sdwa s[34:35], v2, v7 src0_sel:BYTE_0 src1_sel:DWORD
	s_and_b64 vcc, exec, s[34:35]
	s_cbranch_vccz .LBB55_676
; %bb.675:
	v_cvt_f32_f16_e32 v7, v6
	s_mov_b64 s[28:29], 0
	v_cvt_u32_f32_e32 v7, v7
	global_store_dword v[0:1], v7, off
.LBB55_676:
	s_andn2_b64 vcc, exec, s[28:29]
	s_cbranch_vccnz .LBB55_678
; %bb.677:
	v_cvt_u16_f16_e32 v7, v6
	global_store_short v[0:1], v7, off
.LBB55_678:
	s_mov_b64 s[28:29], 0
.LBB55_679:
	s_andn2_b64 vcc, exec, s[28:29]
	s_cbranch_vccnz .LBB55_687
; %bb.680:
	v_cvt_f32_f16_e32 v7, v6
	s_mov_b32 s15, 0x43800000
	v_mov_b32_e32 v9, 0x80
	v_and_b32_e32 v8, 0x7fffffff, v7
	v_cmp_gt_u32_e32 vcc, s15, v8
	s_and_saveexec_b64 s[28:29], vcc
	s_cbranch_execz .LBB55_686
; %bb.681:
	s_mov_b32 s15, 0x3bffffff
	v_cmp_lt_u32_e32 vcc, s15, v8
	s_mov_b64 s[34:35], 0
                                        ; implicit-def: $vgpr8
	s_and_saveexec_b64 s[36:37], vcc
	s_xor_b64 s[36:37], exec, s[36:37]
	s_cbranch_execz .LBB55_788
; %bb.682:
	v_bfe_u32 v8, v7, 20, 1
	s_mov_b32 s15, 0x487ffff
	v_add3_u32 v8, v7, v8, s15
	s_mov_b64 s[34:35], exec
	v_lshrrev_b32_e32 v8, 20, v8
	s_or_saveexec_b64 s[36:37], s[36:37]
                                        ; implicit-def: $sgpr15
	s_xor_b64 exec, exec, s[36:37]
	s_cbranch_execnz .LBB55_789
.LBB55_683:
	s_or_b64 exec, exec, s[36:37]
	v_mov_b32_e32 v9, s15
	s_and_saveexec_b64 s[36:37], s[34:35]
.LBB55_684:
	v_lshrrev_b32_e32 v7, 24, v7
	s_movk_i32 s15, 0x80
	v_and_or_b32 v9, v7, s15, v8
.LBB55_685:
	s_or_b64 exec, exec, s[36:37]
.LBB55_686:
	s_or_b64 exec, exec, s[28:29]
	global_store_byte v[0:1], v9, off
.LBB55_687:
	s_mov_b64 s[28:29], -1
.LBB55_688:
	s_mov_b64 s[34:35], 0
.LBB55_689:
	s_and_b64 vcc, exec, s[34:35]
	s_cbranch_vccz .LBB55_730
; %bb.690:
	v_mov_b32_e32 v7, 22
	v_cmp_gt_i16_sdwa s[36:37], v2, v7 src0_sel:BYTE_0 src1_sel:DWORD
	s_mov_b64 s[34:35], -1
	s_and_b64 vcc, exec, s[36:37]
	s_cbranch_vccz .LBB55_722
; %bb.691:
	v_mov_b32_e32 v7, 24
	v_cmp_lt_i16_sdwa s[34:35], v2, v7 src0_sel:BYTE_0 src1_sel:DWORD
	s_mov_b64 s[28:29], -1
	s_and_b64 vcc, exec, s[34:35]
	s_cbranch_vccnz .LBB55_711
; %bb.692:
	v_cmp_gt_i16_sdwa s[34:35], v2, v7 src0_sel:BYTE_0 src1_sel:DWORD
	s_and_b64 vcc, exec, s[34:35]
	s_cbranch_vccz .LBB55_700
; %bb.693:
	v_cvt_f32_f16_e32 v7, v6
	s_mov_b32 s15, 0x47800000
	v_mov_b32_e32 v9, 0x80
	v_and_b32_e32 v8, 0x7fffffff, v7
	v_cmp_gt_u32_e32 vcc, s15, v8
	s_and_saveexec_b64 s[28:29], vcc
	s_cbranch_execz .LBB55_699
; %bb.694:
	s_mov_b32 s15, 0x37ffffff
	v_cmp_lt_u32_e32 vcc, s15, v8
	s_mov_b64 s[34:35], 0
                                        ; implicit-def: $vgpr8
	s_and_saveexec_b64 s[36:37], vcc
	s_xor_b64 s[36:37], exec, s[36:37]
	s_cbranch_execz .LBB55_920
; %bb.695:
	v_bfe_u32 v8, v7, 21, 1
	s_mov_b32 s15, 0x88fffff
	v_add3_u32 v8, v7, v8, s15
	s_mov_b64 s[34:35], exec
	v_lshrrev_b32_e32 v8, 21, v8
	s_or_saveexec_b64 s[36:37], s[36:37]
                                        ; implicit-def: $sgpr15
	s_xor_b64 exec, exec, s[36:37]
	s_cbranch_execnz .LBB55_921
.LBB55_696:
	s_or_b64 exec, exec, s[36:37]
	v_mov_b32_e32 v9, s15
	s_and_saveexec_b64 s[36:37], s[34:35]
.LBB55_697:
	v_lshrrev_b32_e32 v7, 24, v7
	s_movk_i32 s15, 0x80
	v_and_or_b32 v9, v7, s15, v8
.LBB55_698:
	s_or_b64 exec, exec, s[36:37]
.LBB55_699:
	s_or_b64 exec, exec, s[28:29]
	s_mov_b64 s[28:29], 0
	global_store_byte v[0:1], v9, off
.LBB55_700:
	s_and_b64 vcc, exec, s[28:29]
	s_cbranch_vccz .LBB55_710
; %bb.701:
	v_cvt_f32_f16_e32 v7, v6
	s_mov_b32 s15, 0x43f00000
                                        ; implicit-def: $vgpr8
	v_and_b32_e32 v9, 0x7fffffff, v7
	v_cmp_gt_u32_e32 vcc, s15, v9
	s_and_saveexec_b64 s[28:29], vcc
	s_xor_b64 s[28:29], exec, s[28:29]
	s_cbranch_execz .LBB55_707
; %bb.702:
	s_mov_b32 s15, 0x3c7fffff
	v_cmp_lt_u32_e32 vcc, s15, v9
                                        ; implicit-def: $vgpr8
	s_and_saveexec_b64 s[34:35], vcc
	s_xor_b64 s[34:35], exec, s[34:35]
; %bb.703:
	v_bfe_u32 v8, v7, 20, 1
	s_mov_b32 s15, 0x407ffff
	v_add3_u32 v8, v7, v8, s15
	v_lshrrev_b32_e32 v9, 20, v8
	v_and_b32_e32 v8, 0xff00000, v8
	s_mov_b32 s15, 0x7f00000
	v_mov_b32_e32 v10, 0x7e
	v_cmp_ne_u32_e32 vcc, s15, v8
	v_cndmask_b32_e32 v8, v10, v9, vcc
; %bb.704:
	s_andn2_saveexec_b64 s[34:35], s[34:35]
; %bb.705:
	s_mov_b32 s15, 0x46800000
	v_add_f32_e64 v8, |v7|, s15
; %bb.706:
	s_or_b64 exec, exec, s[34:35]
                                        ; implicit-def: $vgpr9
.LBB55_707:
	s_andn2_saveexec_b64 s[28:29], s[28:29]
; %bb.708:
	s_mov_b32 s15, 0x7f800000
	v_mov_b32_e32 v8, 0x7e
	v_mov_b32_e32 v10, 0x7f
	v_cmp_lt_u32_e32 vcc, s15, v9
	v_cndmask_b32_e32 v8, v8, v10, vcc
; %bb.709:
	s_or_b64 exec, exec, s[28:29]
	v_lshrrev_b32_e32 v7, 24, v7
	s_movk_i32 s15, 0x80
	v_and_or_b32 v7, v7, s15, v8
	global_store_byte v[0:1], v7, off
.LBB55_710:
	s_mov_b64 s[28:29], 0
.LBB55_711:
	s_andn2_b64 vcc, exec, s[28:29]
	s_cbranch_vccnz .LBB55_721
; %bb.712:
	v_cvt_f32_f16_e32 v7, v6
	s_mov_b32 s15, 0x47800000
                                        ; implicit-def: $vgpr8
	v_and_b32_e32 v9, 0x7fffffff, v7
	v_cmp_gt_u32_e32 vcc, s15, v9
	s_and_saveexec_b64 s[28:29], vcc
	s_xor_b64 s[28:29], exec, s[28:29]
	s_cbranch_execz .LBB55_718
; %bb.713:
	s_mov_b32 s15, 0x387fffff
	v_cmp_lt_u32_e32 vcc, s15, v9
                                        ; implicit-def: $vgpr8
	s_and_saveexec_b64 s[34:35], vcc
	s_xor_b64 s[34:35], exec, s[34:35]
; %bb.714:
	v_bfe_u32 v8, v7, 21, 1
	s_mov_b32 s15, 0x80fffff
	v_add3_u32 v8, v7, v8, s15
	v_lshrrev_b32_e32 v8, 21, v8
; %bb.715:
	s_andn2_saveexec_b64 s[34:35], s[34:35]
; %bb.716:
	s_mov_b32 s15, 0x43000000
	v_add_f32_e64 v8, |v7|, s15
; %bb.717:
	s_or_b64 exec, exec, s[34:35]
                                        ; implicit-def: $vgpr9
.LBB55_718:
	s_andn2_saveexec_b64 s[28:29], s[28:29]
; %bb.719:
	s_mov_b32 s15, 0x7f800000
	v_mov_b32_e32 v8, 0x7c
	v_mov_b32_e32 v10, 0x7f
	v_cmp_lt_u32_e32 vcc, s15, v9
	v_cndmask_b32_e32 v8, v8, v10, vcc
; %bb.720:
	s_or_b64 exec, exec, s[28:29]
	v_lshrrev_b32_e32 v7, 24, v7
	s_movk_i32 s15, 0x80
	v_and_or_b32 v7, v7, s15, v8
	global_store_byte v[0:1], v7, off
.LBB55_721:
	s_mov_b64 s[34:35], 0
	s_mov_b64 s[28:29], -1
.LBB55_722:
	s_andn2_b64 vcc, exec, s[34:35]
	s_cbranch_vccnz .LBB55_730
; %bb.723:
	v_mov_b32_e32 v7, 14
	v_cmp_gt_i16_sdwa s[36:37], v2, v7 src0_sel:BYTE_0 src1_sel:DWORD
	s_mov_b64 s[34:35], -1
	s_and_b64 vcc, exec, s[36:37]
	s_cbranch_vccz .LBB55_727
; %bb.724:
	v_mov_b32_e32 v7, 15
	v_cmp_eq_u16_sdwa s[34:35], v2, v7 src0_sel:BYTE_0 src1_sel:DWORD
	s_mov_b64 s[0:1], -1
	s_and_b64 vcc, exec, s[34:35]
	s_cbranch_vccz .LBB55_726
; %bb.725:
	v_cvt_f32_f16_e32 v7, v6
	s_movk_i32 s0, 0x7fff
	v_mov_b32_e32 v8, 0x7fc0
	v_cmp_o_f16_e32 vcc, v6, v6
	v_bfe_u32 v9, v7, 16, 1
	v_add3_u32 v7, v7, v9, s0
	v_lshrrev_b32_e32 v7, 16, v7
	v_cndmask_b32_e32 v7, v8, v7, vcc
	global_store_short v[0:1], v7, off
	s_mov_b64 s[28:29], -1
	s_mov_b64 s[0:1], 0
.LBB55_726:
	s_mov_b64 s[34:35], 0
.LBB55_727:
	s_and_b64 vcc, exec, s[34:35]
	s_cbranch_vccz .LBB55_730
; %bb.728:
	v_mov_b32_e32 v7, 11
	v_cmp_eq_u16_sdwa s[34:35], v2, v7 src0_sel:BYTE_0 src1_sel:DWORD
	s_mov_b64 s[0:1], -1
	s_and_b64 vcc, exec, s[34:35]
	s_cbranch_vccz .LBB55_730
; %bb.729:
	v_and_b32_e32 v7, 0x7fff, v6
	v_cmp_ne_u16_e32 vcc, 0, v7
	v_cndmask_b32_e64 v7, 0, 1, vcc
	s_mov_b64 s[28:29], -1
	s_mov_b64 s[0:1], 0
	global_store_byte v[0:1], v7, off
.LBB55_730:
	s_mov_b64 s[34:35], 0
.LBB55_731:
	s_and_b64 vcc, exec, s[34:35]
	s_cbranch_vccz .LBB55_770
; %bb.732:
	v_mov_b32_e32 v7, 5
	v_cmp_lt_i16_sdwa s[34:35], v2, v7 src0_sel:BYTE_0 src1_sel:DWORD
	s_mov_b64 s[28:29], -1
	s_and_b64 vcc, exec, s[34:35]
	s_cbranch_vccnz .LBB55_753
; %bb.733:
	v_mov_b32_e32 v7, 8
	v_cmp_lt_i16_sdwa s[34:35], v2, v7 src0_sel:BYTE_0 src1_sel:DWORD
	s_and_b64 vcc, exec, s[34:35]
	s_cbranch_vccnz .LBB55_743
; %bb.734:
	v_mov_b32_e32 v7, 9
	v_cmp_lt_i16_sdwa s[34:35], v2, v7 src0_sel:BYTE_0 src1_sel:DWORD
	s_and_b64 vcc, exec, s[34:35]
	s_cbranch_vccnz .LBB55_740
; %bb.735:
	v_cmp_gt_i16_sdwa s[34:35], v2, v7 src0_sel:BYTE_0 src1_sel:DWORD
	s_and_b64 vcc, exec, s[34:35]
	s_cbranch_vccz .LBB55_737
; %bb.736:
	v_cvt_f32_f16_e32 v7, v6
	v_mov_b32_e32 v10, 0
	v_mov_b32_e32 v11, v10
	s_mov_b64 s[28:29], 0
	v_cvt_f64_f32_e32 v[8:9], v7
	global_store_dwordx4 v[0:1], v[8:11], off
.LBB55_737:
	s_andn2_b64 vcc, exec, s[28:29]
	s_cbranch_vccnz .LBB55_739
; %bb.738:
	v_cvt_f32_f16_e32 v8, v6
	v_mov_b32_e32 v9, 0
	global_store_dwordx2 v[0:1], v[8:9], off
.LBB55_739:
	s_mov_b64 s[28:29], 0
.LBB55_740:
	s_andn2_b64 vcc, exec, s[28:29]
	s_cbranch_vccnz .LBB55_742
; %bb.741:
	v_and_b32_e32 v7, 0xffff, v6
	global_store_dword v[0:1], v7, off
.LBB55_742:
	s_mov_b64 s[28:29], 0
.LBB55_743:
	s_andn2_b64 vcc, exec, s[28:29]
	s_cbranch_vccnz .LBB55_752
; %bb.744:
	v_mov_b32_e32 v7, 6
	v_cmp_lt_i16_sdwa s[34:35], v2, v7 src0_sel:BYTE_0 src1_sel:DWORD
	s_mov_b64 s[28:29], -1
	s_and_b64 vcc, exec, s[34:35]
	s_cbranch_vccnz .LBB55_750
; %bb.745:
	v_cmp_gt_i16_sdwa s[34:35], v2, v7 src0_sel:BYTE_0 src1_sel:DWORD
	s_and_b64 vcc, exec, s[34:35]
	s_cbranch_vccz .LBB55_747
; %bb.746:
	v_cvt_f32_f16_e32 v7, v6
	s_mov_b64 s[28:29], 0
	v_cvt_f64_f32_e32 v[8:9], v7
	global_store_dwordx2 v[0:1], v[8:9], off
.LBB55_747:
	s_andn2_b64 vcc, exec, s[28:29]
	s_cbranch_vccnz .LBB55_749
; %bb.748:
	v_cvt_f32_f16_e32 v7, v6
	global_store_dword v[0:1], v7, off
.LBB55_749:
	s_mov_b64 s[28:29], 0
.LBB55_750:
	s_andn2_b64 vcc, exec, s[28:29]
	s_cbranch_vccnz .LBB55_752
; %bb.751:
	global_store_short v[0:1], v6, off
.LBB55_752:
	s_mov_b64 s[28:29], 0
.LBB55_753:
	s_andn2_b64 vcc, exec, s[28:29]
	s_cbranch_vccnz .LBB55_769
; %bb.754:
	v_mov_b32_e32 v7, 2
	v_cmp_lt_i16_sdwa s[34:35], v2, v7 src0_sel:BYTE_0 src1_sel:DWORD
	s_mov_b64 s[28:29], -1
	s_and_b64 vcc, exec, s[34:35]
	s_cbranch_vccnz .LBB55_764
; %bb.755:
	v_mov_b32_e32 v7, 3
	v_cmp_lt_i16_sdwa s[34:35], v2, v7 src0_sel:BYTE_0 src1_sel:DWORD
	s_and_b64 vcc, exec, s[34:35]
	s_cbranch_vccnz .LBB55_761
; %bb.756:
	v_cmp_gt_i16_sdwa s[34:35], v2, v7 src0_sel:BYTE_0 src1_sel:DWORD
	s_and_b64 vcc, exec, s[34:35]
	s_cbranch_vccz .LBB55_758
; %bb.757:
	v_cvt_f32_f16_e32 v7, v6
	s_mov_b64 s[28:29], 0
	v_cvt_i32_f32_e32 v8, v7
	v_ashrrev_i32_e32 v9, 31, v8
	global_store_dwordx2 v[0:1], v[8:9], off
.LBB55_758:
	s_andn2_b64 vcc, exec, s[28:29]
	s_cbranch_vccnz .LBB55_760
; %bb.759:
	v_cvt_f32_f16_e32 v7, v6
	v_cvt_i32_f32_e32 v7, v7
	global_store_dword v[0:1], v7, off
.LBB55_760:
	s_mov_b64 s[28:29], 0
.LBB55_761:
	s_andn2_b64 vcc, exec, s[28:29]
	s_cbranch_vccnz .LBB55_763
; %bb.762:
	v_cvt_i16_f16_e32 v7, v6
	global_store_short v[0:1], v7, off
.LBB55_763:
	s_mov_b64 s[28:29], 0
.LBB55_764:
	s_andn2_b64 vcc, exec, s[28:29]
	s_cbranch_vccnz .LBB55_769
; %bb.765:
	v_mov_b32_e32 v7, 0
	v_cmp_gt_i16_sdwa s[34:35], v2, v7 src0_sel:BYTE_0 src1_sel:DWORD
	s_mov_b64 s[28:29], -1
	s_and_b64 vcc, exec, s[34:35]
	s_cbranch_vccz .LBB55_767
; %bb.766:
	v_cvt_i16_f16_e32 v7, v6
	s_mov_b64 s[28:29], 0
	global_store_byte v[0:1], v7, off
.LBB55_767:
	s_andn2_b64 vcc, exec, s[28:29]
	s_cbranch_vccnz .LBB55_769
; %bb.768:
	v_cvt_f32_f16_e32 v6, v6
	v_cvt_i32_f32_e32 v6, v6
	global_store_byte v[0:1], v6, off
.LBB55_769:
	s_mov_b64 s[28:29], -1
.LBB55_770:
	s_andn2_b64 vcc, exec, s[28:29]
	s_cbranch_vccnz .LBB55_783
; %bb.771:
	v_add_u32_e32 v3, 0x80, v3
	s_mov_b64 s[34:35], -1
.LBB55_772:
	s_andn2_b64 s[28:29], s[6:7], exec
	s_and_b64 s[0:1], s[0:1], exec
	s_or_b64 s[28:29], s[28:29], s[0:1]
	s_andn2_b64 s[0:1], s[18:19], exec
	s_and_b64 s[26:27], s[26:27], exec
	s_or_b64 s[26:27], s[0:1], s[26:27]
	;; [unrolled: 3-line block ×3, first 2 shown]
	s_orn2_b64 s[0:1], s[34:35], exec
.LBB55_773:
	s_or_b64 exec, exec, s[30:31]
	s_mov_b64 s[34:35], 0
	s_mov_b64 s[36:37], 0
	;; [unrolled: 1-line block ×3, first 2 shown]
                                        ; implicit-def: $vgpr7
                                        ; implicit-def: $vgpr0_vgpr1
                                        ; implicit-def: $vgpr6
	s_and_saveexec_b64 s[30:31], s[0:1]
	s_cbranch_execz .LBB55_1247
; %bb.774:
	v_cmp_gt_i32_e32 vcc, s33, v3
	s_mov_b64 s[46:47], -1
	s_mov_b64 s[0:1], s[24:25]
	s_mov_b64 s[38:39], s[26:27]
	;; [unrolled: 1-line block ×3, first 2 shown]
	s_and_saveexec_b64 s[34:35], vcc
	s_cbranch_execz .LBB55_1162
; %bb.775:
	v_mul_lo_u32 v0, v3, s13
	v_ashrrev_i32_e32 v1, 31, v0
	s_waitcnt vmcnt(0)
	v_mov_b32_e32 v6, s11
	v_add_co_u32_e32 v0, vcc, s10, v0
	v_addc_co_u32_e32 v1, vcc, v6, v1, vcc
	v_mov_b32_e32 v6, 11
	v_cmp_lt_i16_sdwa s[0:1], v5, v6 src0_sel:BYTE_0 src1_sel:DWORD
	s_and_b64 vcc, exec, s[0:1]
	s_cbranch_vccnz .LBB55_782
; %bb.776:
	v_mov_b32_e32 v6, 25
	v_cmp_gt_i16_sdwa s[0:1], v5, v6 src0_sel:BYTE_0 src1_sel:DWORD
	s_and_b64 vcc, exec, s[0:1]
	s_cbranch_vccz .LBB55_784
; %bb.777:
	v_mov_b32_e32 v6, 28
	v_cmp_gt_i16_sdwa s[0:1], v5, v6 src0_sel:BYTE_0 src1_sel:DWORD
	s_and_b64 vcc, exec, s[0:1]
	s_cbranch_vccz .LBB55_785
	;; [unrolled: 5-line block ×4, first 2 shown]
; %bb.780:
	v_mov_b32_e32 v6, 46
	v_cmp_eq_u16_sdwa s[0:1], v5, v6 src0_sel:BYTE_0 src1_sel:DWORD
	s_mov_b64 s[38:39], 0
	s_and_b64 vcc, exec, s[0:1]
	s_cbranch_vccz .LBB55_790
; %bb.781:
	global_load_dword v6, v[0:1], off
	s_mov_b64 s[0:1], -1
	s_waitcnt vmcnt(0)
	v_lshlrev_b32_e32 v6, 16, v6
	v_cvt_f16_f32_e32 v6, v6
	s_branch .LBB55_791
.LBB55_782:
	s_mov_b64 s[38:39], -1
	s_mov_b64 s[0:1], 0
                                        ; implicit-def: $vgpr6
	s_mov_b64 s[36:37], s[24:25]
	s_branch .LBB55_856
.LBB55_783:
	s_mov_b64 s[34:35], 0
	s_branch .LBB55_530
.LBB55_784:
	s_mov_b64 s[38:39], -1
	s_mov_b64 s[0:1], 0
	s_mov_b64 s[36:37], s[24:25]
                                        ; implicit-def: $vgpr6
	s_branch .LBB55_820
.LBB55_785:
	s_mov_b64 s[38:39], -1
	s_mov_b64 s[0:1], 0
	s_mov_b64 s[36:37], s[24:25]
                                        ; implicit-def: $vgpr6
	s_branch .LBB55_801
.LBB55_786:
	s_mov_b64 s[38:39], -1
	s_mov_b64 s[0:1], 0
	s_mov_b64 s[36:37], s[24:25]
                                        ; implicit-def: $vgpr6
	s_branch .LBB55_796
.LBB55_787:
	s_mov_b64 s[38:39], -1
	s_mov_b64 s[0:1], 0
	s_mov_b64 s[36:37], s[24:25]
                                        ; implicit-def: $vgpr6
	s_branch .LBB55_791
.LBB55_788:
	s_or_saveexec_b64 s[36:37], s[36:37]
                                        ; implicit-def: $sgpr15
	s_xor_b64 exec, exec, s[36:37]
	s_cbranch_execz .LBB55_683
.LBB55_789:
	s_mov_b32 s15, 0x46000000
	v_add_f32_e64 v8, |v7|, s15
	v_and_b32_e32 v8, 0xff, v8
	v_cmp_ne_u32_e32 vcc, 0, v8
	s_andn2_b64 s[34:35], s[34:35], exec
	s_and_b64 s[38:39], vcc, exec
	s_mov_b32 s15, 0
	s_or_b64 s[34:35], s[34:35], s[38:39]
	s_or_b64 exec, exec, s[36:37]
	v_mov_b32_e32 v9, s15
	s_and_saveexec_b64 s[36:37], s[34:35]
	s_cbranch_execnz .LBB55_684
	s_branch .LBB55_685
.LBB55_790:
	s_mov_b64 s[36:37], -1
                                        ; implicit-def: $vgpr6
	s_mov_b64 s[0:1], 0
.LBB55_791:
	s_and_b64 vcc, exec, s[38:39]
	s_cbranch_vccz .LBB55_795
; %bb.792:
	v_mov_b32_e32 v6, 44
	v_cmp_eq_u16_sdwa s[36:37], v5, v6 src0_sel:BYTE_0 src1_sel:DWORD
	s_and_b64 vcc, exec, s[36:37]
	s_cbranch_vccz .LBB55_794
; %bb.793:
	global_load_ubyte v6, v[0:1], off
	s_movk_i32 s15, 0xff
	v_mov_b32_e32 v8, 0x7e00
	s_mov_b64 s[0:1], -1
	s_mov_b64 s[36:37], 0
	s_waitcnt vmcnt(0)
	v_lshlrev_b32_e32 v7, 23, v6
	v_cvt_f16_f32_e32 v7, v7
	v_cmp_ne_u32_e32 vcc, s15, v6
	v_cndmask_b32_e32 v7, v8, v7, vcc
	v_cmp_ne_u32_e32 vcc, 0, v6
	v_cndmask_b32_e32 v6, 0, v7, vcc
	s_branch .LBB55_795
.LBB55_794:
	s_mov_b64 s[36:37], -1
                                        ; implicit-def: $vgpr6
.LBB55_795:
	s_mov_b64 s[38:39], 0
.LBB55_796:
	s_and_b64 vcc, exec, s[38:39]
	s_cbranch_vccz .LBB55_800
; %bb.797:
	v_mov_b32_e32 v6, 29
	v_cmp_eq_u16_sdwa s[36:37], v5, v6 src0_sel:BYTE_0 src1_sel:DWORD
	s_and_b64 vcc, exec, s[36:37]
	s_cbranch_vccz .LBB55_799
; %bb.798:
	global_load_dwordx2 v[6:7], v[0:1], off
	s_mov_b64 s[0:1], -1
	s_mov_b64 s[36:37], 0
	s_mov_b64 s[38:39], 0
	s_waitcnt vmcnt(0)
	v_ffbh_u32_e32 v8, v7
	v_min_u32_e32 v8, 32, v8
	v_lshlrev_b64 v[6:7], v8, v[6:7]
	v_min_u32_e32 v6, 1, v6
	v_or_b32_e32 v6, v7, v6
	v_cvt_f32_u32_e32 v6, v6
	v_sub_u32_e32 v7, 32, v8
	v_ldexp_f32 v6, v6, v7
	v_cvt_f16_f32_e32 v6, v6
	s_branch .LBB55_801
.LBB55_799:
	s_mov_b64 s[36:37], -1
                                        ; implicit-def: $vgpr6
.LBB55_800:
	s_mov_b64 s[38:39], 0
.LBB55_801:
	s_and_b64 vcc, exec, s[38:39]
	s_cbranch_vccz .LBB55_819
; %bb.802:
	v_mov_b32_e32 v6, 27
	v_cmp_lt_i16_sdwa s[0:1], v5, v6 src0_sel:BYTE_0 src1_sel:DWORD
	s_and_b64 vcc, exec, s[0:1]
	s_cbranch_vccnz .LBB55_805
; %bb.803:
	v_cmp_gt_i16_sdwa s[0:1], v5, v6 src0_sel:BYTE_0 src1_sel:DWORD
	s_and_b64 vcc, exec, s[0:1]
	s_cbranch_vccz .LBB55_806
; %bb.804:
	global_load_dword v6, v[0:1], off
	s_mov_b64 s[0:1], 0
	s_waitcnt vmcnt(0)
	v_cvt_f32_u32_e32 v6, v6
	v_cvt_f16_f32_e32 v6, v6
	s_branch .LBB55_807
.LBB55_805:
	s_mov_b64 s[0:1], -1
                                        ; implicit-def: $vgpr6
	s_branch .LBB55_810
.LBB55_806:
	s_mov_b64 s[0:1], -1
                                        ; implicit-def: $vgpr6
.LBB55_807:
	s_andn2_b64 vcc, exec, s[0:1]
	s_cbranch_vccnz .LBB55_809
; %bb.808:
	global_load_ushort v6, v[0:1], off
	s_waitcnt vmcnt(0)
	v_cvt_f16_u16_e32 v6, v6
.LBB55_809:
	s_mov_b64 s[0:1], 0
.LBB55_810:
	s_andn2_b64 vcc, exec, s[0:1]
	s_cbranch_vccnz .LBB55_818
; %bb.811:
	global_load_ubyte v7, v[0:1], off
	s_movk_i32 s0, 0x7f
                                        ; implicit-def: $sgpr15
	s_waitcnt vmcnt(0)
	v_cmp_lt_i16_e32 vcc, s0, v7
	s_mov_b64 s[0:1], 0
	s_and_saveexec_b64 s[38:39], vcc
	s_xor_b64 s[38:39], exec, s[38:39]
	s_cbranch_execz .LBB55_832
; %bb.812:
	s_movk_i32 s0, 0x80
	v_cmp_eq_u16_e32 vcc, s0, v7
	s_mov_b64 s[0:1], -1
                                        ; implicit-def: $sgpr15
	s_and_saveexec_b64 s[40:41], vcc
; %bb.813:
	s_movk_i32 s15, 0x7e00
	s_xor_b64 s[0:1], exec, -1
; %bb.814:
	s_or_b64 exec, exec, s[40:41]
	s_and_b64 s[0:1], s[0:1], exec
	s_or_saveexec_b64 s[38:39], s[38:39]
	v_mov_b32_e32 v6, s15
	s_xor_b64 exec, exec, s[38:39]
	s_cbranch_execnz .LBB55_833
.LBB55_815:
	s_or_b64 exec, exec, s[38:39]
	s_and_saveexec_b64 s[38:39], s[0:1]
	s_cbranch_execz .LBB55_817
.LBB55_816:
	v_lshlrev_b32_e32 v6, 24, v7
	v_and_b32_e32 v7, 0xffff, v7
	v_and_b32_e32 v8, 7, v7
	v_ffbh_u32_e32 v10, v8
	v_min_u32_e32 v10, 32, v10
	v_subrev_u32_e32 v11, 28, v10
	v_bfe_u32 v9, v7, 3, 4
	v_lshlrev_b32_e32 v7, v11, v7
	v_sub_u32_e32 v10, 29, v10
	v_and_b32_e32 v7, 7, v7
	v_cmp_eq_u32_e32 vcc, 0, v9
	v_cndmask_b32_e32 v9, v9, v10, vcc
	v_cndmask_b32_e32 v7, v8, v7, vcc
	v_mov_b32_e32 v8, 0x3b800000
	v_lshlrev_b32_e32 v7, 20, v7
	v_and_b32_e32 v6, 0x80000000, v6
	v_lshl_add_u32 v8, v9, 23, v8
	v_or3_b32 v6, v6, v8, v7
	v_cvt_f16_f32_e32 v6, v6
.LBB55_817:
	s_or_b64 exec, exec, s[38:39]
.LBB55_818:
	s_mov_b64 s[0:1], -1
.LBB55_819:
	s_mov_b64 s[38:39], 0
.LBB55_820:
	s_and_b64 vcc, exec, s[38:39]
	s_cbranch_vccz .LBB55_855
; %bb.821:
	v_mov_b32_e32 v6, 22
	v_cmp_gt_i16_sdwa s[38:39], v5, v6 src0_sel:BYTE_0 src1_sel:DWORD
	s_and_b64 vcc, exec, s[38:39]
	s_cbranch_vccz .LBB55_831
; %bb.822:
	v_mov_b32_e32 v6, 24
	v_cmp_lt_i16_sdwa s[0:1], v5, v6 src0_sel:BYTE_0 src1_sel:DWORD
	s_and_b64 vcc, exec, s[0:1]
	s_cbranch_vccnz .LBB55_834
; %bb.823:
	v_cmp_gt_i16_sdwa s[0:1], v5, v6 src0_sel:BYTE_0 src1_sel:DWORD
	s_and_b64 vcc, exec, s[0:1]
	s_cbranch_vccz .LBB55_835
; %bb.824:
	global_load_ubyte v7, v[0:1], off
	s_movk_i32 s0, 0x7f
                                        ; implicit-def: $sgpr15
	s_waitcnt vmcnt(0)
	v_cmp_lt_i16_e32 vcc, s0, v7
	s_mov_b64 s[0:1], 0
	s_and_saveexec_b64 s[38:39], vcc
	s_xor_b64 s[38:39], exec, s[38:39]
	s_cbranch_execz .LBB55_847
; %bb.825:
	s_movk_i32 s0, 0x80
	v_cmp_eq_u16_e32 vcc, s0, v7
	s_mov_b64 s[0:1], -1
                                        ; implicit-def: $sgpr15
	s_and_saveexec_b64 s[40:41], vcc
; %bb.826:
	s_movk_i32 s15, 0x7e00
	s_xor_b64 s[0:1], exec, -1
; %bb.827:
	s_or_b64 exec, exec, s[40:41]
	s_and_b64 s[0:1], s[0:1], exec
	s_or_saveexec_b64 s[38:39], s[38:39]
	v_mov_b32_e32 v6, s15
	s_xor_b64 exec, exec, s[38:39]
	s_cbranch_execnz .LBB55_848
.LBB55_828:
	s_or_b64 exec, exec, s[38:39]
	s_and_saveexec_b64 s[38:39], s[0:1]
	s_cbranch_execz .LBB55_830
.LBB55_829:
	v_lshlrev_b32_e32 v6, 24, v7
	v_and_b32_e32 v7, 0xffff, v7
	v_and_b32_e32 v8, 3, v7
	v_ffbh_u32_e32 v10, v8
	v_min_u32_e32 v10, 32, v10
	v_subrev_u32_e32 v11, 29, v10
	v_bfe_u32 v9, v7, 2, 5
	v_lshlrev_b32_e32 v7, v11, v7
	v_sub_u32_e32 v10, 30, v10
	v_and_b32_e32 v7, 3, v7
	v_cmp_eq_u32_e32 vcc, 0, v9
	v_cndmask_b32_e32 v9, v9, v10, vcc
	v_cndmask_b32_e32 v7, v8, v7, vcc
	v_mov_b32_e32 v8, 0x37800000
	v_lshlrev_b32_e32 v7, 21, v7
	v_and_b32_e32 v6, 0x80000000, v6
	v_lshl_add_u32 v8, v9, 23, v8
	v_or3_b32 v6, v6, v8, v7
	v_cvt_f16_f32_e32 v6, v6
.LBB55_830:
	s_or_b64 exec, exec, s[38:39]
	s_mov_b64 s[0:1], 0
	s_branch .LBB55_836
.LBB55_831:
	s_mov_b64 s[38:39], -1
                                        ; implicit-def: $vgpr6
	s_branch .LBB55_842
.LBB55_832:
	s_or_saveexec_b64 s[38:39], s[38:39]
	v_mov_b32_e32 v6, s15
	s_xor_b64 exec, exec, s[38:39]
	s_cbranch_execz .LBB55_815
.LBB55_833:
	v_cmp_ne_u16_e32 vcc, 0, v7
	s_andn2_b64 s[0:1], s[0:1], exec
	s_and_b64 s[40:41], vcc, exec
	s_or_b64 s[0:1], s[0:1], s[40:41]
	v_mov_b32_e32 v6, v7
	s_or_b64 exec, exec, s[38:39]
	s_and_saveexec_b64 s[38:39], s[0:1]
	s_cbranch_execnz .LBB55_816
	s_branch .LBB55_817
.LBB55_834:
	s_mov_b64 s[0:1], -1
                                        ; implicit-def: $vgpr6
	s_branch .LBB55_839
.LBB55_835:
	s_mov_b64 s[0:1], -1
                                        ; implicit-def: $vgpr6
.LBB55_836:
	s_and_b64 vcc, exec, s[0:1]
	s_cbranch_vccz .LBB55_838
; %bb.837:
	global_load_ubyte v6, v[0:1], off
	s_mov_b32 s0, 0x7f800000
	s_waitcnt vmcnt(0)
	v_lshlrev_b32_e32 v6, 24, v6
	v_and_b32_e32 v7, 0x7f000000, v6
	v_ffbh_u32_e32 v8, v7
	v_min_u32_e32 v8, 32, v8
	v_sub_u32_e64 v8, v8, 4 clamp
	v_lshlrev_b32_e32 v10, v8, v7
	v_lshlrev_b32_e32 v8, 23, v8
	v_lshrrev_b32_e32 v10, 4, v10
	v_add_u32_e32 v9, 0x1000000, v7
	v_sub_u32_e32 v8, v10, v8
	v_ashrrev_i32_e32 v9, 8, v9
	v_add_u32_e32 v8, 0x3c000000, v8
	v_and_or_b32 v8, v9, s0, v8
	v_cmp_ne_u32_e32 vcc, 0, v7
	v_cndmask_b32_e32 v7, 0, v8, vcc
	s_brev_b32 s0, 1
	v_and_or_b32 v6, v6, s0, v7
	v_cvt_f16_f32_e32 v6, v6
.LBB55_838:
	s_mov_b64 s[0:1], 0
.LBB55_839:
	s_andn2_b64 vcc, exec, s[0:1]
	s_cbranch_vccnz .LBB55_841
; %bb.840:
	global_load_ubyte v6, v[0:1], off
	s_movk_i32 s0, 0x7f00
	s_brev_b32 s1, 16
	s_waitcnt vmcnt(0)
	v_lshlrev_b16_e32 v7, 8, v6
	v_lshlrev_b32_e32 v6, 25, v6
	v_lshrrev_b32_e32 v8, 4, v6
	v_and_or_b32 v9, v7, s0, 0.5
	v_or_b32_e32 v8, 0x70000000, v8
	v_add_f32_e32 v9, -0.5, v9
	v_mul_f32_e32 v8, 0x7800000, v8
	v_cmp_gt_u32_e32 vcc, s1, v6
	v_bfe_i32 v7, v7, 0, 16
	v_cndmask_b32_e32 v6, v8, v9, vcc
	s_brev_b32 s0, 1
	v_and_or_b32 v6, v7, s0, v6
	v_cvt_f16_f32_e32 v6, v6
.LBB55_841:
	s_mov_b64 s[38:39], 0
	s_mov_b64 s[0:1], -1
.LBB55_842:
	s_andn2_b64 vcc, exec, s[38:39]
	s_cbranch_vccnz .LBB55_855
; %bb.843:
	v_mov_b32_e32 v6, 14
	v_cmp_gt_i16_sdwa s[38:39], v5, v6 src0_sel:BYTE_0 src1_sel:DWORD
	s_and_b64 vcc, exec, s[38:39]
	s_cbranch_vccz .LBB55_846
; %bb.844:
	v_mov_b32_e32 v6, 15
	v_cmp_eq_u16_sdwa s[36:37], v5, v6 src0_sel:BYTE_0 src1_sel:DWORD
	s_and_b64 vcc, exec, s[36:37]
	s_cbranch_vccz .LBB55_849
; %bb.845:
	global_load_ushort v6, v[0:1], off
	s_mov_b64 s[0:1], -1
	s_mov_b64 s[36:37], 0
	s_waitcnt vmcnt(0)
	v_lshlrev_b32_e32 v6, 16, v6
	v_cvt_f16_f32_e32 v6, v6
	s_branch .LBB55_850
.LBB55_846:
	s_mov_b64 s[38:39], -1
                                        ; implicit-def: $vgpr6
	s_branch .LBB55_851
.LBB55_847:
	s_or_saveexec_b64 s[38:39], s[38:39]
	v_mov_b32_e32 v6, s15
	s_xor_b64 exec, exec, s[38:39]
	s_cbranch_execz .LBB55_828
.LBB55_848:
	v_cmp_ne_u16_e32 vcc, 0, v7
	s_andn2_b64 s[0:1], s[0:1], exec
	s_and_b64 s[40:41], vcc, exec
	s_or_b64 s[0:1], s[0:1], s[40:41]
	v_mov_b32_e32 v6, v7
	s_or_b64 exec, exec, s[38:39]
	s_and_saveexec_b64 s[38:39], s[0:1]
	s_cbranch_execnz .LBB55_829
	s_branch .LBB55_830
.LBB55_849:
	s_mov_b64 s[36:37], -1
                                        ; implicit-def: $vgpr6
.LBB55_850:
	s_mov_b64 s[38:39], 0
.LBB55_851:
	s_and_b64 vcc, exec, s[38:39]
	s_cbranch_vccz .LBB55_855
; %bb.852:
	v_mov_b32_e32 v6, 11
	v_cmp_eq_u16_sdwa s[36:37], v5, v6 src0_sel:BYTE_0 src1_sel:DWORD
	s_and_b64 vcc, exec, s[36:37]
	s_cbranch_vccz .LBB55_854
; %bb.853:
	global_load_ubyte v6, v[0:1], off
	v_mov_b32_e32 v7, 0x3c00
	s_mov_b64 s[0:1], -1
	s_mov_b64 s[36:37], 0
	s_waitcnt vmcnt(0)
	v_cmp_ne_u16_e32 vcc, 0, v6
	v_cndmask_b32_e32 v6, 0, v7, vcc
	s_branch .LBB55_855
.LBB55_854:
	s_mov_b64 s[36:37], -1
                                        ; implicit-def: $vgpr6
.LBB55_855:
	s_mov_b64 s[38:39], 0
.LBB55_856:
	s_and_b64 vcc, exec, s[38:39]
	s_cbranch_vccz .LBB55_905
; %bb.857:
	v_mov_b32_e32 v6, 5
	v_cmp_lt_i16_sdwa s[0:1], v5, v6 src0_sel:BYTE_0 src1_sel:DWORD
	s_and_b64 vcc, exec, s[0:1]
	s_cbranch_vccnz .LBB55_862
; %bb.858:
	v_mov_b32_e32 v6, 8
	v_cmp_lt_i16_sdwa s[0:1], v5, v6 src0_sel:BYTE_0 src1_sel:DWORD
	s_and_b64 vcc, exec, s[0:1]
	s_cbranch_vccnz .LBB55_863
	;; [unrolled: 5-line block ×3, first 2 shown]
; %bb.860:
	v_cmp_gt_i16_sdwa s[0:1], v5, v6 src0_sel:BYTE_0 src1_sel:DWORD
	s_and_b64 vcc, exec, s[0:1]
	s_cbranch_vccz .LBB55_865
; %bb.861:
	global_load_dwordx2 v[6:7], v[0:1], off
	s_mov_b64 s[0:1], 0
	s_waitcnt vmcnt(0)
	v_cvt_f32_f64_e32 v6, v[6:7]
	v_cvt_f16_f32_e32 v6, v6
	s_branch .LBB55_866
.LBB55_862:
	s_mov_b64 s[0:1], -1
                                        ; implicit-def: $vgpr6
	s_branch .LBB55_884
.LBB55_863:
	s_mov_b64 s[0:1], -1
                                        ; implicit-def: $vgpr6
	s_branch .LBB55_872
.LBB55_864:
	s_mov_b64 s[0:1], -1
                                        ; implicit-def: $vgpr6
	s_branch .LBB55_869
.LBB55_865:
	s_mov_b64 s[0:1], -1
                                        ; implicit-def: $vgpr6
.LBB55_866:
	s_andn2_b64 vcc, exec, s[0:1]
	s_cbranch_vccnz .LBB55_868
; %bb.867:
	global_load_dword v6, v[0:1], off
	s_waitcnt vmcnt(0)
	v_cvt_f16_f32_e32 v6, v6
.LBB55_868:
	s_mov_b64 s[0:1], 0
.LBB55_869:
	s_andn2_b64 vcc, exec, s[0:1]
	s_cbranch_vccnz .LBB55_871
; %bb.870:
	global_load_dword v6, v[0:1], off
.LBB55_871:
	s_mov_b64 s[0:1], 0
.LBB55_872:
	s_andn2_b64 vcc, exec, s[0:1]
	s_cbranch_vccnz .LBB55_883
; %bb.873:
	s_waitcnt vmcnt(0)
	v_mov_b32_e32 v6, 6
	v_cmp_lt_i16_sdwa s[0:1], v5, v6 src0_sel:BYTE_0 src1_sel:DWORD
	s_and_b64 vcc, exec, s[0:1]
	s_cbranch_vccnz .LBB55_876
; %bb.874:
	v_cmp_gt_i16_sdwa s[0:1], v5, v6 src0_sel:BYTE_0 src1_sel:DWORD
	s_and_b64 vcc, exec, s[0:1]
	s_cbranch_vccz .LBB55_877
; %bb.875:
	global_load_dwordx2 v[6:7], v[0:1], off
	s_mov_b64 s[0:1], 0
	s_waitcnt vmcnt(0)
	v_cvt_f32_f64_e32 v6, v[6:7]
	v_cvt_f16_f32_e32 v6, v6
	s_branch .LBB55_878
.LBB55_876:
	s_mov_b64 s[0:1], -1
                                        ; implicit-def: $vgpr6
	s_branch .LBB55_881
.LBB55_877:
	s_mov_b64 s[0:1], -1
                                        ; implicit-def: $vgpr6
.LBB55_878:
	s_andn2_b64 vcc, exec, s[0:1]
	s_cbranch_vccnz .LBB55_880
; %bb.879:
	global_load_dword v6, v[0:1], off
	s_waitcnt vmcnt(0)
	v_cvt_f16_f32_e32 v6, v6
.LBB55_880:
	s_mov_b64 s[0:1], 0
.LBB55_881:
	s_andn2_b64 vcc, exec, s[0:1]
	s_cbranch_vccnz .LBB55_883
; %bb.882:
	global_load_ushort v6, v[0:1], off
.LBB55_883:
	s_mov_b64 s[0:1], 0
.LBB55_884:
	s_andn2_b64 vcc, exec, s[0:1]
	s_cbranch_vccnz .LBB55_904
; %bb.885:
	s_waitcnt vmcnt(0)
	v_mov_b32_e32 v6, 2
	v_cmp_lt_i16_sdwa s[0:1], v5, v6 src0_sel:BYTE_0 src1_sel:DWORD
	s_and_b64 vcc, exec, s[0:1]
	s_cbranch_vccnz .LBB55_889
; %bb.886:
	v_mov_b32_e32 v6, 3
	v_cmp_lt_i16_sdwa s[0:1], v5, v6 src0_sel:BYTE_0 src1_sel:DWORD
	s_and_b64 vcc, exec, s[0:1]
	s_cbranch_vccnz .LBB55_890
; %bb.887:
	v_cmp_gt_i16_sdwa s[0:1], v5, v6 src0_sel:BYTE_0 src1_sel:DWORD
	s_and_b64 vcc, exec, s[0:1]
	s_cbranch_vccz .LBB55_891
; %bb.888:
	global_load_dwordx2 v[6:7], v[0:1], off
	s_mov_b64 s[0:1], 0
	s_waitcnt vmcnt(0)
	v_xor_b32_e32 v9, v6, v7
	v_ffbh_i32_e32 v8, v7
	v_ashrrev_i32_e32 v9, 31, v9
	v_add_u32_e32 v8, -1, v8
	v_add_u32_e32 v9, 32, v9
	v_min_u32_e32 v8, v8, v9
	v_lshlrev_b64 v[6:7], v8, v[6:7]
	v_min_u32_e32 v6, 1, v6
	v_or_b32_e32 v6, v7, v6
	v_cvt_f32_i32_e32 v6, v6
	v_sub_u32_e32 v7, 32, v8
	v_ldexp_f32 v6, v6, v7
	v_cvt_f16_f32_e32 v6, v6
	s_branch .LBB55_892
.LBB55_889:
	s_mov_b64 s[0:1], -1
                                        ; implicit-def: $vgpr6
	s_branch .LBB55_898
.LBB55_890:
	s_mov_b64 s[0:1], -1
                                        ; implicit-def: $vgpr6
	s_branch .LBB55_895
.LBB55_891:
	s_mov_b64 s[0:1], -1
                                        ; implicit-def: $vgpr6
.LBB55_892:
	s_andn2_b64 vcc, exec, s[0:1]
	s_cbranch_vccnz .LBB55_894
; %bb.893:
	global_load_dword v6, v[0:1], off
	s_waitcnt vmcnt(0)
	v_cvt_f32_i32_e32 v6, v6
	v_cvt_f16_f32_e32 v6, v6
.LBB55_894:
	s_mov_b64 s[0:1], 0
.LBB55_895:
	s_andn2_b64 vcc, exec, s[0:1]
	s_cbranch_vccnz .LBB55_897
; %bb.896:
	global_load_ushort v6, v[0:1], off
	s_waitcnt vmcnt(0)
	v_cvt_f16_i16_e32 v6, v6
.LBB55_897:
	s_mov_b64 s[0:1], 0
.LBB55_898:
	s_andn2_b64 vcc, exec, s[0:1]
	s_cbranch_vccnz .LBB55_904
; %bb.899:
	v_mov_b32_e32 v6, 0
	v_cmp_gt_i16_sdwa s[0:1], v5, v6 src0_sel:BYTE_0 src1_sel:DWORD
	s_and_b64 vcc, exec, s[0:1]
	s_cbranch_vccz .LBB55_901
; %bb.900:
	global_load_sbyte v6, v[0:1], off
	s_mov_b64 s[0:1], 0
	s_waitcnt vmcnt(0)
	v_cvt_f16_i16_e32 v6, v6
	s_branch .LBB55_902
.LBB55_901:
	s_mov_b64 s[0:1], -1
                                        ; implicit-def: $vgpr6
.LBB55_902:
	s_andn2_b64 vcc, exec, s[0:1]
	s_cbranch_vccnz .LBB55_904
; %bb.903:
	global_load_ubyte v0, v[0:1], off
	s_waitcnt vmcnt(0)
	v_cvt_f16_u16_e32 v6, v0
.LBB55_904:
	s_mov_b64 s[0:1], -1
.LBB55_905:
	s_andn2_b64 vcc, exec, s[0:1]
	s_cbranch_vccnz .LBB55_913
; %bb.906:
	v_mul_lo_u32 v0, v3, s14
	v_ashrrev_i32_e32 v1, 31, v0
	v_mov_b32_e32 v7, s3
	v_add_co_u32_e32 v0, vcc, s2, v0
	v_addc_co_u32_e32 v1, vcc, v7, v1, vcc
	v_mov_b32_e32 v7, 11
	v_cmp_lt_i16_sdwa s[0:1], v4, v7 src0_sel:BYTE_0 src1_sel:DWORD
	s_and_b64 vcc, exec, s[0:1]
	s_cbranch_vccnz .LBB55_915
; %bb.907:
	v_mov_b32_e32 v7, 25
	v_cmp_gt_i16_sdwa s[0:1], v4, v7 src0_sel:BYTE_0 src1_sel:DWORD
	s_and_b64 vcc, exec, s[0:1]
	s_cbranch_vccz .LBB55_916
; %bb.908:
	v_mov_b32_e32 v7, 28
	v_cmp_gt_i16_sdwa s[0:1], v4, v7 src0_sel:BYTE_0 src1_sel:DWORD
	s_and_b64 vcc, exec, s[0:1]
	s_cbranch_vccz .LBB55_917
	;; [unrolled: 5-line block ×4, first 2 shown]
; %bb.911:
	v_mov_b32_e32 v7, 46
	v_cmp_eq_u16_sdwa s[0:1], v4, v7 src0_sel:BYTE_0 src1_sel:DWORD
	s_mov_b64 s[40:41], 0
	s_and_b64 vcc, exec, s[0:1]
	s_cbranch_vccz .LBB55_922
; %bb.912:
	global_load_dword v7, v[0:1], off
	s_mov_b64 s[0:1], -1
	s_mov_b64 s[38:39], 0
	s_waitcnt vmcnt(0)
	v_lshlrev_b32_e32 v7, 16, v7
	v_cvt_f16_f32_e32 v7, v7
	s_branch .LBB55_923
.LBB55_913:
	s_mov_b64 s[42:43], 0
	s_mov_b64 s[0:1], s[28:29]
	;; [unrolled: 1-line block ×3, first 2 shown]
.LBB55_914:
                                        ; implicit-def: $vgpr3
	s_branch .LBB55_1161
.LBB55_915:
	s_mov_b64 s[40:41], -1
	s_mov_b64 s[0:1], 0
                                        ; implicit-def: $vgpr7
	s_mov_b64 s[38:39], s[26:27]
	s_branch .LBB55_988
.LBB55_916:
	s_mov_b64 s[40:41], -1
	s_mov_b64 s[0:1], 0
	s_mov_b64 s[38:39], s[26:27]
                                        ; implicit-def: $vgpr7
	s_branch .LBB55_952
.LBB55_917:
	s_mov_b64 s[40:41], -1
	s_mov_b64 s[0:1], 0
	s_mov_b64 s[38:39], s[26:27]
                                        ; implicit-def: $vgpr7
	s_branch .LBB55_933
.LBB55_918:
	s_mov_b64 s[40:41], -1
	s_mov_b64 s[0:1], 0
	s_mov_b64 s[38:39], s[26:27]
                                        ; implicit-def: $vgpr7
	s_branch .LBB55_928
.LBB55_919:
	s_mov_b64 s[40:41], -1
	s_mov_b64 s[0:1], 0
	s_mov_b64 s[38:39], s[26:27]
                                        ; implicit-def: $vgpr7
	s_branch .LBB55_923
.LBB55_920:
	s_or_saveexec_b64 s[36:37], s[36:37]
                                        ; implicit-def: $sgpr15
	s_xor_b64 exec, exec, s[36:37]
	s_cbranch_execz .LBB55_696
.LBB55_921:
	s_mov_b32 s15, 0x42800000
	v_add_f32_e64 v8, |v7|, s15
	v_and_b32_e32 v8, 0xff, v8
	v_cmp_ne_u32_e32 vcc, 0, v8
	s_andn2_b64 s[34:35], s[34:35], exec
	s_and_b64 s[38:39], vcc, exec
	s_mov_b32 s15, 0
	s_or_b64 s[34:35], s[34:35], s[38:39]
	s_or_b64 exec, exec, s[36:37]
	v_mov_b32_e32 v9, s15
	s_and_saveexec_b64 s[36:37], s[34:35]
	s_cbranch_execnz .LBB55_697
	s_branch .LBB55_698
.LBB55_922:
	s_mov_b64 s[38:39], -1
                                        ; implicit-def: $vgpr7
	s_mov_b64 s[0:1], 0
.LBB55_923:
	s_and_b64 vcc, exec, s[40:41]
	s_cbranch_vccz .LBB55_927
; %bb.924:
	v_mov_b32_e32 v7, 44
	v_cmp_eq_u16_sdwa s[38:39], v4, v7 src0_sel:BYTE_0 src1_sel:DWORD
	s_and_b64 vcc, exec, s[38:39]
	s_cbranch_vccz .LBB55_926
; %bb.925:
	global_load_ubyte v7, v[0:1], off
	s_movk_i32 s15, 0xff
	v_mov_b32_e32 v9, 0x7e00
	s_mov_b64 s[0:1], -1
	s_mov_b64 s[38:39], 0
	s_waitcnt vmcnt(0)
	v_lshlrev_b32_e32 v8, 23, v7
	v_cvt_f16_f32_e32 v8, v8
	v_cmp_ne_u32_e32 vcc, s15, v7
	v_cndmask_b32_e32 v8, v9, v8, vcc
	v_cmp_ne_u32_e32 vcc, 0, v7
	v_cndmask_b32_e32 v7, 0, v8, vcc
	s_branch .LBB55_927
.LBB55_926:
	s_mov_b64 s[38:39], -1
                                        ; implicit-def: $vgpr7
.LBB55_927:
	s_mov_b64 s[40:41], 0
.LBB55_928:
	s_and_b64 vcc, exec, s[40:41]
	s_cbranch_vccz .LBB55_932
; %bb.929:
	v_mov_b32_e32 v7, 29
	v_cmp_eq_u16_sdwa s[38:39], v4, v7 src0_sel:BYTE_0 src1_sel:DWORD
	s_and_b64 vcc, exec, s[38:39]
	s_cbranch_vccz .LBB55_931
; %bb.930:
	global_load_dwordx2 v[8:9], v[0:1], off
	s_mov_b64 s[0:1], -1
	s_mov_b64 s[38:39], 0
	s_mov_b64 s[40:41], 0
	s_waitcnt vmcnt(0)
	v_ffbh_u32_e32 v7, v9
	v_min_u32_e32 v7, 32, v7
	v_lshlrev_b64 v[8:9], v7, v[8:9]
	v_min_u32_e32 v8, 1, v8
	v_or_b32_e32 v8, v9, v8
	v_cvt_f32_u32_e32 v8, v8
	v_sub_u32_e32 v7, 32, v7
	v_ldexp_f32 v7, v8, v7
	v_cvt_f16_f32_e32 v7, v7
	s_branch .LBB55_933
.LBB55_931:
	s_mov_b64 s[38:39], -1
                                        ; implicit-def: $vgpr7
.LBB55_932:
	s_mov_b64 s[40:41], 0
.LBB55_933:
	s_and_b64 vcc, exec, s[40:41]
	s_cbranch_vccz .LBB55_951
; %bb.934:
	v_mov_b32_e32 v7, 27
	v_cmp_lt_i16_sdwa s[0:1], v4, v7 src0_sel:BYTE_0 src1_sel:DWORD
	s_and_b64 vcc, exec, s[0:1]
	s_cbranch_vccnz .LBB55_937
; %bb.935:
	v_cmp_gt_i16_sdwa s[0:1], v4, v7 src0_sel:BYTE_0 src1_sel:DWORD
	s_and_b64 vcc, exec, s[0:1]
	s_cbranch_vccz .LBB55_938
; %bb.936:
	global_load_dword v7, v[0:1], off
	s_mov_b64 s[0:1], 0
	s_waitcnt vmcnt(0)
	v_cvt_f32_u32_e32 v7, v7
	v_cvt_f16_f32_e32 v7, v7
	s_branch .LBB55_939
.LBB55_937:
	s_mov_b64 s[0:1], -1
                                        ; implicit-def: $vgpr7
	s_branch .LBB55_942
.LBB55_938:
	s_mov_b64 s[0:1], -1
                                        ; implicit-def: $vgpr7
.LBB55_939:
	s_andn2_b64 vcc, exec, s[0:1]
	s_cbranch_vccnz .LBB55_941
; %bb.940:
	global_load_ushort v7, v[0:1], off
	s_waitcnt vmcnt(0)
	v_cvt_f16_u16_e32 v7, v7
.LBB55_941:
	s_mov_b64 s[0:1], 0
.LBB55_942:
	s_andn2_b64 vcc, exec, s[0:1]
	s_cbranch_vccnz .LBB55_950
; %bb.943:
	global_load_ubyte v8, v[0:1], off
	s_movk_i32 s0, 0x7f
                                        ; implicit-def: $sgpr15
	s_waitcnt vmcnt(0)
	v_cmp_lt_i16_e32 vcc, s0, v8
	s_mov_b64 s[0:1], 0
	s_and_saveexec_b64 s[40:41], vcc
	s_xor_b64 s[40:41], exec, s[40:41]
	s_cbranch_execz .LBB55_964
; %bb.944:
	s_movk_i32 s0, 0x80
	v_cmp_eq_u16_e32 vcc, s0, v8
	s_mov_b64 s[0:1], -1
                                        ; implicit-def: $sgpr15
	s_and_saveexec_b64 s[42:43], vcc
; %bb.945:
	s_movk_i32 s15, 0x7e00
	s_xor_b64 s[0:1], exec, -1
; %bb.946:
	s_or_b64 exec, exec, s[42:43]
	s_and_b64 s[0:1], s[0:1], exec
	s_or_saveexec_b64 s[40:41], s[40:41]
	v_mov_b32_e32 v7, s15
	s_xor_b64 exec, exec, s[40:41]
	s_cbranch_execnz .LBB55_965
.LBB55_947:
	s_or_b64 exec, exec, s[40:41]
	s_and_saveexec_b64 s[40:41], s[0:1]
	s_cbranch_execz .LBB55_949
.LBB55_948:
	v_lshlrev_b32_e32 v7, 24, v8
	v_and_b32_e32 v8, 0xffff, v8
	v_and_b32_e32 v9, 7, v8
	v_ffbh_u32_e32 v11, v9
	v_min_u32_e32 v11, 32, v11
	v_subrev_u32_e32 v12, 28, v11
	v_bfe_u32 v10, v8, 3, 4
	v_lshlrev_b32_e32 v8, v12, v8
	v_sub_u32_e32 v11, 29, v11
	v_and_b32_e32 v8, 7, v8
	v_cmp_eq_u32_e32 vcc, 0, v10
	v_cndmask_b32_e32 v10, v10, v11, vcc
	v_cndmask_b32_e32 v8, v9, v8, vcc
	v_mov_b32_e32 v9, 0x3b800000
	v_lshlrev_b32_e32 v8, 20, v8
	v_and_b32_e32 v7, 0x80000000, v7
	v_lshl_add_u32 v9, v10, 23, v9
	v_or3_b32 v7, v7, v9, v8
	v_cvt_f16_f32_e32 v7, v7
.LBB55_949:
	s_or_b64 exec, exec, s[40:41]
.LBB55_950:
	s_mov_b64 s[0:1], -1
.LBB55_951:
	s_mov_b64 s[40:41], 0
.LBB55_952:
	s_and_b64 vcc, exec, s[40:41]
	s_cbranch_vccz .LBB55_987
; %bb.953:
	v_mov_b32_e32 v7, 22
	v_cmp_gt_i16_sdwa s[40:41], v4, v7 src0_sel:BYTE_0 src1_sel:DWORD
	s_and_b64 vcc, exec, s[40:41]
	s_cbranch_vccz .LBB55_963
; %bb.954:
	v_mov_b32_e32 v7, 24
	v_cmp_lt_i16_sdwa s[0:1], v4, v7 src0_sel:BYTE_0 src1_sel:DWORD
	s_and_b64 vcc, exec, s[0:1]
	s_cbranch_vccnz .LBB55_966
; %bb.955:
	v_cmp_gt_i16_sdwa s[0:1], v4, v7 src0_sel:BYTE_0 src1_sel:DWORD
	s_and_b64 vcc, exec, s[0:1]
	s_cbranch_vccz .LBB55_967
; %bb.956:
	global_load_ubyte v8, v[0:1], off
	s_movk_i32 s0, 0x7f
                                        ; implicit-def: $sgpr15
	s_waitcnt vmcnt(0)
	v_cmp_lt_i16_e32 vcc, s0, v8
	s_mov_b64 s[0:1], 0
	s_and_saveexec_b64 s[40:41], vcc
	s_xor_b64 s[40:41], exec, s[40:41]
	s_cbranch_execz .LBB55_979
; %bb.957:
	s_movk_i32 s0, 0x80
	v_cmp_eq_u16_e32 vcc, s0, v8
	s_mov_b64 s[0:1], -1
                                        ; implicit-def: $sgpr15
	s_and_saveexec_b64 s[42:43], vcc
; %bb.958:
	s_movk_i32 s15, 0x7e00
	s_xor_b64 s[0:1], exec, -1
; %bb.959:
	s_or_b64 exec, exec, s[42:43]
	s_and_b64 s[0:1], s[0:1], exec
	s_or_saveexec_b64 s[40:41], s[40:41]
	v_mov_b32_e32 v7, s15
	s_xor_b64 exec, exec, s[40:41]
	s_cbranch_execnz .LBB55_980
.LBB55_960:
	s_or_b64 exec, exec, s[40:41]
	s_and_saveexec_b64 s[40:41], s[0:1]
	s_cbranch_execz .LBB55_962
.LBB55_961:
	v_lshlrev_b32_e32 v7, 24, v8
	v_and_b32_e32 v8, 0xffff, v8
	v_and_b32_e32 v9, 3, v8
	v_ffbh_u32_e32 v11, v9
	v_min_u32_e32 v11, 32, v11
	v_subrev_u32_e32 v12, 29, v11
	v_bfe_u32 v10, v8, 2, 5
	v_lshlrev_b32_e32 v8, v12, v8
	v_sub_u32_e32 v11, 30, v11
	v_and_b32_e32 v8, 3, v8
	v_cmp_eq_u32_e32 vcc, 0, v10
	v_cndmask_b32_e32 v10, v10, v11, vcc
	v_cndmask_b32_e32 v8, v9, v8, vcc
	v_mov_b32_e32 v9, 0x37800000
	v_lshlrev_b32_e32 v8, 21, v8
	v_and_b32_e32 v7, 0x80000000, v7
	v_lshl_add_u32 v9, v10, 23, v9
	v_or3_b32 v7, v7, v9, v8
	v_cvt_f16_f32_e32 v7, v7
.LBB55_962:
	s_or_b64 exec, exec, s[40:41]
	s_mov_b64 s[0:1], 0
	s_branch .LBB55_968
.LBB55_963:
	s_mov_b64 s[40:41], -1
                                        ; implicit-def: $vgpr7
	s_branch .LBB55_974
.LBB55_964:
	s_or_saveexec_b64 s[40:41], s[40:41]
	v_mov_b32_e32 v7, s15
	s_xor_b64 exec, exec, s[40:41]
	s_cbranch_execz .LBB55_947
.LBB55_965:
	v_cmp_ne_u16_e32 vcc, 0, v8
	s_andn2_b64 s[0:1], s[0:1], exec
	s_and_b64 s[42:43], vcc, exec
	s_or_b64 s[0:1], s[0:1], s[42:43]
	v_mov_b32_e32 v7, v8
	s_or_b64 exec, exec, s[40:41]
	s_and_saveexec_b64 s[40:41], s[0:1]
	s_cbranch_execnz .LBB55_948
	s_branch .LBB55_949
.LBB55_966:
	s_mov_b64 s[0:1], -1
                                        ; implicit-def: $vgpr7
	s_branch .LBB55_971
.LBB55_967:
	s_mov_b64 s[0:1], -1
                                        ; implicit-def: $vgpr7
.LBB55_968:
	s_and_b64 vcc, exec, s[0:1]
	s_cbranch_vccz .LBB55_970
; %bb.969:
	global_load_ubyte v7, v[0:1], off
	s_mov_b32 s0, 0x7f800000
	s_waitcnt vmcnt(0)
	v_lshlrev_b32_e32 v7, 24, v7
	v_and_b32_e32 v8, 0x7f000000, v7
	v_ffbh_u32_e32 v9, v8
	v_min_u32_e32 v9, 32, v9
	v_sub_u32_e64 v9, v9, 4 clamp
	v_lshlrev_b32_e32 v11, v9, v8
	v_lshlrev_b32_e32 v9, 23, v9
	v_lshrrev_b32_e32 v11, 4, v11
	v_add_u32_e32 v10, 0x1000000, v8
	v_sub_u32_e32 v9, v11, v9
	v_ashrrev_i32_e32 v10, 8, v10
	v_add_u32_e32 v9, 0x3c000000, v9
	v_and_or_b32 v9, v10, s0, v9
	v_cmp_ne_u32_e32 vcc, 0, v8
	v_cndmask_b32_e32 v8, 0, v9, vcc
	s_brev_b32 s0, 1
	v_and_or_b32 v7, v7, s0, v8
	v_cvt_f16_f32_e32 v7, v7
.LBB55_970:
	s_mov_b64 s[0:1], 0
.LBB55_971:
	s_andn2_b64 vcc, exec, s[0:1]
	s_cbranch_vccnz .LBB55_973
; %bb.972:
	global_load_ubyte v7, v[0:1], off
	s_movk_i32 s0, 0x7f00
	s_brev_b32 s1, 16
	s_waitcnt vmcnt(0)
	v_lshlrev_b16_e32 v8, 8, v7
	v_lshlrev_b32_e32 v7, 25, v7
	v_lshrrev_b32_e32 v9, 4, v7
	v_and_or_b32 v10, v8, s0, 0.5
	v_or_b32_e32 v9, 0x70000000, v9
	v_add_f32_e32 v10, -0.5, v10
	v_mul_f32_e32 v9, 0x7800000, v9
	v_cmp_gt_u32_e32 vcc, s1, v7
	v_bfe_i32 v8, v8, 0, 16
	v_cndmask_b32_e32 v7, v9, v10, vcc
	s_brev_b32 s0, 1
	v_and_or_b32 v7, v8, s0, v7
	v_cvt_f16_f32_e32 v7, v7
.LBB55_973:
	s_mov_b64 s[40:41], 0
	s_mov_b64 s[0:1], -1
.LBB55_974:
	s_andn2_b64 vcc, exec, s[40:41]
	s_cbranch_vccnz .LBB55_987
; %bb.975:
	v_mov_b32_e32 v7, 14
	v_cmp_gt_i16_sdwa s[40:41], v4, v7 src0_sel:BYTE_0 src1_sel:DWORD
	s_and_b64 vcc, exec, s[40:41]
	s_cbranch_vccz .LBB55_978
; %bb.976:
	v_mov_b32_e32 v7, 15
	v_cmp_eq_u16_sdwa s[38:39], v4, v7 src0_sel:BYTE_0 src1_sel:DWORD
	s_and_b64 vcc, exec, s[38:39]
	s_cbranch_vccz .LBB55_981
; %bb.977:
	global_load_ushort v7, v[0:1], off
	s_mov_b64 s[0:1], -1
	s_mov_b64 s[38:39], 0
	s_waitcnt vmcnt(0)
	v_lshlrev_b32_e32 v7, 16, v7
	v_cvt_f16_f32_e32 v7, v7
	s_branch .LBB55_982
.LBB55_978:
	s_mov_b64 s[40:41], -1
                                        ; implicit-def: $vgpr7
	s_branch .LBB55_983
.LBB55_979:
	s_or_saveexec_b64 s[40:41], s[40:41]
	v_mov_b32_e32 v7, s15
	s_xor_b64 exec, exec, s[40:41]
	s_cbranch_execz .LBB55_960
.LBB55_980:
	v_cmp_ne_u16_e32 vcc, 0, v8
	s_andn2_b64 s[0:1], s[0:1], exec
	s_and_b64 s[42:43], vcc, exec
	s_or_b64 s[0:1], s[0:1], s[42:43]
	v_mov_b32_e32 v7, v8
	s_or_b64 exec, exec, s[40:41]
	s_and_saveexec_b64 s[40:41], s[0:1]
	s_cbranch_execnz .LBB55_961
	s_branch .LBB55_962
.LBB55_981:
	s_mov_b64 s[38:39], -1
                                        ; implicit-def: $vgpr7
.LBB55_982:
	s_mov_b64 s[40:41], 0
.LBB55_983:
	s_and_b64 vcc, exec, s[40:41]
	s_cbranch_vccz .LBB55_987
; %bb.984:
	v_mov_b32_e32 v7, 11
	v_cmp_eq_u16_sdwa s[38:39], v4, v7 src0_sel:BYTE_0 src1_sel:DWORD
	s_and_b64 vcc, exec, s[38:39]
	s_cbranch_vccz .LBB55_986
; %bb.985:
	global_load_ubyte v7, v[0:1], off
	v_mov_b32_e32 v8, 0x3c00
	s_mov_b64 s[0:1], -1
	s_mov_b64 s[38:39], 0
	s_waitcnt vmcnt(0)
	v_cmp_ne_u16_e32 vcc, 0, v7
	v_cndmask_b32_e32 v7, 0, v8, vcc
	s_branch .LBB55_987
.LBB55_986:
	s_mov_b64 s[38:39], -1
                                        ; implicit-def: $vgpr7
.LBB55_987:
	s_mov_b64 s[40:41], 0
.LBB55_988:
	s_and_b64 vcc, exec, s[40:41]
	s_cbranch_vccz .LBB55_1037
; %bb.989:
	v_mov_b32_e32 v7, 5
	v_cmp_lt_i16_sdwa s[0:1], v4, v7 src0_sel:BYTE_0 src1_sel:DWORD
	s_and_b64 vcc, exec, s[0:1]
	s_cbranch_vccnz .LBB55_994
; %bb.990:
	v_mov_b32_e32 v7, 8
	v_cmp_lt_i16_sdwa s[0:1], v4, v7 src0_sel:BYTE_0 src1_sel:DWORD
	s_and_b64 vcc, exec, s[0:1]
	s_cbranch_vccnz .LBB55_995
; %bb.991:
	v_mov_b32_e32 v7, 9
	v_cmp_lt_i16_sdwa s[0:1], v4, v7 src0_sel:BYTE_0 src1_sel:DWORD
	s_and_b64 vcc, exec, s[0:1]
	s_cbranch_vccnz .LBB55_996
; %bb.992:
	v_cmp_gt_i16_sdwa s[0:1], v4, v7 src0_sel:BYTE_0 src1_sel:DWORD
	s_and_b64 vcc, exec, s[0:1]
	s_cbranch_vccz .LBB55_997
; %bb.993:
	global_load_dwordx2 v[8:9], v[0:1], off
	s_mov_b64 s[0:1], 0
	s_waitcnt vmcnt(0)
	v_cvt_f32_f64_e32 v7, v[8:9]
	v_cvt_f16_f32_e32 v7, v7
	s_branch .LBB55_998
.LBB55_994:
	s_mov_b64 s[0:1], -1
                                        ; implicit-def: $vgpr7
	s_branch .LBB55_1016
.LBB55_995:
	s_mov_b64 s[0:1], -1
                                        ; implicit-def: $vgpr7
	s_branch .LBB55_1004
.LBB55_996:
	s_mov_b64 s[0:1], -1
                                        ; implicit-def: $vgpr7
	s_branch .LBB55_1001
.LBB55_997:
	s_mov_b64 s[0:1], -1
                                        ; implicit-def: $vgpr7
.LBB55_998:
	s_andn2_b64 vcc, exec, s[0:1]
	s_cbranch_vccnz .LBB55_1000
; %bb.999:
	global_load_dword v7, v[0:1], off
	s_waitcnt vmcnt(0)
	v_cvt_f16_f32_e32 v7, v7
.LBB55_1000:
	s_mov_b64 s[0:1], 0
.LBB55_1001:
	s_andn2_b64 vcc, exec, s[0:1]
	s_cbranch_vccnz .LBB55_1003
; %bb.1002:
	global_load_dword v7, v[0:1], off
.LBB55_1003:
	s_mov_b64 s[0:1], 0
.LBB55_1004:
	s_andn2_b64 vcc, exec, s[0:1]
	s_cbranch_vccnz .LBB55_1015
; %bb.1005:
	s_waitcnt vmcnt(0)
	v_mov_b32_e32 v7, 6
	v_cmp_lt_i16_sdwa s[0:1], v4, v7 src0_sel:BYTE_0 src1_sel:DWORD
	s_and_b64 vcc, exec, s[0:1]
	s_cbranch_vccnz .LBB55_1008
; %bb.1006:
	v_cmp_gt_i16_sdwa s[0:1], v4, v7 src0_sel:BYTE_0 src1_sel:DWORD
	s_and_b64 vcc, exec, s[0:1]
	s_cbranch_vccz .LBB55_1009
; %bb.1007:
	global_load_dwordx2 v[8:9], v[0:1], off
	s_mov_b64 s[0:1], 0
	s_waitcnt vmcnt(0)
	v_cvt_f32_f64_e32 v7, v[8:9]
	v_cvt_f16_f32_e32 v7, v7
	s_branch .LBB55_1010
.LBB55_1008:
	s_mov_b64 s[0:1], -1
                                        ; implicit-def: $vgpr7
	s_branch .LBB55_1013
.LBB55_1009:
	s_mov_b64 s[0:1], -1
                                        ; implicit-def: $vgpr7
.LBB55_1010:
	s_andn2_b64 vcc, exec, s[0:1]
	s_cbranch_vccnz .LBB55_1012
; %bb.1011:
	global_load_dword v7, v[0:1], off
	s_waitcnt vmcnt(0)
	v_cvt_f16_f32_e32 v7, v7
.LBB55_1012:
	s_mov_b64 s[0:1], 0
.LBB55_1013:
	s_andn2_b64 vcc, exec, s[0:1]
	s_cbranch_vccnz .LBB55_1015
; %bb.1014:
	global_load_ushort v7, v[0:1], off
.LBB55_1015:
	s_mov_b64 s[0:1], 0
.LBB55_1016:
	s_andn2_b64 vcc, exec, s[0:1]
	s_cbranch_vccnz .LBB55_1036
; %bb.1017:
	s_waitcnt vmcnt(0)
	v_mov_b32_e32 v7, 2
	v_cmp_lt_i16_sdwa s[0:1], v4, v7 src0_sel:BYTE_0 src1_sel:DWORD
	s_and_b64 vcc, exec, s[0:1]
	s_cbranch_vccnz .LBB55_1021
; %bb.1018:
	v_mov_b32_e32 v7, 3
	v_cmp_lt_i16_sdwa s[0:1], v4, v7 src0_sel:BYTE_0 src1_sel:DWORD
	s_and_b64 vcc, exec, s[0:1]
	s_cbranch_vccnz .LBB55_1022
; %bb.1019:
	v_cmp_gt_i16_sdwa s[0:1], v4, v7 src0_sel:BYTE_0 src1_sel:DWORD
	s_and_b64 vcc, exec, s[0:1]
	s_cbranch_vccz .LBB55_1023
; %bb.1020:
	global_load_dwordx2 v[8:9], v[0:1], off
	s_mov_b64 s[0:1], 0
	s_waitcnt vmcnt(0)
	v_xor_b32_e32 v10, v8, v9
	v_ffbh_i32_e32 v7, v9
	v_ashrrev_i32_e32 v10, 31, v10
	v_add_u32_e32 v7, -1, v7
	v_add_u32_e32 v10, 32, v10
	v_min_u32_e32 v7, v7, v10
	v_lshlrev_b64 v[8:9], v7, v[8:9]
	v_min_u32_e32 v8, 1, v8
	v_or_b32_e32 v8, v9, v8
	v_cvt_f32_i32_e32 v8, v8
	v_sub_u32_e32 v7, 32, v7
	v_ldexp_f32 v7, v8, v7
	v_cvt_f16_f32_e32 v7, v7
	s_branch .LBB55_1024
.LBB55_1021:
	s_mov_b64 s[0:1], -1
                                        ; implicit-def: $vgpr7
	s_branch .LBB55_1030
.LBB55_1022:
	s_mov_b64 s[0:1], -1
                                        ; implicit-def: $vgpr7
	s_branch .LBB55_1027
.LBB55_1023:
	s_mov_b64 s[0:1], -1
                                        ; implicit-def: $vgpr7
.LBB55_1024:
	s_andn2_b64 vcc, exec, s[0:1]
	s_cbranch_vccnz .LBB55_1026
; %bb.1025:
	global_load_dword v7, v[0:1], off
	s_waitcnt vmcnt(0)
	v_cvt_f32_i32_e32 v7, v7
	v_cvt_f16_f32_e32 v7, v7
.LBB55_1026:
	s_mov_b64 s[0:1], 0
.LBB55_1027:
	s_andn2_b64 vcc, exec, s[0:1]
	s_cbranch_vccnz .LBB55_1029
; %bb.1028:
	global_load_ushort v7, v[0:1], off
	s_waitcnt vmcnt(0)
	v_cvt_f16_i16_e32 v7, v7
.LBB55_1029:
	s_mov_b64 s[0:1], 0
.LBB55_1030:
	s_andn2_b64 vcc, exec, s[0:1]
	s_cbranch_vccnz .LBB55_1036
; %bb.1031:
	v_mov_b32_e32 v7, 0
	v_cmp_gt_i16_sdwa s[0:1], v4, v7 src0_sel:BYTE_0 src1_sel:DWORD
	s_and_b64 vcc, exec, s[0:1]
	s_cbranch_vccz .LBB55_1033
; %bb.1032:
	global_load_sbyte v7, v[0:1], off
	s_mov_b64 s[0:1], 0
	s_waitcnt vmcnt(0)
	v_cvt_f16_i16_e32 v7, v7
	s_branch .LBB55_1034
.LBB55_1033:
	s_mov_b64 s[0:1], -1
                                        ; implicit-def: $vgpr7
.LBB55_1034:
	s_andn2_b64 vcc, exec, s[0:1]
	s_cbranch_vccnz .LBB55_1036
; %bb.1035:
	global_load_ubyte v0, v[0:1], off
	s_waitcnt vmcnt(0)
	v_cvt_f16_u16_e32 v7, v0
.LBB55_1036:
	s_mov_b64 s[0:1], -1
.LBB55_1037:
	s_andn2_b64 vcc, exec, s[0:1]
	s_cbranch_vccnz .LBB55_1045
; %bb.1038:
	s_waitcnt vmcnt(0)
	v_mul_f16_e32 v0, v6, v7
	v_cmp_lt_f16_e32 vcc, 0, v6
	v_cndmask_b32_e32 v6, v0, v6, vcc
	v_mul_lo_u32 v0, v3, s12
	v_ashrrev_i32_e32 v1, 31, v0
	v_mov_b32_e32 v7, s9
	v_add_co_u32_e32 v0, vcc, s8, v0
	v_addc_co_u32_e32 v1, vcc, v7, v1, vcc
	v_mov_b32_e32 v7, 11
	v_cmp_lt_i16_sdwa s[0:1], v2, v7 src0_sel:BYTE_0 src1_sel:DWORD
	s_and_b64 vcc, exec, s[0:1]
	s_cbranch_vccnz .LBB55_1046
; %bb.1039:
	v_mov_b32_e32 v7, 25
	v_cmp_gt_i16_sdwa s[0:1], v2, v7 src0_sel:BYTE_0 src1_sel:DWORD
	s_and_b64 vcc, exec, s[0:1]
	s_cbranch_vccz .LBB55_1047
; %bb.1040:
	v_mov_b32_e32 v7, 28
	v_cmp_gt_i16_sdwa s[0:1], v2, v7 src0_sel:BYTE_0 src1_sel:DWORD
	s_and_b64 vcc, exec, s[0:1]
	s_cbranch_vccz .LBB55_1048
	;; [unrolled: 5-line block ×4, first 2 shown]
; %bb.1043:
	v_mov_b32_e32 v7, 46
	v_cmp_eq_u16_sdwa s[40:41], v2, v7 src0_sel:BYTE_0 src1_sel:DWORD
	s_mov_b64 s[42:43], 0
	s_mov_b64 s[0:1], -1
	s_and_b64 vcc, exec, s[40:41]
	s_mov_b64 s[40:41], 0
	s_cbranch_vccz .LBB55_1051
; %bb.1044:
	v_cvt_f32_f16_e32 v7, v6
	s_movk_i32 s0, 0x7fff
	v_mov_b32_e32 v8, 0x7fc0
	v_cmp_o_f16_e32 vcc, v6, v6
	v_bfe_u32 v9, v7, 16, 1
	v_add3_u32 v7, v7, v9, s0
	v_lshrrev_b32_e32 v7, 16, v7
	v_cndmask_b32_e32 v7, v8, v7, vcc
	global_store_dword v[0:1], v7, off
	s_mov_b64 s[40:41], -1
	s_mov_b64 s[0:1], 0
	s_branch .LBB55_1051
.LBB55_1045:
	s_mov_b64 s[42:43], 0
                                        ; implicit-def: $vgpr3
	s_mov_b64 s[0:1], s[28:29]
	s_branch .LBB55_1161
.LBB55_1046:
	s_mov_b64 s[42:43], -1
	s_mov_b64 s[40:41], 0
	s_mov_b64 s[0:1], s[28:29]
	s_branch .LBB55_1120
.LBB55_1047:
	s_mov_b64 s[42:43], -1
	s_mov_b64 s[40:41], 0
	s_mov_b64 s[0:1], s[28:29]
	s_branch .LBB55_1078
.LBB55_1048:
	s_mov_b64 s[42:43], -1
	s_mov_b64 s[40:41], 0
	s_mov_b64 s[0:1], s[28:29]
	s_branch .LBB55_1061
.LBB55_1049:
	s_mov_b64 s[42:43], -1
	s_mov_b64 s[40:41], 0
	s_mov_b64 s[0:1], s[28:29]
	s_branch .LBB55_1057
.LBB55_1050:
	s_mov_b64 s[42:43], -1
	s_mov_b64 s[40:41], 0
	s_mov_b64 s[0:1], s[28:29]
.LBB55_1051:
	s_and_b64 vcc, exec, s[42:43]
	s_cbranch_vccz .LBB55_1056
; %bb.1052:
	v_mov_b32_e32 v7, 44
	v_cmp_eq_u16_sdwa s[42:43], v2, v7 src0_sel:BYTE_0 src1_sel:DWORD
	s_mov_b64 s[0:1], -1
	s_and_b64 vcc, exec, s[42:43]
	s_cbranch_vccz .LBB55_1056
; %bb.1053:
	v_cvt_f32_f16_e32 v7, v6
	s_movk_i32 s0, 0xff
	v_mov_b32_e32 v9, 0xff
	v_bfe_u32 v8, v7, 23, 8
	v_cmp_ne_u32_e32 vcc, s0, v8
	s_and_saveexec_b64 s[40:41], vcc
; %bb.1054:
	s_mov_b32 s0, 0x3fffff
	v_lshrrev_b32_e32 v9, 23, v7
	v_and_b32_e32 v10, 0x400000, v7
	v_and_or_b32 v7, v7, s0, v8
	v_cmp_ne_u32_e32 vcc, 0, v10
	v_cmp_ne_u32_e64 s[0:1], 0, v7
	s_and_b64 s[0:1], vcc, s[0:1]
	v_cndmask_b32_e64 v7, 0, 1, s[0:1]
	v_add_u32_e32 v9, v9, v7
; %bb.1055:
	s_or_b64 exec, exec, s[40:41]
	s_mov_b64 s[40:41], -1
	s_mov_b64 s[0:1], 0
	global_store_byte v[0:1], v9, off
.LBB55_1056:
	s_mov_b64 s[42:43], 0
.LBB55_1057:
	s_and_b64 vcc, exec, s[42:43]
	s_cbranch_vccz .LBB55_1060
; %bb.1058:
	v_mov_b32_e32 v7, 29
	v_cmp_eq_u16_sdwa s[42:43], v2, v7 src0_sel:BYTE_0 src1_sel:DWORD
	s_mov_b64 s[0:1], -1
	s_and_b64 vcc, exec, s[42:43]
	s_cbranch_vccz .LBB55_1060
; %bb.1059:
	v_cvt_f32_f16_e32 v7, v6
	v_mov_b32_e32 v9, 0
	s_mov_b64 s[40:41], -1
	s_mov_b64 s[0:1], 0
	v_cvt_u32_f32_e32 v8, v7
	s_mov_b64 s[42:43], 0
	global_store_dwordx2 v[0:1], v[8:9], off
	s_branch .LBB55_1061
.LBB55_1060:
	s_mov_b64 s[42:43], 0
.LBB55_1061:
	s_and_b64 vcc, exec, s[42:43]
	s_cbranch_vccz .LBB55_1077
; %bb.1062:
	v_mov_b32_e32 v7, 27
	v_cmp_lt_i16_sdwa s[42:43], v2, v7 src0_sel:BYTE_0 src1_sel:DWORD
	s_mov_b64 s[40:41], -1
	s_and_b64 vcc, exec, s[42:43]
	s_cbranch_vccnz .LBB55_1068
; %bb.1063:
	v_cmp_gt_i16_sdwa s[42:43], v2, v7 src0_sel:BYTE_0 src1_sel:DWORD
	s_and_b64 vcc, exec, s[42:43]
	s_cbranch_vccz .LBB55_1065
; %bb.1064:
	v_cvt_f32_f16_e32 v7, v6
	s_mov_b64 s[40:41], 0
	v_cvt_u32_f32_e32 v7, v7
	global_store_dword v[0:1], v7, off
.LBB55_1065:
	s_andn2_b64 vcc, exec, s[40:41]
	s_cbranch_vccnz .LBB55_1067
; %bb.1066:
	v_cvt_u16_f16_e32 v7, v6
	global_store_short v[0:1], v7, off
.LBB55_1067:
	s_mov_b64 s[40:41], 0
.LBB55_1068:
	s_andn2_b64 vcc, exec, s[40:41]
	s_cbranch_vccnz .LBB55_1076
; %bb.1069:
	v_cvt_f32_f16_e32 v7, v6
	s_mov_b32 s15, 0x43800000
	v_mov_b32_e32 v9, 0x80
	v_and_b32_e32 v8, 0x7fffffff, v7
	v_cmp_gt_u32_e32 vcc, s15, v8
	s_and_saveexec_b64 s[40:41], vcc
	s_cbranch_execz .LBB55_1075
; %bb.1070:
	s_mov_b32 s15, 0x3bffffff
	v_cmp_lt_u32_e32 vcc, s15, v8
	s_mov_b64 s[42:43], 0
                                        ; implicit-def: $vgpr8
	s_and_saveexec_b64 s[44:45], vcc
	s_xor_b64 s[44:45], exec, s[44:45]
	s_cbranch_execz .LBB55_1177
; %bb.1071:
	v_bfe_u32 v8, v7, 20, 1
	s_mov_b32 s15, 0x487ffff
	v_add3_u32 v8, v7, v8, s15
	s_mov_b64 s[42:43], exec
	v_lshrrev_b32_e32 v8, 20, v8
	s_or_saveexec_b64 s[44:45], s[44:45]
                                        ; implicit-def: $sgpr15
	s_xor_b64 exec, exec, s[44:45]
	s_cbranch_execnz .LBB55_1178
.LBB55_1072:
	s_or_b64 exec, exec, s[44:45]
	v_mov_b32_e32 v9, s15
	s_and_saveexec_b64 s[44:45], s[42:43]
.LBB55_1073:
	v_lshrrev_b32_e32 v7, 24, v7
	s_movk_i32 s15, 0x80
	v_and_or_b32 v9, v7, s15, v8
.LBB55_1074:
	s_or_b64 exec, exec, s[44:45]
.LBB55_1075:
	s_or_b64 exec, exec, s[40:41]
	global_store_byte v[0:1], v9, off
.LBB55_1076:
	s_mov_b64 s[40:41], -1
.LBB55_1077:
	s_mov_b64 s[42:43], 0
.LBB55_1078:
	s_and_b64 vcc, exec, s[42:43]
	s_cbranch_vccz .LBB55_1119
; %bb.1079:
	v_mov_b32_e32 v7, 22
	v_cmp_gt_i16_sdwa s[44:45], v2, v7 src0_sel:BYTE_0 src1_sel:DWORD
	s_mov_b64 s[42:43], -1
	s_and_b64 vcc, exec, s[44:45]
	s_cbranch_vccz .LBB55_1111
; %bb.1080:
	v_mov_b32_e32 v7, 24
	v_cmp_lt_i16_sdwa s[42:43], v2, v7 src0_sel:BYTE_0 src1_sel:DWORD
	s_mov_b64 s[40:41], -1
	s_and_b64 vcc, exec, s[42:43]
	s_cbranch_vccnz .LBB55_1100
; %bb.1081:
	v_cmp_gt_i16_sdwa s[42:43], v2, v7 src0_sel:BYTE_0 src1_sel:DWORD
	s_and_b64 vcc, exec, s[42:43]
	s_cbranch_vccz .LBB55_1089
; %bb.1082:
	v_cvt_f32_f16_e32 v7, v6
	s_mov_b32 s15, 0x47800000
	v_mov_b32_e32 v9, 0x80
	v_and_b32_e32 v8, 0x7fffffff, v7
	v_cmp_gt_u32_e32 vcc, s15, v8
	s_and_saveexec_b64 s[40:41], vcc
	s_cbranch_execz .LBB55_1088
; %bb.1083:
	s_mov_b32 s15, 0x37ffffff
	v_cmp_lt_u32_e32 vcc, s15, v8
	s_mov_b64 s[42:43], 0
                                        ; implicit-def: $vgpr8
	s_and_saveexec_b64 s[44:45], vcc
	s_xor_b64 s[44:45], exec, s[44:45]
	s_cbranch_execz .LBB55_2200
; %bb.1084:
	v_bfe_u32 v8, v7, 21, 1
	s_mov_b32 s15, 0x88fffff
	v_add3_u32 v8, v7, v8, s15
	s_mov_b64 s[42:43], exec
	v_lshrrev_b32_e32 v8, 21, v8
	s_or_saveexec_b64 s[44:45], s[44:45]
                                        ; implicit-def: $sgpr15
	s_xor_b64 exec, exec, s[44:45]
	s_cbranch_execnz .LBB55_2201
.LBB55_1085:
	s_or_b64 exec, exec, s[44:45]
	v_mov_b32_e32 v9, s15
	s_and_saveexec_b64 s[44:45], s[42:43]
.LBB55_1086:
	v_lshrrev_b32_e32 v7, 24, v7
	s_movk_i32 s15, 0x80
	v_and_or_b32 v9, v7, s15, v8
.LBB55_1087:
	s_or_b64 exec, exec, s[44:45]
.LBB55_1088:
	s_or_b64 exec, exec, s[40:41]
	s_mov_b64 s[40:41], 0
	global_store_byte v[0:1], v9, off
.LBB55_1089:
	s_and_b64 vcc, exec, s[40:41]
	s_cbranch_vccz .LBB55_1099
; %bb.1090:
	v_cvt_f32_f16_e32 v7, v6
	s_mov_b32 s15, 0x43f00000
                                        ; implicit-def: $vgpr8
	v_and_b32_e32 v9, 0x7fffffff, v7
	v_cmp_gt_u32_e32 vcc, s15, v9
	s_and_saveexec_b64 s[40:41], vcc
	s_xor_b64 s[40:41], exec, s[40:41]
	s_cbranch_execz .LBB55_1096
; %bb.1091:
	s_mov_b32 s15, 0x3c7fffff
	v_cmp_lt_u32_e32 vcc, s15, v9
                                        ; implicit-def: $vgpr8
	s_and_saveexec_b64 s[42:43], vcc
	s_xor_b64 s[42:43], exec, s[42:43]
; %bb.1092:
	v_bfe_u32 v8, v7, 20, 1
	s_mov_b32 s15, 0x407ffff
	v_add3_u32 v8, v7, v8, s15
	v_lshrrev_b32_e32 v9, 20, v8
	v_and_b32_e32 v8, 0xff00000, v8
	s_mov_b32 s15, 0x7f00000
	v_mov_b32_e32 v10, 0x7e
	v_cmp_ne_u32_e32 vcc, s15, v8
	v_cndmask_b32_e32 v8, v10, v9, vcc
; %bb.1093:
	s_andn2_saveexec_b64 s[42:43], s[42:43]
; %bb.1094:
	s_mov_b32 s15, 0x46800000
	v_add_f32_e64 v8, |v7|, s15
; %bb.1095:
	s_or_b64 exec, exec, s[42:43]
                                        ; implicit-def: $vgpr9
.LBB55_1096:
	s_andn2_saveexec_b64 s[40:41], s[40:41]
; %bb.1097:
	s_mov_b32 s15, 0x7f800000
	v_mov_b32_e32 v8, 0x7e
	v_mov_b32_e32 v10, 0x7f
	v_cmp_lt_u32_e32 vcc, s15, v9
	v_cndmask_b32_e32 v8, v8, v10, vcc
; %bb.1098:
	s_or_b64 exec, exec, s[40:41]
	v_lshrrev_b32_e32 v7, 24, v7
	s_movk_i32 s15, 0x80
	v_and_or_b32 v7, v7, s15, v8
	global_store_byte v[0:1], v7, off
.LBB55_1099:
	s_mov_b64 s[40:41], 0
.LBB55_1100:
	s_andn2_b64 vcc, exec, s[40:41]
	s_cbranch_vccnz .LBB55_1110
; %bb.1101:
	v_cvt_f32_f16_e32 v7, v6
	s_mov_b32 s15, 0x47800000
                                        ; implicit-def: $vgpr8
	v_and_b32_e32 v9, 0x7fffffff, v7
	v_cmp_gt_u32_e32 vcc, s15, v9
	s_and_saveexec_b64 s[40:41], vcc
	s_xor_b64 s[40:41], exec, s[40:41]
	s_cbranch_execz .LBB55_1107
; %bb.1102:
	s_mov_b32 s15, 0x387fffff
	v_cmp_lt_u32_e32 vcc, s15, v9
                                        ; implicit-def: $vgpr8
	s_and_saveexec_b64 s[42:43], vcc
	s_xor_b64 s[42:43], exec, s[42:43]
; %bb.1103:
	v_bfe_u32 v8, v7, 21, 1
	s_mov_b32 s15, 0x80fffff
	v_add3_u32 v8, v7, v8, s15
	v_lshrrev_b32_e32 v8, 21, v8
; %bb.1104:
	s_andn2_saveexec_b64 s[42:43], s[42:43]
; %bb.1105:
	s_mov_b32 s15, 0x43000000
	v_add_f32_e64 v8, |v7|, s15
; %bb.1106:
	s_or_b64 exec, exec, s[42:43]
                                        ; implicit-def: $vgpr9
.LBB55_1107:
	s_andn2_saveexec_b64 s[40:41], s[40:41]
; %bb.1108:
	s_mov_b32 s15, 0x7f800000
	v_mov_b32_e32 v8, 0x7c
	v_mov_b32_e32 v10, 0x7f
	v_cmp_lt_u32_e32 vcc, s15, v9
	v_cndmask_b32_e32 v8, v8, v10, vcc
; %bb.1109:
	s_or_b64 exec, exec, s[40:41]
	v_lshrrev_b32_e32 v7, 24, v7
	s_movk_i32 s15, 0x80
	v_and_or_b32 v7, v7, s15, v8
	global_store_byte v[0:1], v7, off
.LBB55_1110:
	s_mov_b64 s[42:43], 0
	s_mov_b64 s[40:41], -1
.LBB55_1111:
	s_andn2_b64 vcc, exec, s[42:43]
	s_cbranch_vccnz .LBB55_1119
; %bb.1112:
	v_mov_b32_e32 v7, 14
	v_cmp_gt_i16_sdwa s[44:45], v2, v7 src0_sel:BYTE_0 src1_sel:DWORD
	s_mov_b64 s[42:43], -1
	s_and_b64 vcc, exec, s[44:45]
	s_cbranch_vccz .LBB55_1116
; %bb.1113:
	v_mov_b32_e32 v7, 15
	v_cmp_eq_u16_sdwa s[42:43], v2, v7 src0_sel:BYTE_0 src1_sel:DWORD
	s_mov_b64 s[0:1], -1
	s_and_b64 vcc, exec, s[42:43]
	s_cbranch_vccz .LBB55_1115
; %bb.1114:
	v_cvt_f32_f16_e32 v7, v6
	s_movk_i32 s0, 0x7fff
	v_mov_b32_e32 v8, 0x7fc0
	v_cmp_o_f16_e32 vcc, v6, v6
	v_bfe_u32 v9, v7, 16, 1
	v_add3_u32 v7, v7, v9, s0
	v_lshrrev_b32_e32 v7, 16, v7
	v_cndmask_b32_e32 v7, v8, v7, vcc
	global_store_short v[0:1], v7, off
	s_mov_b64 s[40:41], -1
	s_mov_b64 s[0:1], 0
.LBB55_1115:
	s_mov_b64 s[42:43], 0
.LBB55_1116:
	s_and_b64 vcc, exec, s[42:43]
	s_cbranch_vccz .LBB55_1119
; %bb.1117:
	v_mov_b32_e32 v7, 11
	v_cmp_eq_u16_sdwa s[42:43], v2, v7 src0_sel:BYTE_0 src1_sel:DWORD
	s_mov_b64 s[0:1], -1
	s_and_b64 vcc, exec, s[42:43]
	s_cbranch_vccz .LBB55_1119
; %bb.1118:
	v_and_b32_e32 v7, 0x7fff, v6
	v_cmp_ne_u16_e32 vcc, 0, v7
	v_cndmask_b32_e64 v7, 0, 1, vcc
	s_mov_b64 s[40:41], -1
	s_mov_b64 s[0:1], 0
	global_store_byte v[0:1], v7, off
.LBB55_1119:
	s_mov_b64 s[42:43], 0
.LBB55_1120:
	s_and_b64 vcc, exec, s[42:43]
	s_cbranch_vccz .LBB55_1159
; %bb.1121:
	v_mov_b32_e32 v7, 5
	v_cmp_lt_i16_sdwa s[42:43], v2, v7 src0_sel:BYTE_0 src1_sel:DWORD
	s_mov_b64 s[40:41], -1
	s_and_b64 vcc, exec, s[42:43]
	s_cbranch_vccnz .LBB55_1142
; %bb.1122:
	v_mov_b32_e32 v7, 8
	v_cmp_lt_i16_sdwa s[42:43], v2, v7 src0_sel:BYTE_0 src1_sel:DWORD
	s_and_b64 vcc, exec, s[42:43]
	s_cbranch_vccnz .LBB55_1132
; %bb.1123:
	v_mov_b32_e32 v7, 9
	v_cmp_lt_i16_sdwa s[42:43], v2, v7 src0_sel:BYTE_0 src1_sel:DWORD
	s_and_b64 vcc, exec, s[42:43]
	s_cbranch_vccnz .LBB55_1129
; %bb.1124:
	v_cmp_gt_i16_sdwa s[42:43], v2, v7 src0_sel:BYTE_0 src1_sel:DWORD
	s_and_b64 vcc, exec, s[42:43]
	s_cbranch_vccz .LBB55_1126
; %bb.1125:
	v_cvt_f32_f16_e32 v7, v6
	v_mov_b32_e32 v10, 0
	v_mov_b32_e32 v11, v10
	s_mov_b64 s[40:41], 0
	v_cvt_f64_f32_e32 v[8:9], v7
	global_store_dwordx4 v[0:1], v[8:11], off
.LBB55_1126:
	s_andn2_b64 vcc, exec, s[40:41]
	s_cbranch_vccnz .LBB55_1128
; %bb.1127:
	v_cvt_f32_f16_e32 v8, v6
	v_mov_b32_e32 v9, 0
	global_store_dwordx2 v[0:1], v[8:9], off
.LBB55_1128:
	s_mov_b64 s[40:41], 0
.LBB55_1129:
	s_andn2_b64 vcc, exec, s[40:41]
	s_cbranch_vccnz .LBB55_1131
; %bb.1130:
	v_and_b32_e32 v7, 0xffff, v6
	global_store_dword v[0:1], v7, off
.LBB55_1131:
	s_mov_b64 s[40:41], 0
.LBB55_1132:
	s_andn2_b64 vcc, exec, s[40:41]
	s_cbranch_vccnz .LBB55_1141
; %bb.1133:
	v_mov_b32_e32 v7, 6
	v_cmp_lt_i16_sdwa s[42:43], v2, v7 src0_sel:BYTE_0 src1_sel:DWORD
	s_mov_b64 s[40:41], -1
	s_and_b64 vcc, exec, s[42:43]
	s_cbranch_vccnz .LBB55_1139
; %bb.1134:
	v_cmp_gt_i16_sdwa s[42:43], v2, v7 src0_sel:BYTE_0 src1_sel:DWORD
	s_and_b64 vcc, exec, s[42:43]
	s_cbranch_vccz .LBB55_1136
; %bb.1135:
	v_cvt_f32_f16_e32 v7, v6
	s_mov_b64 s[40:41], 0
	v_cvt_f64_f32_e32 v[8:9], v7
	global_store_dwordx2 v[0:1], v[8:9], off
.LBB55_1136:
	s_andn2_b64 vcc, exec, s[40:41]
	s_cbranch_vccnz .LBB55_1138
; %bb.1137:
	v_cvt_f32_f16_e32 v7, v6
	global_store_dword v[0:1], v7, off
.LBB55_1138:
	s_mov_b64 s[40:41], 0
.LBB55_1139:
	s_andn2_b64 vcc, exec, s[40:41]
	s_cbranch_vccnz .LBB55_1141
; %bb.1140:
	global_store_short v[0:1], v6, off
.LBB55_1141:
	s_mov_b64 s[40:41], 0
.LBB55_1142:
	s_andn2_b64 vcc, exec, s[40:41]
	s_cbranch_vccnz .LBB55_1158
; %bb.1143:
	v_mov_b32_e32 v7, 2
	v_cmp_lt_i16_sdwa s[42:43], v2, v7 src0_sel:BYTE_0 src1_sel:DWORD
	s_mov_b64 s[40:41], -1
	s_and_b64 vcc, exec, s[42:43]
	s_cbranch_vccnz .LBB55_1153
; %bb.1144:
	v_mov_b32_e32 v7, 3
	v_cmp_lt_i16_sdwa s[42:43], v2, v7 src0_sel:BYTE_0 src1_sel:DWORD
	s_and_b64 vcc, exec, s[42:43]
	s_cbranch_vccnz .LBB55_1150
; %bb.1145:
	v_cmp_gt_i16_sdwa s[42:43], v2, v7 src0_sel:BYTE_0 src1_sel:DWORD
	s_and_b64 vcc, exec, s[42:43]
	s_cbranch_vccz .LBB55_1147
; %bb.1146:
	v_cvt_f32_f16_e32 v7, v6
	s_mov_b64 s[40:41], 0
	v_cvt_i32_f32_e32 v8, v7
	v_ashrrev_i32_e32 v9, 31, v8
	global_store_dwordx2 v[0:1], v[8:9], off
.LBB55_1147:
	s_andn2_b64 vcc, exec, s[40:41]
	s_cbranch_vccnz .LBB55_1149
; %bb.1148:
	v_cvt_f32_f16_e32 v7, v6
	v_cvt_i32_f32_e32 v7, v7
	global_store_dword v[0:1], v7, off
.LBB55_1149:
	s_mov_b64 s[40:41], 0
.LBB55_1150:
	s_andn2_b64 vcc, exec, s[40:41]
	s_cbranch_vccnz .LBB55_1152
; %bb.1151:
	v_cvt_i16_f16_e32 v7, v6
	global_store_short v[0:1], v7, off
.LBB55_1152:
	s_mov_b64 s[40:41], 0
.LBB55_1153:
	s_andn2_b64 vcc, exec, s[40:41]
	s_cbranch_vccnz .LBB55_1158
; %bb.1154:
	v_mov_b32_e32 v7, 0
	v_cmp_gt_i16_sdwa s[42:43], v2, v7 src0_sel:BYTE_0 src1_sel:DWORD
	s_mov_b64 s[40:41], -1
	s_and_b64 vcc, exec, s[42:43]
	s_cbranch_vccz .LBB55_1156
; %bb.1155:
	v_cvt_i16_f16_e32 v7, v6
	s_mov_b64 s[40:41], 0
	global_store_byte v[0:1], v7, off
.LBB55_1156:
	s_andn2_b64 vcc, exec, s[40:41]
	s_cbranch_vccnz .LBB55_1158
; %bb.1157:
	v_cvt_f32_f16_e32 v6, v6
	v_cvt_i32_f32_e32 v6, v6
	global_store_byte v[0:1], v6, off
.LBB55_1158:
	s_mov_b64 s[40:41], -1
.LBB55_1159:
	s_andn2_b64 vcc, exec, s[40:41]
	s_cbranch_vccnz .LBB55_1172
; %bb.1160:
	v_add_u32_e32 v3, 0x80, v3
	s_mov_b64 s[42:43], -1
.LBB55_1161:
	s_andn2_b64 s[40:41], s[28:29], exec
	s_and_b64 s[0:1], s[0:1], exec
	s_or_b64 s[40:41], s[40:41], s[0:1]
	s_andn2_b64 s[0:1], s[26:27], exec
	s_and_b64 s[38:39], s[38:39], exec
	s_or_b64 s[38:39], s[0:1], s[38:39]
	;; [unrolled: 3-line block ×3, first 2 shown]
	s_orn2_b64 s[46:47], s[42:43], exec
.LBB55_1162:
	s_or_b64 exec, exec, s[34:35]
	s_mov_b64 s[42:43], 0
	s_mov_b64 s[36:37], 0
	;; [unrolled: 1-line block ×3, first 2 shown]
                                        ; implicit-def: $vgpr7
                                        ; implicit-def: $vgpr0_vgpr1
                                        ; implicit-def: $vgpr6
	s_and_saveexec_b64 s[34:35], s[46:47]
	s_cbranch_execz .LBB55_1246
; %bb.1163:
	v_cmp_gt_i32_e32 vcc, s33, v3
	s_mov_b64 s[46:47], 0
	s_mov_b64 s[48:49], s[0:1]
	;; [unrolled: 1-line block ×4, first 2 shown]
                                        ; implicit-def: $vgpr7
                                        ; implicit-def: $vgpr0_vgpr1
                                        ; implicit-def: $vgpr6
	s_and_saveexec_b64 s[36:37], vcc
	s_cbranch_execz .LBB55_1245
; %bb.1164:
	v_mul_lo_u32 v0, v3, s13
	v_ashrrev_i32_e32 v1, 31, v0
	s_waitcnt vmcnt(0)
	v_mov_b32_e32 v6, s11
	v_add_co_u32_e32 v0, vcc, s10, v0
	v_addc_co_u32_e32 v1, vcc, v6, v1, vcc
	v_and_b32_e32 v7, 0xff, v5
	v_cmp_gt_i16_e32 vcc, 11, v7
	s_cbranch_vccnz .LBB55_1171
; %bb.1165:
	v_cmp_lt_i16_e32 vcc, 25, v7
	s_cbranch_vccz .LBB55_1173
; %bb.1166:
	v_cmp_lt_i16_e32 vcc, 28, v7
	s_cbranch_vccz .LBB55_1174
	;; [unrolled: 3-line block ×4, first 2 shown]
; %bb.1169:
	v_cmp_eq_u16_e32 vcc, 46, v7
	s_mov_b64 s[48:49], 0
	s_cbranch_vccz .LBB55_1179
; %bb.1170:
	global_load_dword v5, v[0:1], off
	s_mov_b64 s[46:47], -1
	s_waitcnt vmcnt(0)
	v_lshlrev_b32_e32 v5, 16, v5
	v_cvt_f16_f32_e32 v6, v5
	s_branch .LBB55_1181
.LBB55_1171:
	s_mov_b64 s[48:49], -1
                                        ; implicit-def: $vgpr6
	s_mov_b64 s[42:43], s[0:1]
	s_branch .LBB55_1244
.LBB55_1172:
	s_mov_b64 s[42:43], 0
	s_branch .LBB55_914
.LBB55_1173:
	s_mov_b64 s[48:49], -1
	s_mov_b64 s[42:43], s[0:1]
                                        ; implicit-def: $vgpr6
	s_branch .LBB55_1210
.LBB55_1174:
	s_mov_b64 s[48:49], -1
	s_mov_b64 s[42:43], s[0:1]
                                        ; implicit-def: $vgpr6
	s_branch .LBB55_1191
.LBB55_1175:
	s_mov_b64 s[48:49], -1
	s_mov_b64 s[42:43], s[0:1]
                                        ; implicit-def: $vgpr6
	s_branch .LBB55_1186
.LBB55_1176:
	s_mov_b64 s[48:49], -1
	s_mov_b64 s[42:43], s[0:1]
	s_branch .LBB55_1180
.LBB55_1177:
	s_or_saveexec_b64 s[44:45], s[44:45]
                                        ; implicit-def: $sgpr15
	s_xor_b64 exec, exec, s[44:45]
	s_cbranch_execz .LBB55_1072
.LBB55_1178:
	s_mov_b32 s15, 0x46000000
	v_add_f32_e64 v8, |v7|, s15
	v_and_b32_e32 v8, 0xff, v8
	v_cmp_ne_u32_e32 vcc, 0, v8
	s_andn2_b64 s[42:43], s[42:43], exec
	s_and_b64 s[46:47], vcc, exec
	s_mov_b32 s15, 0
	s_or_b64 s[42:43], s[42:43], s[46:47]
	s_or_b64 exec, exec, s[44:45]
	v_mov_b32_e32 v9, s15
	s_and_saveexec_b64 s[44:45], s[42:43]
	s_cbranch_execnz .LBB55_1073
	s_branch .LBB55_1074
.LBB55_1179:
	s_mov_b64 s[42:43], -1
.LBB55_1180:
                                        ; implicit-def: $vgpr6
.LBB55_1181:
	s_and_b64 vcc, exec, s[48:49]
	s_cbranch_vccz .LBB55_1185
; %bb.1182:
	v_cmp_eq_u16_e32 vcc, 44, v7
	s_cbranch_vccz .LBB55_1184
; %bb.1183:
	global_load_ubyte v5, v[0:1], off
	s_movk_i32 s15, 0xff
	v_mov_b32_e32 v8, 0x7e00
	s_mov_b64 s[42:43], 0
	s_mov_b64 s[46:47], -1
	s_waitcnt vmcnt(0)
	v_lshlrev_b32_e32 v6, 23, v5
	v_cvt_f16_f32_e32 v6, v6
	v_cmp_ne_u32_e32 vcc, s15, v5
	v_cndmask_b32_e32 v6, v8, v6, vcc
	v_cmp_ne_u32_e32 vcc, 0, v5
	v_cndmask_b32_e32 v6, 0, v6, vcc
	s_branch .LBB55_1185
.LBB55_1184:
	s_mov_b64 s[42:43], -1
                                        ; implicit-def: $vgpr6
.LBB55_1185:
	s_mov_b64 s[48:49], 0
.LBB55_1186:
	s_and_b64 vcc, exec, s[48:49]
	s_cbranch_vccz .LBB55_1190
; %bb.1187:
	v_cmp_eq_u16_e32 vcc, 29, v7
	s_cbranch_vccz .LBB55_1189
; %bb.1188:
	global_load_dwordx2 v[8:9], v[0:1], off
	s_mov_b64 s[42:43], 0
	s_mov_b64 s[46:47], -1
	s_mov_b64 s[48:49], 0
	s_waitcnt vmcnt(0)
	v_ffbh_u32_e32 v5, v9
	v_min_u32_e32 v5, 32, v5
	v_lshlrev_b64 v[8:9], v5, v[8:9]
	v_min_u32_e32 v6, 1, v8
	v_or_b32_e32 v6, v9, v6
	v_cvt_f32_u32_e32 v6, v6
	v_sub_u32_e32 v5, 32, v5
	v_ldexp_f32 v5, v6, v5
	v_cvt_f16_f32_e32 v6, v5
	s_branch .LBB55_1191
.LBB55_1189:
	s_mov_b64 s[42:43], -1
                                        ; implicit-def: $vgpr6
.LBB55_1190:
	s_mov_b64 s[48:49], 0
.LBB55_1191:
	s_and_b64 vcc, exec, s[48:49]
	s_cbranch_vccz .LBB55_1209
; %bb.1192:
	v_cmp_gt_i16_e32 vcc, 27, v7
	s_cbranch_vccnz .LBB55_1195
; %bb.1193:
	v_cmp_lt_i16_e32 vcc, 27, v7
	s_cbranch_vccz .LBB55_1196
; %bb.1194:
	global_load_dword v5, v[0:1], off
	s_mov_b64 s[46:47], 0
	s_waitcnt vmcnt(0)
	v_cvt_f32_u32_e32 v5, v5
	v_cvt_f16_f32_e32 v6, v5
	s_branch .LBB55_1197
.LBB55_1195:
	s_mov_b64 s[46:47], -1
                                        ; implicit-def: $vgpr6
	s_branch .LBB55_1200
.LBB55_1196:
	s_mov_b64 s[46:47], -1
                                        ; implicit-def: $vgpr6
.LBB55_1197:
	s_andn2_b64 vcc, exec, s[46:47]
	s_cbranch_vccnz .LBB55_1199
; %bb.1198:
	global_load_ushort v5, v[0:1], off
	s_waitcnt vmcnt(0)
	v_cvt_f16_u16_e32 v6, v5
.LBB55_1199:
	s_mov_b64 s[46:47], 0
.LBB55_1200:
	s_andn2_b64 vcc, exec, s[46:47]
	s_cbranch_vccnz .LBB55_1208
; %bb.1201:
	global_load_ubyte v5, v[0:1], off
	s_movk_i32 s15, 0x7f
	s_mov_b64 s[46:47], 0
	s_waitcnt vmcnt(0)
	v_cmp_lt_i16_e32 vcc, s15, v5
                                        ; implicit-def: $sgpr15
	s_and_saveexec_b64 s[48:49], vcc
	s_xor_b64 s[48:49], exec, s[48:49]
	s_cbranch_execz .LBB55_1222
; %bb.1202:
	s_movk_i32 s15, 0x80
	v_cmp_eq_u16_e32 vcc, s15, v5
	s_mov_b64 s[46:47], -1
                                        ; implicit-def: $sgpr15
	s_and_saveexec_b64 s[50:51], vcc
; %bb.1203:
	s_movk_i32 s15, 0x7e00
	s_xor_b64 s[46:47], exec, -1
; %bb.1204:
	s_or_b64 exec, exec, s[50:51]
	s_and_b64 s[46:47], s[46:47], exec
	s_or_saveexec_b64 s[48:49], s[48:49]
	v_mov_b32_e32 v6, s15
	s_xor_b64 exec, exec, s[48:49]
	s_cbranch_execnz .LBB55_1223
.LBB55_1205:
	s_or_b64 exec, exec, s[48:49]
	s_and_saveexec_b64 s[48:49], s[46:47]
	s_cbranch_execz .LBB55_1207
.LBB55_1206:
	v_lshlrev_b32_e32 v6, 24, v5
	v_and_b32_e32 v5, 0xffff, v5
	v_and_b32_e32 v8, 7, v5
	v_ffbh_u32_e32 v10, v8
	v_min_u32_e32 v10, 32, v10
	v_subrev_u32_e32 v11, 28, v10
	v_bfe_u32 v9, v5, 3, 4
	v_lshlrev_b32_e32 v5, v11, v5
	v_sub_u32_e32 v10, 29, v10
	v_and_b32_e32 v5, 7, v5
	v_cmp_eq_u32_e32 vcc, 0, v9
	v_cndmask_b32_e32 v9, v9, v10, vcc
	v_cndmask_b32_e32 v5, v8, v5, vcc
	v_mov_b32_e32 v8, 0x3b800000
	v_lshlrev_b32_e32 v5, 20, v5
	v_and_b32_e32 v6, 0x80000000, v6
	v_lshl_add_u32 v8, v9, 23, v8
	v_or3_b32 v5, v6, v8, v5
	v_cvt_f16_f32_e32 v6, v5
.LBB55_1207:
	s_or_b64 exec, exec, s[48:49]
.LBB55_1208:
	s_mov_b64 s[46:47], -1
.LBB55_1209:
	s_mov_b64 s[48:49], 0
.LBB55_1210:
	s_and_b64 vcc, exec, s[48:49]
	s_cbranch_vccz .LBB55_1243
; %bb.1211:
	v_cmp_lt_i16_e32 vcc, 22, v7
	s_cbranch_vccz .LBB55_1221
; %bb.1212:
	v_cmp_gt_i16_e32 vcc, 24, v7
	s_cbranch_vccnz .LBB55_1224
; %bb.1213:
	v_cmp_lt_i16_e32 vcc, 24, v7
	s_cbranch_vccz .LBB55_1225
; %bb.1214:
	global_load_ubyte v5, v[0:1], off
	s_movk_i32 s15, 0x7f
	s_waitcnt vmcnt(0)
	v_cmp_lt_i16_e32 vcc, s15, v5
                                        ; implicit-def: $sgpr15
	s_and_saveexec_b64 s[46:47], vcc
	s_xor_b64 s[46:47], exec, s[46:47]
	s_cbranch_execz .LBB55_1237
; %bb.1215:
	s_movk_i32 s15, 0x80
	v_cmp_eq_u16_e32 vcc, s15, v5
	s_mov_b64 s[44:45], -1
                                        ; implicit-def: $sgpr15
	s_and_saveexec_b64 s[48:49], vcc
; %bb.1216:
	s_movk_i32 s15, 0x7e00
	s_xor_b64 s[44:45], exec, -1
; %bb.1217:
	s_or_b64 exec, exec, s[48:49]
	s_and_b64 s[44:45], s[44:45], exec
	s_or_saveexec_b64 s[46:47], s[46:47]
	v_mov_b32_e32 v6, s15
	s_xor_b64 exec, exec, s[46:47]
	s_cbranch_execnz .LBB55_1238
.LBB55_1218:
	s_or_b64 exec, exec, s[46:47]
	s_and_saveexec_b64 s[46:47], s[44:45]
	s_cbranch_execz .LBB55_1220
.LBB55_1219:
	v_lshlrev_b32_e32 v6, 24, v5
	v_and_b32_e32 v5, 0xffff, v5
	v_and_b32_e32 v8, 3, v5
	v_ffbh_u32_e32 v10, v8
	v_min_u32_e32 v10, 32, v10
	v_subrev_u32_e32 v11, 29, v10
	v_bfe_u32 v9, v5, 2, 5
	v_lshlrev_b32_e32 v5, v11, v5
	v_sub_u32_e32 v10, 30, v10
	v_and_b32_e32 v5, 3, v5
	v_cmp_eq_u32_e32 vcc, 0, v9
	v_cndmask_b32_e32 v9, v9, v10, vcc
	v_cndmask_b32_e32 v5, v8, v5, vcc
	v_mov_b32_e32 v8, 0x37800000
	v_lshlrev_b32_e32 v5, 21, v5
	v_and_b32_e32 v6, 0x80000000, v6
	v_lshl_add_u32 v8, v9, 23, v8
	v_or3_b32 v5, v6, v8, v5
	v_cvt_f16_f32_e32 v6, v5
.LBB55_1220:
	s_or_b64 exec, exec, s[46:47]
	s_mov_b64 s[44:45], 0
	s_branch .LBB55_1226
.LBB55_1221:
	s_mov_b64 s[44:45], -1
                                        ; implicit-def: $vgpr6
	s_branch .LBB55_1232
.LBB55_1222:
	s_or_saveexec_b64 s[48:49], s[48:49]
	v_mov_b32_e32 v6, s15
	s_xor_b64 exec, exec, s[48:49]
	s_cbranch_execz .LBB55_1205
.LBB55_1223:
	v_cmp_ne_u16_e32 vcc, 0, v5
	s_andn2_b64 s[46:47], s[46:47], exec
	s_and_b64 s[50:51], vcc, exec
	s_or_b64 s[46:47], s[46:47], s[50:51]
	v_mov_b32_e32 v6, v5
	s_or_b64 exec, exec, s[48:49]
	s_and_saveexec_b64 s[48:49], s[46:47]
	s_cbranch_execnz .LBB55_1206
	s_branch .LBB55_1207
.LBB55_1224:
	s_mov_b64 s[44:45], -1
                                        ; implicit-def: $vgpr6
	s_branch .LBB55_1229
.LBB55_1225:
	s_mov_b64 s[44:45], -1
                                        ; implicit-def: $vgpr6
.LBB55_1226:
	s_and_b64 vcc, exec, s[44:45]
	s_cbranch_vccz .LBB55_1228
; %bb.1227:
	global_load_ubyte v5, v[0:1], off
	s_mov_b32 s15, 0x7f800000
	s_waitcnt vmcnt(0)
	v_lshlrev_b32_e32 v5, 24, v5
	v_and_b32_e32 v6, 0x7f000000, v5
	v_ffbh_u32_e32 v8, v6
	v_min_u32_e32 v8, 32, v8
	v_sub_u32_e64 v8, v8, 4 clamp
	v_lshlrev_b32_e32 v10, v8, v6
	v_lshlrev_b32_e32 v8, 23, v8
	v_lshrrev_b32_e32 v10, 4, v10
	v_add_u32_e32 v9, 0x1000000, v6
	v_sub_u32_e32 v8, v10, v8
	v_ashrrev_i32_e32 v9, 8, v9
	v_add_u32_e32 v8, 0x3c000000, v8
	v_and_or_b32 v8, v9, s15, v8
	v_cmp_ne_u32_e32 vcc, 0, v6
	v_cndmask_b32_e32 v6, 0, v8, vcc
	s_brev_b32 s15, 1
	v_and_or_b32 v5, v5, s15, v6
	v_cvt_f16_f32_e32 v6, v5
.LBB55_1228:
	s_mov_b64 s[44:45], 0
.LBB55_1229:
	s_andn2_b64 vcc, exec, s[44:45]
	s_cbranch_vccnz .LBB55_1231
; %bb.1230:
	global_load_ubyte v5, v[0:1], off
	s_movk_i32 s15, 0x7f00
	s_brev_b32 s33, 16
	s_waitcnt vmcnt(0)
	v_lshlrev_b16_e32 v6, 8, v5
	v_lshlrev_b32_e32 v5, 25, v5
	v_lshrrev_b32_e32 v8, 4, v5
	v_and_or_b32 v9, v6, s15, 0.5
	v_or_b32_e32 v8, 0x70000000, v8
	v_add_f32_e32 v9, -0.5, v9
	v_mul_f32_e32 v8, 0x7800000, v8
	v_cmp_gt_u32_e32 vcc, s33, v5
	v_bfe_i32 v6, v6, 0, 16
	v_cndmask_b32_e32 v5, v8, v9, vcc
	s_brev_b32 s15, 1
	v_and_or_b32 v5, v6, s15, v5
	v_cvt_f16_f32_e32 v6, v5
.LBB55_1231:
	s_mov_b64 s[44:45], 0
	s_mov_b64 s[46:47], -1
.LBB55_1232:
	s_andn2_b64 vcc, exec, s[44:45]
	s_mov_b64 s[44:45], 0
	s_cbranch_vccnz .LBB55_1243
; %bb.1233:
	v_cmp_lt_i16_e32 vcc, 14, v7
	s_cbranch_vccz .LBB55_1236
; %bb.1234:
	v_cmp_eq_u16_e32 vcc, 15, v7
	s_cbranch_vccz .LBB55_1239
; %bb.1235:
	global_load_ushort v5, v[0:1], off
	s_mov_b64 s[42:43], 0
	s_mov_b64 s[46:47], -1
	s_waitcnt vmcnt(0)
	v_lshlrev_b32_e32 v5, 16, v5
	v_cvt_f16_f32_e32 v6, v5
	s_branch .LBB55_1240
.LBB55_1236:
	s_mov_b64 s[48:49], -1
                                        ; implicit-def: $vgpr6
	s_branch .LBB55_1241
.LBB55_1237:
	s_or_saveexec_b64 s[46:47], s[46:47]
	v_mov_b32_e32 v6, s15
	s_xor_b64 exec, exec, s[46:47]
	s_cbranch_execz .LBB55_1218
.LBB55_1238:
	v_cmp_ne_u16_e32 vcc, 0, v5
	s_andn2_b64 s[44:45], s[44:45], exec
	s_and_b64 s[48:49], vcc, exec
	s_or_b64 s[44:45], s[44:45], s[48:49]
	v_mov_b32_e32 v6, v5
	s_or_b64 exec, exec, s[46:47]
	s_and_saveexec_b64 s[46:47], s[44:45]
	s_cbranch_execnz .LBB55_1219
	s_branch .LBB55_1220
.LBB55_1239:
	s_mov_b64 s[42:43], -1
                                        ; implicit-def: $vgpr6
.LBB55_1240:
	s_mov_b64 s[48:49], 0
.LBB55_1241:
	s_and_b64 vcc, exec, s[48:49]
	s_cbranch_vccz .LBB55_1243
; %bb.1242:
	v_cmp_ne_u16_e32 vcc, 11, v7
	s_andn2_b64 s[42:43], s[42:43], exec
	s_and_b64 s[48:49], vcc, exec
	s_mov_b64 s[44:45], -1
	s_or_b64 s[42:43], s[42:43], s[48:49]
                                        ; implicit-def: $vgpr6
.LBB55_1243:
	s_mov_b64 s[48:49], 0
.LBB55_1244:
	s_and_b64 s[52:53], s[46:47], exec
	s_and_b64 s[46:47], s[44:45], exec
	s_andn2_b64 s[44:45], s[0:1], exec
	s_and_b64 s[42:43], s[42:43], exec
	s_and_b64 s[50:51], s[48:49], exec
	s_or_b64 s[48:49], s[44:45], s[42:43]
.LBB55_1245:
	s_or_b64 exec, exec, s[36:37]
	s_and_b64 s[42:43], s[46:47], exec
	s_andn2_b64 s[0:1], s[0:1], exec
	s_and_b64 s[46:47], s[48:49], exec
	s_and_b64 s[44:45], s[52:53], exec
	;; [unrolled: 1-line block ×3, first 2 shown]
	s_or_b64 s[0:1], s[0:1], s[46:47]
.LBB55_1246:
	s_or_b64 exec, exec, s[34:35]
	s_andn2_b64 s[28:29], s[28:29], exec
	s_and_b64 s[34:35], s[40:41], exec
	s_or_b64 s[28:29], s[28:29], s[34:35]
	s_andn2_b64 s[26:27], s[26:27], exec
	s_and_b64 s[34:35], s[38:39], exec
	s_andn2_b64 s[24:25], s[24:25], exec
	s_and_b64 s[0:1], s[0:1], exec
	s_or_b64 s[26:27], s[26:27], s[34:35]
	s_and_b64 s[38:39], s[44:45], exec
	s_and_b64 s[36:37], s[36:37], exec
	;; [unrolled: 1-line block ×3, first 2 shown]
	s_or_b64 s[24:25], s[24:25], s[0:1]
.LBB55_1247:
	s_or_b64 exec, exec, s[30:31]
	s_andn2_b64 s[0:1], s[6:7], exec
	s_and_b64 s[6:7], s[28:29], exec
	s_or_b64 s[6:7], s[0:1], s[6:7]
	s_andn2_b64 s[0:1], s[18:19], exec
	s_and_b64 s[18:19], s[26:27], exec
	s_or_b64 s[18:19], s[0:1], s[18:19]
	s_andn2_b64 s[0:1], s[20:21], exec
	s_and_b64 s[20:21], s[24:25], exec
	s_and_b64 s[28:29], s[38:39], exec
	;; [unrolled: 1-line block ×4, first 2 shown]
	s_or_b64 s[20:21], s[0:1], s[20:21]
	s_or_b64 exec, exec, s[22:23]
	s_mov_b64 s[22:23], 0
	s_and_saveexec_b64 s[0:1], s[20:21]
	s_cbranch_execz .LBB55_393
.LBB55_1248:
	s_mov_b64 s[22:23], exec
	s_andn2_b64 s[26:27], s[26:27], exec
	s_trap 2
                                        ; implicit-def: $vgpr6
	s_or_b64 exec, exec, s[0:1]
	s_and_saveexec_b64 s[0:1], s[26:27]
	s_xor_b64 s[0:1], exec, s[0:1]
	s_cbranch_execnz .LBB55_394
.LBB55_1249:
	s_or_b64 exec, exec, s[0:1]
	s_and_saveexec_b64 s[0:1], s[30:31]
	s_cbranch_execz .LBB55_1295
.LBB55_1250:
	s_waitcnt vmcnt(0)
	v_cmp_gt_i16_e32 vcc, 5, v7
	s_cbranch_vccnz .LBB55_1255
; %bb.1251:
	v_cmp_gt_i16_e32 vcc, 8, v7
	s_cbranch_vccnz .LBB55_1256
; %bb.1252:
	;; [unrolled: 3-line block ×3, first 2 shown]
	v_cmp_lt_i16_e32 vcc, 9, v7
	s_cbranch_vccz .LBB55_1258
; %bb.1254:
	global_load_dwordx2 v[8:9], v[0:1], off
	s_mov_b64 s[20:21], 0
	s_waitcnt vmcnt(0)
	v_cvt_f32_f64_e32 v5, v[8:9]
	v_cvt_f16_f32_e32 v6, v5
	s_branch .LBB55_1259
.LBB55_1255:
                                        ; implicit-def: $vgpr6
	s_branch .LBB55_1276
.LBB55_1256:
                                        ; implicit-def: $vgpr6
	s_branch .LBB55_1265
.LBB55_1257:
	s_mov_b64 s[20:21], -1
                                        ; implicit-def: $vgpr6
	s_branch .LBB55_1262
.LBB55_1258:
	s_mov_b64 s[20:21], -1
                                        ; implicit-def: $vgpr6
.LBB55_1259:
	s_andn2_b64 vcc, exec, s[20:21]
	s_cbranch_vccnz .LBB55_1261
; %bb.1260:
	global_load_dword v5, v[0:1], off
	s_waitcnt vmcnt(0)
	v_cvt_f16_f32_e32 v6, v5
.LBB55_1261:
	s_mov_b64 s[20:21], 0
.LBB55_1262:
	s_andn2_b64 vcc, exec, s[20:21]
	s_cbranch_vccnz .LBB55_1264
; %bb.1263:
	global_load_dword v6, v[0:1], off
.LBB55_1264:
	s_cbranch_execnz .LBB55_1275
.LBB55_1265:
	v_cmp_gt_i16_e32 vcc, 6, v7
	s_cbranch_vccnz .LBB55_1268
; %bb.1266:
	v_cmp_lt_i16_e32 vcc, 6, v7
	s_cbranch_vccz .LBB55_1269
; %bb.1267:
	global_load_dwordx2 v[8:9], v[0:1], off
	s_mov_b64 s[20:21], 0
	s_waitcnt vmcnt(0)
	v_cvt_f32_f64_e32 v5, v[8:9]
	v_cvt_f16_f32_e32 v6, v5
	s_branch .LBB55_1270
.LBB55_1268:
	s_mov_b64 s[20:21], -1
                                        ; implicit-def: $vgpr6
	s_branch .LBB55_1273
.LBB55_1269:
	s_mov_b64 s[20:21], -1
                                        ; implicit-def: $vgpr6
.LBB55_1270:
	s_andn2_b64 vcc, exec, s[20:21]
	s_cbranch_vccnz .LBB55_1272
; %bb.1271:
	global_load_dword v5, v[0:1], off
	s_waitcnt vmcnt(0)
	v_cvt_f16_f32_e32 v6, v5
.LBB55_1272:
	s_mov_b64 s[20:21], 0
.LBB55_1273:
	s_andn2_b64 vcc, exec, s[20:21]
	s_cbranch_vccnz .LBB55_1275
; %bb.1274:
	global_load_ushort v6, v[0:1], off
.LBB55_1275:
	s_cbranch_execnz .LBB55_1294
.LBB55_1276:
	v_cmp_gt_i16_e32 vcc, 2, v7
	s_cbranch_vccnz .LBB55_1280
; %bb.1277:
	v_cmp_gt_i16_e32 vcc, 3, v7
	s_cbranch_vccnz .LBB55_1281
; %bb.1278:
	v_cmp_lt_i16_e32 vcc, 3, v7
	s_cbranch_vccz .LBB55_1282
; %bb.1279:
	global_load_dwordx2 v[8:9], v[0:1], off
	s_mov_b64 s[20:21], 0
	s_waitcnt vmcnt(0)
	v_xor_b32_e32 v6, v8, v9
	v_ffbh_i32_e32 v5, v9
	v_ashrrev_i32_e32 v6, 31, v6
	v_add_u32_e32 v5, -1, v5
	v_add_u32_e32 v6, 32, v6
	v_min_u32_e32 v5, v5, v6
	v_lshlrev_b64 v[8:9], v5, v[8:9]
	v_min_u32_e32 v6, 1, v8
	v_or_b32_e32 v6, v9, v6
	v_cvt_f32_i32_e32 v6, v6
	v_sub_u32_e32 v5, 32, v5
	v_ldexp_f32 v5, v6, v5
	v_cvt_f16_f32_e32 v6, v5
	s_branch .LBB55_1283
.LBB55_1280:
                                        ; implicit-def: $vgpr6
	s_branch .LBB55_1289
.LBB55_1281:
	s_mov_b64 s[20:21], -1
                                        ; implicit-def: $vgpr6
	s_branch .LBB55_1286
.LBB55_1282:
	s_mov_b64 s[20:21], -1
                                        ; implicit-def: $vgpr6
.LBB55_1283:
	s_andn2_b64 vcc, exec, s[20:21]
	s_cbranch_vccnz .LBB55_1285
; %bb.1284:
	global_load_dword v5, v[0:1], off
	s_waitcnt vmcnt(0)
	v_cvt_f32_i32_e32 v5, v5
	v_cvt_f16_f32_e32 v6, v5
.LBB55_1285:
	s_mov_b64 s[20:21], 0
.LBB55_1286:
	s_andn2_b64 vcc, exec, s[20:21]
	s_cbranch_vccnz .LBB55_1288
; %bb.1287:
	global_load_ushort v5, v[0:1], off
	s_waitcnt vmcnt(0)
	v_cvt_f16_i16_e32 v6, v5
.LBB55_1288:
	s_cbranch_execnz .LBB55_1294
.LBB55_1289:
	v_cmp_lt_i16_e32 vcc, 0, v7
	s_cbranch_vccz .LBB55_1291
; %bb.1290:
	global_load_sbyte v5, v[0:1], off
	s_mov_b64 s[20:21], 0
	s_waitcnt vmcnt(0)
	v_cvt_f16_i16_e32 v6, v5
	s_branch .LBB55_1292
.LBB55_1291:
	s_mov_b64 s[20:21], -1
                                        ; implicit-def: $vgpr6
.LBB55_1292:
	s_andn2_b64 vcc, exec, s[20:21]
	s_cbranch_vccnz .LBB55_1294
; %bb.1293:
	global_load_ubyte v0, v[0:1], off
	s_waitcnt vmcnt(0)
	v_cvt_f16_u16_e32 v6, v0
.LBB55_1294:
	s_or_b64 s[28:29], s[28:29], exec
.LBB55_1295:
	s_or_b64 exec, exec, s[0:1]
	s_mov_b64 s[24:25], 0
	s_mov_b64 s[30:31], 0
	s_mov_b64 s[26:27], 0
                                        ; implicit-def: $vgpr5
                                        ; implicit-def: $vgpr0_vgpr1
                                        ; implicit-def: $vgpr7
	s_and_saveexec_b64 s[0:1], s[28:29]
	s_cbranch_execz .LBB55_1303
; %bb.1296:
	v_mul_lo_u32 v0, v3, s14
	v_ashrrev_i32_e32 v1, 31, v0
	v_mov_b32_e32 v5, s3
	v_add_co_u32_e32 v0, vcc, s2, v0
	v_addc_co_u32_e32 v1, vcc, v5, v1, vcc
	s_waitcnt vmcnt(0)
	v_and_b32_e32 v5, 0xff, v4
	v_cmp_gt_i16_e32 vcc, 11, v5
	s_cbranch_vccnz .LBB55_1306
; %bb.1297:
	v_cmp_lt_i16_e32 vcc, 25, v5
	s_cbranch_vccz .LBB55_1307
; %bb.1298:
	v_cmp_lt_i16_e32 vcc, 28, v5
	s_cbranch_vccz .LBB55_1308
	;; [unrolled: 3-line block ×4, first 2 shown]
; %bb.1301:
	v_cmp_eq_u16_e32 vcc, 46, v5
	s_mov_b64 s[28:29], 0
	s_cbranch_vccz .LBB55_1311
; %bb.1302:
	global_load_dword v4, v[0:1], off
	s_mov_b64 s[20:21], 0
	s_mov_b64 s[26:27], -1
	s_waitcnt vmcnt(0)
	v_lshlrev_b32_e32 v4, 16, v4
	v_cvt_f16_f32_e32 v7, v4
	s_branch .LBB55_1313
.LBB55_1303:
	s_or_b64 exec, exec, s[0:1]
	s_and_saveexec_b64 s[0:1], s[18:19]
	s_cbranch_execnz .LBB55_1376
.LBB55_1304:
	s_or_b64 exec, exec, s[0:1]
	s_and_saveexec_b64 s[0:1], s[24:25]
	s_xor_b64 s[0:1], exec, s[0:1]
	s_cbranch_execz .LBB55_1377
.LBB55_1305:
	global_load_ubyte v4, v[0:1], off
	s_waitcnt vmcnt(1)
	v_mov_b32_e32 v7, 0x3c00
	s_or_b64 s[26:27], s[26:27], exec
	s_waitcnt vmcnt(0)
	v_cmp_ne_u16_e32 vcc, 0, v4
	v_cndmask_b32_e32 v7, 0, v7, vcc
	s_or_b64 exec, exec, s[0:1]
	s_and_saveexec_b64 s[0:1], s[30:31]
	s_cbranch_execz .LBB55_1423
	s_branch .LBB55_1378
.LBB55_1306:
	s_mov_b64 s[28:29], -1
                                        ; implicit-def: $vgpr7
	s_mov_b64 s[20:21], s[18:19]
	s_branch .LBB55_1375
.LBB55_1307:
	s_mov_b64 s[20:21], s[18:19]
                                        ; implicit-def: $vgpr7
	s_cbranch_execnz .LBB55_1342
	s_branch .LBB55_1374
.LBB55_1308:
	s_mov_b64 s[28:29], -1
	s_mov_b64 s[20:21], s[18:19]
                                        ; implicit-def: $vgpr7
	s_branch .LBB55_1323
.LBB55_1309:
	s_mov_b64 s[28:29], -1
	s_mov_b64 s[20:21], s[18:19]
                                        ; implicit-def: $vgpr7
	s_branch .LBB55_1318
.LBB55_1310:
	s_mov_b64 s[28:29], -1
	s_mov_b64 s[20:21], s[18:19]
	s_branch .LBB55_1312
.LBB55_1311:
	s_mov_b64 s[20:21], -1
.LBB55_1312:
                                        ; implicit-def: $vgpr7
.LBB55_1313:
	s_and_b64 vcc, exec, s[28:29]
	s_cbranch_vccz .LBB55_1317
; %bb.1314:
	v_cmp_eq_u16_e32 vcc, 44, v5
	s_cbranch_vccz .LBB55_1316
; %bb.1315:
	global_load_ubyte v4, v[0:1], off
	s_movk_i32 s15, 0xff
	v_mov_b32_e32 v8, 0x7e00
	s_mov_b64 s[20:21], 0
	s_mov_b64 s[26:27], -1
	s_waitcnt vmcnt(0)
	v_lshlrev_b32_e32 v7, 23, v4
	v_cvt_f16_f32_e32 v7, v7
	v_cmp_ne_u32_e32 vcc, s15, v4
	v_cndmask_b32_e32 v7, v8, v7, vcc
	v_cmp_ne_u32_e32 vcc, 0, v4
	v_cndmask_b32_e32 v7, 0, v7, vcc
	s_branch .LBB55_1317
.LBB55_1316:
	s_mov_b64 s[20:21], -1
                                        ; implicit-def: $vgpr7
.LBB55_1317:
	s_mov_b64 s[28:29], 0
.LBB55_1318:
	s_and_b64 vcc, exec, s[28:29]
	s_cbranch_vccz .LBB55_1322
; %bb.1319:
	v_cmp_eq_u16_e32 vcc, 29, v5
	s_cbranch_vccz .LBB55_1321
; %bb.1320:
	global_load_dwordx2 v[8:9], v[0:1], off
	s_mov_b64 s[20:21], 0
	s_mov_b64 s[26:27], -1
	s_mov_b64 s[28:29], 0
	s_waitcnt vmcnt(0)
	v_ffbh_u32_e32 v4, v9
	v_min_u32_e32 v4, 32, v4
	v_lshlrev_b64 v[8:9], v4, v[8:9]
	v_min_u32_e32 v7, 1, v8
	v_or_b32_e32 v7, v9, v7
	v_cvt_f32_u32_e32 v7, v7
	v_sub_u32_e32 v4, 32, v4
	v_ldexp_f32 v4, v7, v4
	v_cvt_f16_f32_e32 v7, v4
	s_branch .LBB55_1323
.LBB55_1321:
	s_mov_b64 s[20:21], -1
                                        ; implicit-def: $vgpr7
.LBB55_1322:
	s_mov_b64 s[28:29], 0
.LBB55_1323:
	s_and_b64 vcc, exec, s[28:29]
	s_cbranch_vccz .LBB55_1341
; %bb.1324:
	v_cmp_gt_i16_e32 vcc, 27, v5
	s_cbranch_vccnz .LBB55_1327
; %bb.1325:
	v_cmp_lt_i16_e32 vcc, 27, v5
	s_cbranch_vccz .LBB55_1328
; %bb.1326:
	global_load_dword v4, v[0:1], off
	s_mov_b64 s[26:27], 0
	s_waitcnt vmcnt(0)
	v_cvt_f32_u32_e32 v4, v4
	v_cvt_f16_f32_e32 v7, v4
	s_branch .LBB55_1329
.LBB55_1327:
	s_mov_b64 s[26:27], -1
                                        ; implicit-def: $vgpr7
	s_branch .LBB55_1332
.LBB55_1328:
	s_mov_b64 s[26:27], -1
                                        ; implicit-def: $vgpr7
.LBB55_1329:
	s_andn2_b64 vcc, exec, s[26:27]
	s_cbranch_vccnz .LBB55_1331
; %bb.1330:
	global_load_ushort v4, v[0:1], off
	s_waitcnt vmcnt(0)
	v_cvt_f16_u16_e32 v7, v4
.LBB55_1331:
	s_mov_b64 s[26:27], 0
.LBB55_1332:
	s_andn2_b64 vcc, exec, s[26:27]
	s_cbranch_vccnz .LBB55_1340
; %bb.1333:
	global_load_ubyte v4, v[0:1], off
	s_movk_i32 s15, 0x7f
	s_mov_b64 s[26:27], 0
	s_waitcnt vmcnt(0)
	v_cmp_lt_i16_e32 vcc, s15, v4
                                        ; implicit-def: $sgpr15
	s_and_saveexec_b64 s[28:29], vcc
	s_xor_b64 s[28:29], exec, s[28:29]
	s_cbranch_execz .LBB55_1353
; %bb.1334:
	s_movk_i32 s15, 0x80
	v_cmp_eq_u16_e32 vcc, s15, v4
	s_mov_b64 s[26:27], -1
                                        ; implicit-def: $sgpr15
	s_and_saveexec_b64 s[30:31], vcc
; %bb.1335:
	s_movk_i32 s15, 0x7e00
	s_xor_b64 s[26:27], exec, -1
; %bb.1336:
	s_or_b64 exec, exec, s[30:31]
	s_and_b64 s[26:27], s[26:27], exec
	s_or_saveexec_b64 s[28:29], s[28:29]
	v_mov_b32_e32 v7, s15
	s_xor_b64 exec, exec, s[28:29]
	s_cbranch_execnz .LBB55_1354
.LBB55_1337:
	s_or_b64 exec, exec, s[28:29]
	s_and_saveexec_b64 s[28:29], s[26:27]
	s_cbranch_execz .LBB55_1339
.LBB55_1338:
	v_lshlrev_b32_e32 v7, 24, v4
	v_and_b32_e32 v4, 0xffff, v4
	v_and_b32_e32 v8, 7, v4
	v_ffbh_u32_e32 v10, v8
	v_min_u32_e32 v10, 32, v10
	v_subrev_u32_e32 v11, 28, v10
	v_bfe_u32 v9, v4, 3, 4
	v_lshlrev_b32_e32 v4, v11, v4
	v_sub_u32_e32 v10, 29, v10
	v_and_b32_e32 v4, 7, v4
	v_cmp_eq_u32_e32 vcc, 0, v9
	v_cndmask_b32_e32 v9, v9, v10, vcc
	v_cndmask_b32_e32 v4, v8, v4, vcc
	v_mov_b32_e32 v8, 0x3b800000
	v_lshlrev_b32_e32 v4, 20, v4
	v_and_b32_e32 v7, 0x80000000, v7
	v_lshl_add_u32 v8, v9, 23, v8
	v_or3_b32 v4, v7, v8, v4
	v_cvt_f16_f32_e32 v7, v4
.LBB55_1339:
	s_or_b64 exec, exec, s[28:29]
.LBB55_1340:
	s_mov_b64 s[26:27], -1
.LBB55_1341:
	s_branch .LBB55_1374
.LBB55_1342:
	v_cmp_lt_i16_e32 vcc, 22, v5
	s_cbranch_vccz .LBB55_1352
; %bb.1343:
	v_cmp_gt_i16_e32 vcc, 24, v5
	s_cbranch_vccnz .LBB55_1355
; %bb.1344:
	v_cmp_lt_i16_e32 vcc, 24, v5
	s_cbranch_vccz .LBB55_1356
; %bb.1345:
	global_load_ubyte v4, v[0:1], off
	s_movk_i32 s15, 0x7f
	s_waitcnt vmcnt(0)
	v_cmp_lt_i16_e32 vcc, s15, v4
                                        ; implicit-def: $sgpr15
	s_and_saveexec_b64 s[26:27], vcc
	s_xor_b64 s[26:27], exec, s[26:27]
	s_cbranch_execz .LBB55_1368
; %bb.1346:
	s_movk_i32 s15, 0x80
	v_cmp_eq_u16_e32 vcc, s15, v4
	s_mov_b64 s[24:25], -1
                                        ; implicit-def: $sgpr15
	s_and_saveexec_b64 s[28:29], vcc
; %bb.1347:
	s_movk_i32 s15, 0x7e00
	s_xor_b64 s[24:25], exec, -1
; %bb.1348:
	s_or_b64 exec, exec, s[28:29]
	s_and_b64 s[24:25], s[24:25], exec
	s_or_saveexec_b64 s[26:27], s[26:27]
	v_mov_b32_e32 v7, s15
	s_xor_b64 exec, exec, s[26:27]
	s_cbranch_execnz .LBB55_1369
.LBB55_1349:
	s_or_b64 exec, exec, s[26:27]
	s_and_saveexec_b64 s[26:27], s[24:25]
	s_cbranch_execz .LBB55_1351
.LBB55_1350:
	v_lshlrev_b32_e32 v7, 24, v4
	v_and_b32_e32 v4, 0xffff, v4
	v_and_b32_e32 v8, 3, v4
	v_ffbh_u32_e32 v10, v8
	v_min_u32_e32 v10, 32, v10
	v_subrev_u32_e32 v11, 29, v10
	v_bfe_u32 v9, v4, 2, 5
	v_lshlrev_b32_e32 v4, v11, v4
	v_sub_u32_e32 v10, 30, v10
	v_and_b32_e32 v4, 3, v4
	v_cmp_eq_u32_e32 vcc, 0, v9
	v_cndmask_b32_e32 v9, v9, v10, vcc
	v_cndmask_b32_e32 v4, v8, v4, vcc
	v_mov_b32_e32 v8, 0x37800000
	v_lshlrev_b32_e32 v4, 21, v4
	v_and_b32_e32 v7, 0x80000000, v7
	v_lshl_add_u32 v8, v9, 23, v8
	v_or3_b32 v4, v7, v8, v4
	v_cvt_f16_f32_e32 v7, v4
.LBB55_1351:
	s_or_b64 exec, exec, s[26:27]
	s_mov_b64 s[24:25], 0
	s_branch .LBB55_1357
.LBB55_1352:
	s_mov_b64 s[24:25], -1
                                        ; implicit-def: $vgpr7
	s_branch .LBB55_1363
.LBB55_1353:
	s_or_saveexec_b64 s[28:29], s[28:29]
	v_mov_b32_e32 v7, s15
	s_xor_b64 exec, exec, s[28:29]
	s_cbranch_execz .LBB55_1337
.LBB55_1354:
	v_cmp_ne_u16_e32 vcc, 0, v4
	s_andn2_b64 s[26:27], s[26:27], exec
	s_and_b64 s[30:31], vcc, exec
	s_or_b64 s[26:27], s[26:27], s[30:31]
	v_mov_b32_e32 v7, v4
	s_or_b64 exec, exec, s[28:29]
	s_and_saveexec_b64 s[28:29], s[26:27]
	s_cbranch_execnz .LBB55_1338
	s_branch .LBB55_1339
.LBB55_1355:
	s_mov_b64 s[24:25], -1
                                        ; implicit-def: $vgpr7
	s_branch .LBB55_1360
.LBB55_1356:
	s_mov_b64 s[24:25], -1
                                        ; implicit-def: $vgpr7
.LBB55_1357:
	s_and_b64 vcc, exec, s[24:25]
	s_cbranch_vccz .LBB55_1359
; %bb.1358:
	global_load_ubyte v4, v[0:1], off
	s_mov_b32 s15, 0x7f800000
	s_waitcnt vmcnt(0)
	v_lshlrev_b32_e32 v4, 24, v4
	v_and_b32_e32 v7, 0x7f000000, v4
	v_ffbh_u32_e32 v8, v7
	v_min_u32_e32 v8, 32, v8
	v_sub_u32_e64 v8, v8, 4 clamp
	v_lshlrev_b32_e32 v10, v8, v7
	v_lshlrev_b32_e32 v8, 23, v8
	v_lshrrev_b32_e32 v10, 4, v10
	v_add_u32_e32 v9, 0x1000000, v7
	v_sub_u32_e32 v8, v10, v8
	v_ashrrev_i32_e32 v9, 8, v9
	v_add_u32_e32 v8, 0x3c000000, v8
	v_and_or_b32 v8, v9, s15, v8
	v_cmp_ne_u32_e32 vcc, 0, v7
	v_cndmask_b32_e32 v7, 0, v8, vcc
	s_brev_b32 s15, 1
	v_and_or_b32 v4, v4, s15, v7
	v_cvt_f16_f32_e32 v7, v4
.LBB55_1359:
	s_mov_b64 s[24:25], 0
.LBB55_1360:
	s_andn2_b64 vcc, exec, s[24:25]
	s_cbranch_vccnz .LBB55_1362
; %bb.1361:
	global_load_ubyte v4, v[0:1], off
	s_movk_i32 s15, 0x7f00
	s_brev_b32 s24, 16
	s_waitcnt vmcnt(0)
	v_lshlrev_b16_e32 v7, 8, v4
	v_lshlrev_b32_e32 v4, 25, v4
	v_lshrrev_b32_e32 v8, 4, v4
	v_and_or_b32 v9, v7, s15, 0.5
	v_or_b32_e32 v8, 0x70000000, v8
	v_add_f32_e32 v9, -0.5, v9
	v_mul_f32_e32 v8, 0x7800000, v8
	v_cmp_gt_u32_e32 vcc, s24, v4
	v_bfe_i32 v7, v7, 0, 16
	v_cndmask_b32_e32 v4, v8, v9, vcc
	s_brev_b32 s15, 1
	v_and_or_b32 v4, v7, s15, v4
	v_cvt_f16_f32_e32 v7, v4
.LBB55_1362:
	s_mov_b64 s[24:25], 0
	s_mov_b64 s[26:27], -1
.LBB55_1363:
	s_andn2_b64 vcc, exec, s[24:25]
	s_mov_b64 s[24:25], 0
	s_cbranch_vccnz .LBB55_1374
; %bb.1364:
	v_cmp_lt_i16_e32 vcc, 14, v5
	s_cbranch_vccz .LBB55_1367
; %bb.1365:
	v_cmp_eq_u16_e32 vcc, 15, v5
	s_cbranch_vccz .LBB55_1370
; %bb.1366:
	global_load_ushort v4, v[0:1], off
	s_mov_b64 s[20:21], 0
	s_mov_b64 s[26:27], -1
	s_waitcnt vmcnt(0)
	v_lshlrev_b32_e32 v4, 16, v4
	v_cvt_f16_f32_e32 v7, v4
	s_branch .LBB55_1371
.LBB55_1367:
	s_mov_b64 s[28:29], -1
                                        ; implicit-def: $vgpr7
	s_branch .LBB55_1372
.LBB55_1368:
	s_or_saveexec_b64 s[26:27], s[26:27]
	v_mov_b32_e32 v7, s15
	s_xor_b64 exec, exec, s[26:27]
	s_cbranch_execz .LBB55_1349
.LBB55_1369:
	v_cmp_ne_u16_e32 vcc, 0, v4
	s_andn2_b64 s[24:25], s[24:25], exec
	s_and_b64 s[28:29], vcc, exec
	s_or_b64 s[24:25], s[24:25], s[28:29]
	v_mov_b32_e32 v7, v4
	s_or_b64 exec, exec, s[26:27]
	s_and_saveexec_b64 s[26:27], s[24:25]
	s_cbranch_execnz .LBB55_1350
	s_branch .LBB55_1351
.LBB55_1370:
	s_mov_b64 s[20:21], -1
                                        ; implicit-def: $vgpr7
.LBB55_1371:
	s_mov_b64 s[28:29], 0
.LBB55_1372:
	s_and_b64 vcc, exec, s[28:29]
	s_cbranch_vccz .LBB55_1374
; %bb.1373:
	v_cmp_ne_u16_e32 vcc, 11, v5
	s_andn2_b64 s[20:21], s[20:21], exec
	s_and_b64 s[28:29], vcc, exec
	s_mov_b64 s[24:25], -1
	s_or_b64 s[20:21], s[20:21], s[28:29]
                                        ; implicit-def: $vgpr7
.LBB55_1374:
	s_mov_b64 s[28:29], 0
.LBB55_1375:
	s_andn2_b64 s[18:19], s[18:19], exec
	s_and_b64 s[20:21], s[20:21], exec
	s_and_b64 s[26:27], s[26:27], exec
	;; [unrolled: 1-line block ×4, first 2 shown]
	s_or_b64 s[18:19], s[18:19], s[20:21]
	s_or_b64 exec, exec, s[0:1]
	s_and_saveexec_b64 s[0:1], s[18:19]
	s_cbranch_execz .LBB55_1304
.LBB55_1376:
	s_or_b64 s[22:23], s[22:23], exec
	s_andn2_b64 s[24:25], s[24:25], exec
	s_trap 2
                                        ; implicit-def: $vgpr7
	s_or_b64 exec, exec, s[0:1]
	s_and_saveexec_b64 s[0:1], s[24:25]
	s_xor_b64 s[0:1], exec, s[0:1]
	s_cbranch_execnz .LBB55_1305
.LBB55_1377:
	s_or_b64 exec, exec, s[0:1]
	s_and_saveexec_b64 s[0:1], s[30:31]
	s_cbranch_execz .LBB55_1423
.LBB55_1378:
	v_cmp_gt_i16_e32 vcc, 5, v5
	s_cbranch_vccnz .LBB55_1383
; %bb.1379:
	v_cmp_gt_i16_e32 vcc, 8, v5
	s_cbranch_vccnz .LBB55_1384
; %bb.1380:
	;; [unrolled: 3-line block ×3, first 2 shown]
	v_cmp_lt_i16_e32 vcc, 9, v5
	s_cbranch_vccz .LBB55_1386
; %bb.1382:
	global_load_dwordx2 v[8:9], v[0:1], off
	s_mov_b64 s[18:19], 0
	s_waitcnt vmcnt(0)
	v_cvt_f32_f64_e32 v4, v[8:9]
	v_cvt_f16_f32_e32 v7, v4
	s_branch .LBB55_1387
.LBB55_1383:
                                        ; implicit-def: $vgpr7
	s_branch .LBB55_1404
.LBB55_1384:
                                        ; implicit-def: $vgpr7
	s_branch .LBB55_1393
.LBB55_1385:
	s_mov_b64 s[18:19], -1
                                        ; implicit-def: $vgpr7
	s_branch .LBB55_1390
.LBB55_1386:
	s_mov_b64 s[18:19], -1
                                        ; implicit-def: $vgpr7
.LBB55_1387:
	s_andn2_b64 vcc, exec, s[18:19]
	s_cbranch_vccnz .LBB55_1389
; %bb.1388:
	global_load_dword v4, v[0:1], off
	s_waitcnt vmcnt(0)
	v_cvt_f16_f32_e32 v7, v4
.LBB55_1389:
	s_mov_b64 s[18:19], 0
.LBB55_1390:
	s_andn2_b64 vcc, exec, s[18:19]
	s_cbranch_vccnz .LBB55_1392
; %bb.1391:
	global_load_dword v7, v[0:1], off
.LBB55_1392:
	s_cbranch_execnz .LBB55_1403
.LBB55_1393:
	v_cmp_gt_i16_e32 vcc, 6, v5
	s_cbranch_vccnz .LBB55_1396
; %bb.1394:
	v_cmp_lt_i16_e32 vcc, 6, v5
	s_cbranch_vccz .LBB55_1397
; %bb.1395:
	global_load_dwordx2 v[8:9], v[0:1], off
	s_mov_b64 s[18:19], 0
	s_waitcnt vmcnt(0)
	v_cvt_f32_f64_e32 v4, v[8:9]
	v_cvt_f16_f32_e32 v7, v4
	s_branch .LBB55_1398
.LBB55_1396:
	s_mov_b64 s[18:19], -1
                                        ; implicit-def: $vgpr7
	s_branch .LBB55_1401
.LBB55_1397:
	s_mov_b64 s[18:19], -1
                                        ; implicit-def: $vgpr7
.LBB55_1398:
	s_andn2_b64 vcc, exec, s[18:19]
	s_cbranch_vccnz .LBB55_1400
; %bb.1399:
	global_load_dword v4, v[0:1], off
	s_waitcnt vmcnt(0)
	v_cvt_f16_f32_e32 v7, v4
.LBB55_1400:
	s_mov_b64 s[18:19], 0
.LBB55_1401:
	s_andn2_b64 vcc, exec, s[18:19]
	s_cbranch_vccnz .LBB55_1403
; %bb.1402:
	global_load_ushort v7, v[0:1], off
.LBB55_1403:
	s_cbranch_execnz .LBB55_1422
.LBB55_1404:
	v_cmp_gt_i16_e32 vcc, 2, v5
	s_cbranch_vccnz .LBB55_1408
; %bb.1405:
	v_cmp_gt_i16_e32 vcc, 3, v5
	s_cbranch_vccnz .LBB55_1409
; %bb.1406:
	v_cmp_lt_i16_e32 vcc, 3, v5
	s_cbranch_vccz .LBB55_1410
; %bb.1407:
	global_load_dwordx2 v[8:9], v[0:1], off
	s_mov_b64 s[18:19], 0
	s_waitcnt vmcnt(0)
	v_xor_b32_e32 v7, v8, v9
	v_ffbh_i32_e32 v4, v9
	v_ashrrev_i32_e32 v7, 31, v7
	v_add_u32_e32 v4, -1, v4
	v_add_u32_e32 v7, 32, v7
	v_min_u32_e32 v4, v4, v7
	v_lshlrev_b64 v[8:9], v4, v[8:9]
	v_min_u32_e32 v7, 1, v8
	v_or_b32_e32 v7, v9, v7
	v_cvt_f32_i32_e32 v7, v7
	v_sub_u32_e32 v4, 32, v4
	v_ldexp_f32 v4, v7, v4
	v_cvt_f16_f32_e32 v7, v4
	s_branch .LBB55_1411
.LBB55_1408:
                                        ; implicit-def: $vgpr7
	s_branch .LBB55_1417
.LBB55_1409:
	s_mov_b64 s[18:19], -1
                                        ; implicit-def: $vgpr7
	s_branch .LBB55_1414
.LBB55_1410:
	s_mov_b64 s[18:19], -1
                                        ; implicit-def: $vgpr7
.LBB55_1411:
	s_andn2_b64 vcc, exec, s[18:19]
	s_cbranch_vccnz .LBB55_1413
; %bb.1412:
	global_load_dword v4, v[0:1], off
	s_waitcnt vmcnt(0)
	v_cvt_f32_i32_e32 v4, v4
	v_cvt_f16_f32_e32 v7, v4
.LBB55_1413:
	s_mov_b64 s[18:19], 0
.LBB55_1414:
	s_andn2_b64 vcc, exec, s[18:19]
	s_cbranch_vccnz .LBB55_1416
; %bb.1415:
	global_load_ushort v4, v[0:1], off
	s_waitcnt vmcnt(0)
	v_cvt_f16_i16_e32 v7, v4
.LBB55_1416:
	s_cbranch_execnz .LBB55_1422
.LBB55_1417:
	v_cmp_lt_i16_e32 vcc, 0, v5
	s_cbranch_vccz .LBB55_1419
; %bb.1418:
	global_load_sbyte v4, v[0:1], off
	s_mov_b64 s[18:19], 0
	s_waitcnt vmcnt(0)
	v_cvt_f16_i16_e32 v7, v4
	s_branch .LBB55_1420
.LBB55_1419:
	s_mov_b64 s[18:19], -1
                                        ; implicit-def: $vgpr7
.LBB55_1420:
	s_andn2_b64 vcc, exec, s[18:19]
	s_cbranch_vccnz .LBB55_1422
; %bb.1421:
	global_load_ubyte v0, v[0:1], off
	s_waitcnt vmcnt(0)
	v_cvt_f16_u16_e32 v7, v0
.LBB55_1422:
	s_or_b64 s[26:27], s[26:27], exec
.LBB55_1423:
	s_or_b64 exec, exec, s[0:1]
	s_mov_b64 s[24:25], 0
	s_mov_b64 s[20:21], 0
                                        ; implicit-def: $vgpr5
                                        ; implicit-def: $vgpr0_vgpr1
                                        ; implicit-def: $vgpr4
	s_and_saveexec_b64 s[18:19], s[26:27]
	s_cbranch_execz .LBB55_1441
; %bb.1424:
	s_waitcnt vmcnt(0)
	v_mul_f16_e32 v0, v6, v7
	v_cmp_lt_f16_e32 vcc, 0, v6
	v_cndmask_b32_e32 v4, v0, v6, vcc
	v_mul_lo_u32 v0, v3, s12
	v_ashrrev_i32_e32 v1, 31, v0
	v_mov_b32_e32 v3, s9
	v_add_co_u32_e32 v0, vcc, s8, v0
	v_addc_co_u32_e32 v1, vcc, v3, v1, vcc
	v_and_b32_e32 v5, 0xff, v2
	v_cmp_gt_i16_e32 vcc, 11, v5
	s_cbranch_vccnz .LBB55_1444
; %bb.1425:
	v_cmp_lt_i16_e32 vcc, 25, v5
	s_mov_b64 s[24:25], -1
	s_mov_b64 s[0:1], s[6:7]
	s_cbranch_vccz .LBB55_1462
; %bb.1426:
	v_cmp_lt_i16_e32 vcc, 28, v5
	s_mov_b64 s[20:21], -1
	s_mov_b64 s[0:1], s[6:7]
	s_cbranch_vccz .LBB55_1446
; %bb.1427:
	v_cmp_lt_i16_e32 vcc, 43, v5
	s_mov_b64 s[0:1], s[6:7]
	s_cbranch_vccz .LBB55_1438
; %bb.1428:
	v_cmp_lt_i16_e32 vcc, 45, v5
	s_mov_b64 s[0:1], s[6:7]
	s_cbranch_vccz .LBB55_1432
; %bb.1429:
	v_cmp_eq_u16_e32 vcc, 46, v5
	s_mov_b64 s[0:1], -1
	s_cbranch_vccz .LBB55_1431
; %bb.1430:
	v_cvt_f32_f16_e32 v2, v4
	s_movk_i32 s0, 0x7fff
	v_mov_b32_e32 v3, 0x7fc0
	v_cmp_o_f16_e32 vcc, v4, v4
	v_bfe_u32 v6, v2, 16, 1
	v_add3_u32 v2, v2, v6, s0
	v_lshrrev_b32_e32 v2, 16, v2
	v_cndmask_b32_e32 v2, v3, v2, vcc
	global_store_dword v[0:1], v2, off
	s_mov_b64 s[0:1], 0
.LBB55_1431:
	s_mov_b64 s[20:21], 0
.LBB55_1432:
	s_and_b64 vcc, exec, s[20:21]
	s_cbranch_vccz .LBB55_1437
; %bb.1433:
	v_cmp_eq_u16_e32 vcc, 44, v5
	s_mov_b64 s[0:1], -1
	s_cbranch_vccz .LBB55_1437
; %bb.1434:
	v_cvt_f32_f16_e32 v2, v4
	s_movk_i32 s0, 0xff
	v_mov_b32_e32 v6, 0xff
	v_bfe_u32 v3, v2, 23, 8
	v_cmp_ne_u32_e32 vcc, s0, v3
	s_and_saveexec_b64 s[20:21], vcc
; %bb.1435:
	s_mov_b32 s0, 0x3fffff
	v_lshrrev_b32_e32 v6, 23, v2
	v_and_b32_e32 v7, 0x400000, v2
	v_and_or_b32 v2, v2, s0, v3
	v_cmp_ne_u32_e32 vcc, 0, v7
	v_cmp_ne_u32_e64 s[0:1], 0, v2
	s_and_b64 s[0:1], vcc, s[0:1]
	v_cndmask_b32_e64 v2, 0, 1, s[0:1]
	v_add_u32_e32 v6, v6, v2
; %bb.1436:
	s_or_b64 exec, exec, s[20:21]
	s_mov_b64 s[0:1], 0
	global_store_byte v[0:1], v6, off
.LBB55_1437:
	s_mov_b64 s[20:21], 0
.LBB55_1438:
	s_and_b64 vcc, exec, s[20:21]
	s_cbranch_vccz .LBB55_1445
; %bb.1439:
	v_cmp_eq_u16_e32 vcc, 29, v5
	s_mov_b64 s[0:1], -1
	s_cbranch_vccz .LBB55_1445
; %bb.1440:
	v_cvt_f32_f16_e32 v2, v4
	v_mov_b32_e32 v3, 0
	s_mov_b64 s[0:1], 0
	s_mov_b64 s[20:21], 0
	v_cvt_u32_f32_e32 v2, v2
	global_store_dwordx2 v[0:1], v[2:3], off
	s_branch .LBB55_1446
.LBB55_1441:
	s_or_b64 exec, exec, s[18:19]
	s_and_saveexec_b64 s[0:1], s[6:7]
	s_cbranch_execnz .LBB55_1504
.LBB55_1442:
	s_or_b64 exec, exec, s[0:1]
	s_and_saveexec_b64 s[0:1], s[24:25]
	s_xor_b64 s[0:1], exec, s[0:1]
	s_cbranch_execz .LBB55_1505
.LBB55_1443:
	s_waitcnt vmcnt(0)
	v_and_b32_e32 v2, 0x7fff, v4
	v_cmp_ne_u16_e32 vcc, 0, v2
	v_cndmask_b32_e64 v2, 0, 1, vcc
	global_store_byte v[0:1], v2, off
	s_or_b64 exec, exec, s[0:1]
	s_and_saveexec_b64 s[0:1], s[20:21]
	s_xor_b64 s[0:1], exec, s[0:1]
	s_cbranch_execz .LBB55_1543
	s_branch .LBB55_1506
.LBB55_1444:
	s_mov_b64 s[20:21], -1
	s_mov_b64 s[0:1], s[6:7]
	s_branch .LBB55_1503
.LBB55_1445:
	s_mov_b64 s[20:21], 0
.LBB55_1446:
	s_and_b64 vcc, exec, s[20:21]
	s_cbranch_vccz .LBB55_1461
; %bb.1447:
	v_cmp_gt_i16_e32 vcc, 27, v5
	s_mov_b64 s[20:21], -1
	s_cbranch_vccnz .LBB55_1453
; %bb.1448:
	v_cmp_lt_i16_e32 vcc, 27, v5
	s_cbranch_vccz .LBB55_1450
; %bb.1449:
	v_cvt_f32_f16_e32 v2, v4
	s_mov_b64 s[20:21], 0
	v_cvt_u32_f32_e32 v2, v2
	global_store_dword v[0:1], v2, off
.LBB55_1450:
	s_andn2_b64 vcc, exec, s[20:21]
	s_cbranch_vccnz .LBB55_1452
; %bb.1451:
	v_cvt_u16_f16_e32 v2, v4
	global_store_short v[0:1], v2, off
.LBB55_1452:
	s_mov_b64 s[20:21], 0
.LBB55_1453:
	s_andn2_b64 vcc, exec, s[20:21]
	s_cbranch_vccnz .LBB55_1461
; %bb.1454:
	v_cvt_f32_f16_e32 v2, v4
	s_mov_b32 s15, 0x43800000
	v_mov_b32_e32 v6, 0x80
	v_and_b32_e32 v3, 0x7fffffff, v2
	v_cmp_gt_u32_e32 vcc, s15, v3
	s_and_saveexec_b64 s[20:21], vcc
	s_cbranch_execz .LBB55_1460
; %bb.1455:
	s_mov_b32 s15, 0x3bffffff
	v_cmp_lt_u32_e32 vcc, s15, v3
	s_mov_b64 s[24:25], 0
                                        ; implicit-def: $vgpr3
	s_and_saveexec_b64 s[26:27], vcc
	s_xor_b64 s[26:27], exec, s[26:27]
	s_cbranch_execz .LBB55_1558
; %bb.1456:
	v_bfe_u32 v3, v2, 20, 1
	s_mov_b32 s15, 0x487ffff
	v_add3_u32 v3, v2, v3, s15
	s_mov_b64 s[24:25], exec
	v_lshrrev_b32_e32 v3, 20, v3
	s_or_saveexec_b64 s[26:27], s[26:27]
                                        ; implicit-def: $sgpr15
	s_xor_b64 exec, exec, s[26:27]
	s_cbranch_execnz .LBB55_1559
.LBB55_1457:
	s_or_b64 exec, exec, s[26:27]
	v_mov_b32_e32 v6, s15
	s_and_saveexec_b64 s[26:27], s[24:25]
.LBB55_1458:
	v_lshrrev_b32_e32 v2, 24, v2
	s_movk_i32 s15, 0x80
	v_and_or_b32 v6, v2, s15, v3
.LBB55_1459:
	s_or_b64 exec, exec, s[26:27]
.LBB55_1460:
	s_or_b64 exec, exec, s[20:21]
	global_store_byte v[0:1], v6, off
.LBB55_1461:
	s_mov_b64 s[24:25], 0
.LBB55_1462:
	s_mov_b64 s[20:21], 0
	s_and_b64 vcc, exec, s[24:25]
	s_cbranch_vccz .LBB55_1502
; %bb.1463:
	v_cmp_lt_i16_e32 vcc, 22, v5
	s_mov_b64 s[24:25], -1
	s_cbranch_vccz .LBB55_1495
; %bb.1464:
	v_cmp_gt_i16_e32 vcc, 24, v5
	s_cbranch_vccnz .LBB55_1484
; %bb.1465:
	v_cmp_lt_i16_e32 vcc, 24, v5
	s_cbranch_vccz .LBB55_1473
; %bb.1466:
	v_cvt_f32_f16_e32 v2, v4
	s_mov_b32 s15, 0x47800000
	v_mov_b32_e32 v6, 0x80
	v_and_b32_e32 v3, 0x7fffffff, v2
	v_cmp_gt_u32_e32 vcc, s15, v3
	s_and_saveexec_b64 s[24:25], vcc
	s_cbranch_execz .LBB55_1472
; %bb.1467:
	s_mov_b32 s15, 0x37ffffff
	v_cmp_lt_u32_e32 vcc, s15, v3
	s_mov_b64 s[26:27], 0
                                        ; implicit-def: $vgpr3
	s_and_saveexec_b64 s[28:29], vcc
	s_xor_b64 s[28:29], exec, s[28:29]
	s_cbranch_execz .LBB55_1683
; %bb.1468:
	v_bfe_u32 v3, v2, 21, 1
	s_mov_b32 s15, 0x88fffff
	v_add3_u32 v3, v2, v3, s15
	s_mov_b64 s[26:27], exec
	v_lshrrev_b32_e32 v3, 21, v3
	s_or_saveexec_b64 s[28:29], s[28:29]
                                        ; implicit-def: $sgpr15
	s_xor_b64 exec, exec, s[28:29]
	s_cbranch_execnz .LBB55_1684
.LBB55_1469:
	s_or_b64 exec, exec, s[28:29]
	v_mov_b32_e32 v6, s15
	s_and_saveexec_b64 s[28:29], s[26:27]
.LBB55_1470:
	v_lshrrev_b32_e32 v2, 24, v2
	s_movk_i32 s15, 0x80
	v_and_or_b32 v6, v2, s15, v3
.LBB55_1471:
	s_or_b64 exec, exec, s[28:29]
.LBB55_1472:
	s_or_b64 exec, exec, s[24:25]
	s_mov_b64 s[24:25], 0
	global_store_byte v[0:1], v6, off
.LBB55_1473:
	s_and_b64 vcc, exec, s[24:25]
	s_cbranch_vccz .LBB55_1483
; %bb.1474:
	v_cvt_f32_f16_e32 v2, v4
	s_mov_b32 s15, 0x43f00000
                                        ; implicit-def: $vgpr3
	v_and_b32_e32 v6, 0x7fffffff, v2
	v_cmp_gt_u32_e32 vcc, s15, v6
	s_and_saveexec_b64 s[24:25], vcc
	s_xor_b64 s[24:25], exec, s[24:25]
	s_cbranch_execz .LBB55_1480
; %bb.1475:
	s_mov_b32 s15, 0x3c7fffff
	v_cmp_lt_u32_e32 vcc, s15, v6
                                        ; implicit-def: $vgpr3
	s_and_saveexec_b64 s[26:27], vcc
	s_xor_b64 s[26:27], exec, s[26:27]
; %bb.1476:
	v_bfe_u32 v3, v2, 20, 1
	s_mov_b32 s15, 0x407ffff
	v_add3_u32 v3, v2, v3, s15
	v_lshrrev_b32_e32 v6, 20, v3
	v_and_b32_e32 v3, 0xff00000, v3
	s_mov_b32 s15, 0x7f00000
	v_mov_b32_e32 v7, 0x7e
	v_cmp_ne_u32_e32 vcc, s15, v3
	v_cndmask_b32_e32 v3, v7, v6, vcc
; %bb.1477:
	s_andn2_saveexec_b64 s[26:27], s[26:27]
; %bb.1478:
	s_mov_b32 s15, 0x46800000
	v_add_f32_e64 v3, |v2|, s15
; %bb.1479:
	s_or_b64 exec, exec, s[26:27]
                                        ; implicit-def: $vgpr6
.LBB55_1480:
	s_andn2_saveexec_b64 s[24:25], s[24:25]
; %bb.1481:
	s_mov_b32 s15, 0x7f800000
	v_mov_b32_e32 v3, 0x7e
	v_mov_b32_e32 v7, 0x7f
	v_cmp_lt_u32_e32 vcc, s15, v6
	v_cndmask_b32_e32 v3, v3, v7, vcc
; %bb.1482:
	s_or_b64 exec, exec, s[24:25]
	v_lshrrev_b32_e32 v2, 24, v2
	s_movk_i32 s15, 0x80
	v_and_or_b32 v2, v2, s15, v3
	global_store_byte v[0:1], v2, off
.LBB55_1483:
	s_mov_b64 s[24:25], 0
.LBB55_1484:
	s_andn2_b64 vcc, exec, s[24:25]
	s_cbranch_vccnz .LBB55_1494
; %bb.1485:
	v_cvt_f32_f16_e32 v2, v4
	s_mov_b32 s15, 0x47800000
                                        ; implicit-def: $vgpr3
	v_and_b32_e32 v6, 0x7fffffff, v2
	v_cmp_gt_u32_e32 vcc, s15, v6
	s_and_saveexec_b64 s[24:25], vcc
	s_xor_b64 s[24:25], exec, s[24:25]
	s_cbranch_execz .LBB55_1491
; %bb.1486:
	s_mov_b32 s15, 0x387fffff
	v_cmp_lt_u32_e32 vcc, s15, v6
                                        ; implicit-def: $vgpr3
	s_and_saveexec_b64 s[26:27], vcc
	s_xor_b64 s[26:27], exec, s[26:27]
; %bb.1487:
	v_bfe_u32 v3, v2, 21, 1
	s_mov_b32 s15, 0x80fffff
	v_add3_u32 v3, v2, v3, s15
	v_lshrrev_b32_e32 v3, 21, v3
; %bb.1488:
	s_andn2_saveexec_b64 s[26:27], s[26:27]
; %bb.1489:
	s_mov_b32 s15, 0x43000000
	v_add_f32_e64 v3, |v2|, s15
; %bb.1490:
	s_or_b64 exec, exec, s[26:27]
                                        ; implicit-def: $vgpr6
.LBB55_1491:
	s_andn2_saveexec_b64 s[24:25], s[24:25]
; %bb.1492:
	s_mov_b32 s15, 0x7f800000
	v_mov_b32_e32 v3, 0x7c
	v_mov_b32_e32 v7, 0x7f
	v_cmp_lt_u32_e32 vcc, s15, v6
	v_cndmask_b32_e32 v3, v3, v7, vcc
; %bb.1493:
	s_or_b64 exec, exec, s[24:25]
	v_lshrrev_b32_e32 v2, 24, v2
	s_movk_i32 s15, 0x80
	v_and_or_b32 v2, v2, s15, v3
	global_store_byte v[0:1], v2, off
.LBB55_1494:
	s_mov_b64 s[24:25], 0
.LBB55_1495:
	s_andn2_b64 vcc, exec, s[24:25]
	s_mov_b64 s[24:25], 0
	s_cbranch_vccnz .LBB55_1503
; %bb.1496:
	v_cmp_lt_i16_e32 vcc, 14, v5
	s_mov_b64 s[26:27], -1
	s_cbranch_vccz .LBB55_1500
; %bb.1497:
	v_cmp_eq_u16_e32 vcc, 15, v5
	s_mov_b64 s[0:1], -1
	s_cbranch_vccz .LBB55_1499
; %bb.1498:
	v_cvt_f32_f16_e32 v2, v4
	s_movk_i32 s0, 0x7fff
	v_mov_b32_e32 v3, 0x7fc0
	v_cmp_o_f16_e32 vcc, v4, v4
	v_bfe_u32 v6, v2, 16, 1
	v_add3_u32 v2, v2, v6, s0
	v_lshrrev_b32_e32 v2, 16, v2
	v_cndmask_b32_e32 v2, v3, v2, vcc
	global_store_short v[0:1], v2, off
	s_mov_b64 s[0:1], 0
.LBB55_1499:
	s_mov_b64 s[26:27], 0
.LBB55_1500:
	s_and_b64 vcc, exec, s[26:27]
	s_cbranch_vccz .LBB55_1503
; %bb.1501:
	v_cmp_ne_u16_e32 vcc, 11, v5
	s_andn2_b64 s[0:1], s[0:1], exec
	s_and_b64 s[26:27], vcc, exec
	s_mov_b64 s[24:25], -1
	s_or_b64 s[0:1], s[0:1], s[26:27]
	s_branch .LBB55_1503
.LBB55_1502:
	s_mov_b64 s[24:25], 0
.LBB55_1503:
	s_andn2_b64 s[6:7], s[6:7], exec
	s_and_b64 s[0:1], s[0:1], exec
	s_and_b64 s[20:21], s[20:21], exec
	;; [unrolled: 1-line block ×3, first 2 shown]
	s_or_b64 s[6:7], s[6:7], s[0:1]
	s_or_b64 exec, exec, s[18:19]
	s_and_saveexec_b64 s[0:1], s[6:7]
	s_cbranch_execz .LBB55_1442
.LBB55_1504:
	s_or_b64 s[22:23], s[22:23], exec
	s_andn2_b64 s[24:25], s[24:25], exec
	s_trap 2
	s_or_b64 exec, exec, s[0:1]
	s_and_saveexec_b64 s[0:1], s[24:25]
	s_xor_b64 s[0:1], exec, s[0:1]
	s_cbranch_execnz .LBB55_1443
.LBB55_1505:
	s_or_b64 exec, exec, s[0:1]
	s_and_saveexec_b64 s[0:1], s[20:21]
	s_xor_b64 s[0:1], exec, s[0:1]
	s_cbranch_execz .LBB55_1543
.LBB55_1506:
	v_cmp_gt_i16_e32 vcc, 5, v5
	s_mov_b64 s[6:7], -1
	s_cbranch_vccnz .LBB55_1527
; %bb.1507:
	v_cmp_gt_i16_e32 vcc, 8, v5
	s_cbranch_vccnz .LBB55_1517
; %bb.1508:
	v_cmp_gt_i16_e32 vcc, 9, v5
	s_cbranch_vccnz .LBB55_1514
; %bb.1509:
	v_cmp_lt_i16_e32 vcc, 9, v5
	s_cbranch_vccz .LBB55_1511
; %bb.1510:
	s_waitcnt vmcnt(0)
	v_cvt_f32_f16_e32 v2, v4
	v_mov_b32_e32 v8, 0
	v_mov_b32_e32 v9, v8
	s_mov_b64 s[6:7], 0
	v_cvt_f64_f32_e32 v[6:7], v2
	global_store_dwordx4 v[0:1], v[6:9], off
.LBB55_1511:
	s_andn2_b64 vcc, exec, s[6:7]
	s_cbranch_vccnz .LBB55_1513
; %bb.1512:
	s_waitcnt vmcnt(0)
	v_cvt_f32_f16_e32 v2, v4
	v_mov_b32_e32 v3, 0
	global_store_dwordx2 v[0:1], v[2:3], off
.LBB55_1513:
	s_mov_b64 s[6:7], 0
.LBB55_1514:
	s_andn2_b64 vcc, exec, s[6:7]
	s_cbranch_vccnz .LBB55_1516
; %bb.1515:
	s_waitcnt vmcnt(0)
	v_and_b32_e32 v2, 0xffff, v4
	global_store_dword v[0:1], v2, off
.LBB55_1516:
	s_mov_b64 s[6:7], 0
.LBB55_1517:
	s_andn2_b64 vcc, exec, s[6:7]
	s_cbranch_vccnz .LBB55_1526
; %bb.1518:
	v_cmp_gt_i16_e32 vcc, 6, v5
	s_mov_b64 s[6:7], -1
	s_cbranch_vccnz .LBB55_1524
; %bb.1519:
	v_cmp_lt_i16_e32 vcc, 6, v5
	s_cbranch_vccz .LBB55_1521
; %bb.1520:
	s_waitcnt vmcnt(0)
	v_cvt_f32_f16_e32 v2, v4
	s_mov_b64 s[6:7], 0
	v_cvt_f64_f32_e32 v[2:3], v2
	global_store_dwordx2 v[0:1], v[2:3], off
.LBB55_1521:
	s_andn2_b64 vcc, exec, s[6:7]
	s_cbranch_vccnz .LBB55_1523
; %bb.1522:
	s_waitcnt vmcnt(0)
	v_cvt_f32_f16_e32 v2, v4
	global_store_dword v[0:1], v2, off
.LBB55_1523:
	s_mov_b64 s[6:7], 0
.LBB55_1524:
	s_andn2_b64 vcc, exec, s[6:7]
	s_cbranch_vccnz .LBB55_1526
; %bb.1525:
	s_waitcnt vmcnt(0)
	global_store_short v[0:1], v4, off
.LBB55_1526:
	s_mov_b64 s[6:7], 0
.LBB55_1527:
	s_andn2_b64 vcc, exec, s[6:7]
	s_cbranch_vccnz .LBB55_1543
; %bb.1528:
	v_cmp_gt_i16_e32 vcc, 2, v5
	s_mov_b64 s[6:7], -1
	s_cbranch_vccnz .LBB55_1538
; %bb.1529:
	v_cmp_gt_i16_e32 vcc, 3, v5
	s_cbranch_vccnz .LBB55_1535
; %bb.1530:
	v_cmp_lt_i16_e32 vcc, 3, v5
	s_cbranch_vccz .LBB55_1532
; %bb.1531:
	s_waitcnt vmcnt(0)
	v_cvt_f32_f16_e32 v2, v4
	s_mov_b64 s[6:7], 0
	v_cvt_i32_f32_e32 v2, v2
	v_ashrrev_i32_e32 v3, 31, v2
	global_store_dwordx2 v[0:1], v[2:3], off
.LBB55_1532:
	s_andn2_b64 vcc, exec, s[6:7]
	s_cbranch_vccnz .LBB55_1534
; %bb.1533:
	s_waitcnt vmcnt(0)
	v_cvt_f32_f16_e32 v2, v4
	v_cvt_i32_f32_e32 v2, v2
	global_store_dword v[0:1], v2, off
.LBB55_1534:
	s_mov_b64 s[6:7], 0
.LBB55_1535:
	s_andn2_b64 vcc, exec, s[6:7]
	s_cbranch_vccnz .LBB55_1537
; %bb.1536:
	s_waitcnt vmcnt(0)
	v_cvt_i16_f16_e32 v2, v4
	global_store_short v[0:1], v2, off
.LBB55_1537:
	s_mov_b64 s[6:7], 0
.LBB55_1538:
	s_andn2_b64 vcc, exec, s[6:7]
	s_cbranch_vccnz .LBB55_1543
; %bb.1539:
	v_cmp_lt_i16_e32 vcc, 0, v5
	s_mov_b64 s[6:7], -1
	s_cbranch_vccz .LBB55_1541
; %bb.1540:
	s_waitcnt vmcnt(0)
	v_cvt_i16_f16_e32 v2, v4
	s_mov_b64 s[6:7], 0
	global_store_byte v[0:1], v2, off
.LBB55_1541:
	s_andn2_b64 vcc, exec, s[6:7]
	s_cbranch_vccnz .LBB55_1543
; %bb.1542:
	s_waitcnt vmcnt(0)
	v_cvt_f32_f16_e32 v2, v4
	v_cvt_i32_f32_e32 v2, v2
	global_store_byte v[0:1], v2, off
.LBB55_1543:
	s_or_b64 exec, exec, s[0:1]
	s_and_b64 s[6:7], s[22:23], exec
                                        ; implicit-def: $vgpr3
                                        ; implicit-def: $vgpr5
                                        ; implicit-def: $vgpr4
                                        ; implicit-def: $vgpr2
.LBB55_1544:
	s_or_saveexec_b64 s[4:5], s[4:5]
	s_mov_b64 s[0:1], 0
                                        ; implicit-def: $vgpr7
                                        ; implicit-def: $vgpr0_vgpr1
                                        ; implicit-def: $vgpr6
	s_xor_b64 exec, exec, s[4:5]
	s_cbranch_execz .LBB55_3034
; %bb.1545:
	v_mul_lo_u32 v8, s13, v3
	v_ashrrev_i32_e32 v1, 31, v8
	s_waitcnt vmcnt(0)
	v_mov_b32_e32 v6, s11
	v_add_co_u32_e32 v0, vcc, s10, v8
	v_addc_co_u32_e32 v1, vcc, v6, v1, vcc
	v_mov_b32_e32 v6, 11
	v_cmp_lt_i16_sdwa s[0:1], v5, v6 src0_sel:BYTE_0 src1_sel:DWORD
	s_and_b64 vcc, exec, s[0:1]
	s_cbranch_vccnz .LBB55_1552
; %bb.1546:
	v_mov_b32_e32 v6, 25
	v_cmp_gt_i16_sdwa s[0:1], v5, v6 src0_sel:BYTE_0 src1_sel:DWORD
	s_and_b64 vcc, exec, s[0:1]
	s_cbranch_vccz .LBB55_1554
; %bb.1547:
	v_mov_b32_e32 v6, 28
	v_cmp_gt_i16_sdwa s[0:1], v5, v6 src0_sel:BYTE_0 src1_sel:DWORD
	s_and_b64 vcc, exec, s[0:1]
	s_cbranch_vccz .LBB55_1555
	;; [unrolled: 5-line block ×4, first 2 shown]
; %bb.1550:
	v_mov_b32_e32 v6, 46
	v_cmp_eq_u16_sdwa s[0:1], v5, v6 src0_sel:BYTE_0 src1_sel:DWORD
	s_mov_b64 s[18:19], 0
	s_and_b64 vcc, exec, s[0:1]
	s_cbranch_vccz .LBB55_1560
; %bb.1551:
	global_load_dword v6, v[0:1], off
	s_mov_b64 s[0:1], 0
	s_mov_b64 s[20:21], -1
	s_waitcnt vmcnt(0)
	v_lshlrev_b32_e32 v6, 16, v6
	v_cvt_f16_f32_e32 v6, v6
	s_branch .LBB55_1561
.LBB55_1552:
	s_mov_b64 s[20:21], 0
                                        ; implicit-def: $vgpr6
	s_mov_b64 s[18:19], s[6:7]
	s_cbranch_execnz .LBB55_1624
.LBB55_1553:
	s_andn2_b64 vcc, exec, s[20:21]
	s_cbranch_vccz .LBB55_1669
	s_branch .LBB55_3032
.LBB55_1554:
	s_mov_b64 s[20:21], 0
	s_mov_b64 s[0:1], 0
                                        ; implicit-def: $vgpr6
	s_cbranch_execnz .LBB55_1589
	s_branch .LBB55_1620
.LBB55_1555:
	s_mov_b64 s[18:19], -1
	s_mov_b64 s[20:21], 0
	s_mov_b64 s[0:1], 0
                                        ; implicit-def: $vgpr6
	s_branch .LBB55_1570
.LBB55_1556:
	s_mov_b64 s[20:21], 0
	s_mov_b64 s[0:1], 0
                                        ; implicit-def: $vgpr6
	s_cbranch_execnz .LBB55_1566
	s_branch .LBB55_1569
.LBB55_1557:
	s_mov_b64 s[18:19], -1
	s_mov_b64 s[20:21], 0
	s_mov_b64 s[0:1], 0
                                        ; implicit-def: $vgpr6
	s_branch .LBB55_1561
.LBB55_1558:
	s_or_saveexec_b64 s[26:27], s[26:27]
                                        ; implicit-def: $sgpr15
	s_xor_b64 exec, exec, s[26:27]
	s_cbranch_execz .LBB55_1457
.LBB55_1559:
	s_mov_b32 s15, 0x46000000
	v_add_f32_e64 v3, |v2|, s15
	v_and_b32_e32 v3, 0xff, v3
	v_cmp_ne_u32_e32 vcc, 0, v3
	s_andn2_b64 s[24:25], s[24:25], exec
	s_and_b64 s[28:29], vcc, exec
	s_mov_b32 s15, 0
	s_or_b64 s[24:25], s[24:25], s[28:29]
	s_or_b64 exec, exec, s[26:27]
	v_mov_b32_e32 v6, s15
	s_and_saveexec_b64 s[26:27], s[24:25]
	s_cbranch_execnz .LBB55_1458
	s_branch .LBB55_1459
.LBB55_1560:
	s_mov_b64 s[0:1], -1
                                        ; implicit-def: $vgpr6
	s_mov_b64 s[20:21], 0
.LBB55_1561:
	s_and_b64 vcc, exec, s[18:19]
	s_cbranch_vccz .LBB55_1564
; %bb.1562:
	v_mov_b32_e32 v6, 44
	v_cmp_eq_u16_sdwa s[0:1], v5, v6 src0_sel:BYTE_0 src1_sel:DWORD
	s_and_b64 vcc, exec, s[0:1]
	s_cbranch_vccz .LBB55_1565
; %bb.1563:
	global_load_ubyte v6, v[0:1], off
	s_movk_i32 s15, 0xff
	v_mov_b32_e32 v9, 0x7e00
	s_mov_b64 s[0:1], 0
	s_mov_b64 s[20:21], -1
	s_waitcnt vmcnt(0)
	v_lshlrev_b32_e32 v7, 23, v6
	v_cvt_f16_f32_e32 v7, v7
	v_cmp_ne_u32_e32 vcc, s15, v6
	v_cndmask_b32_e32 v7, v9, v7, vcc
	v_cmp_ne_u32_e32 vcc, 0, v6
	v_cndmask_b32_e32 v6, 0, v7, vcc
.LBB55_1564:
	s_branch .LBB55_1569
.LBB55_1565:
	s_mov_b64 s[0:1], -1
                                        ; implicit-def: $vgpr6
	s_branch .LBB55_1569
.LBB55_1566:
	v_mov_b32_e32 v6, 29
	v_cmp_eq_u16_sdwa s[0:1], v5, v6 src0_sel:BYTE_0 src1_sel:DWORD
	s_and_b64 vcc, exec, s[0:1]
	s_cbranch_vccz .LBB55_1568
; %bb.1567:
	global_load_dwordx2 v[6:7], v[0:1], off
	s_mov_b64 s[0:1], 0
	s_mov_b64 s[20:21], -1
	s_mov_b64 s[18:19], 0
	s_waitcnt vmcnt(0)
	v_ffbh_u32_e32 v9, v7
	v_min_u32_e32 v9, 32, v9
	v_lshlrev_b64 v[6:7], v9, v[6:7]
	v_min_u32_e32 v6, 1, v6
	v_or_b32_e32 v6, v7, v6
	v_cvt_f32_u32_e32 v6, v6
	v_sub_u32_e32 v7, 32, v9
	v_ldexp_f32 v6, v6, v7
	v_cvt_f16_f32_e32 v6, v6
	s_branch .LBB55_1570
.LBB55_1568:
	s_mov_b64 s[0:1], -1
                                        ; implicit-def: $vgpr6
.LBB55_1569:
	s_mov_b64 s[18:19], 0
.LBB55_1570:
	s_and_b64 vcc, exec, s[18:19]
	s_cbranch_vccz .LBB55_1588
; %bb.1571:
	v_mov_b32_e32 v6, 27
	v_cmp_lt_i16_sdwa s[18:19], v5, v6 src0_sel:BYTE_0 src1_sel:DWORD
	s_and_b64 vcc, exec, s[18:19]
	s_cbranch_vccnz .LBB55_1574
; %bb.1572:
	v_cmp_gt_i16_sdwa s[18:19], v5, v6 src0_sel:BYTE_0 src1_sel:DWORD
	s_and_b64 vcc, exec, s[18:19]
	s_cbranch_vccz .LBB55_1575
; %bb.1573:
	global_load_dword v6, v[0:1], off
	s_mov_b64 s[18:19], 0
	s_waitcnt vmcnt(0)
	v_cvt_f32_u32_e32 v6, v6
	v_cvt_f16_f32_e32 v6, v6
	s_branch .LBB55_1576
.LBB55_1574:
	s_mov_b64 s[18:19], -1
                                        ; implicit-def: $vgpr6
	s_branch .LBB55_1579
.LBB55_1575:
	s_mov_b64 s[18:19], -1
                                        ; implicit-def: $vgpr6
.LBB55_1576:
	s_andn2_b64 vcc, exec, s[18:19]
	s_cbranch_vccnz .LBB55_1578
; %bb.1577:
	global_load_ushort v6, v[0:1], off
	s_waitcnt vmcnt(0)
	v_cvt_f16_u16_e32 v6, v6
.LBB55_1578:
	s_mov_b64 s[18:19], 0
.LBB55_1579:
	s_andn2_b64 vcc, exec, s[18:19]
	s_cbranch_vccnz .LBB55_1587
; %bb.1580:
	global_load_ubyte v7, v[0:1], off
	s_movk_i32 s15, 0x7f
	s_mov_b64 s[18:19], 0
	s_waitcnt vmcnt(0)
	v_cmp_lt_i16_e32 vcc, s15, v7
                                        ; implicit-def: $sgpr15
	s_and_saveexec_b64 s[20:21], vcc
	s_xor_b64 s[20:21], exec, s[20:21]
	s_cbranch_execz .LBB55_1600
; %bb.1581:
	s_movk_i32 s15, 0x80
	v_cmp_eq_u16_e32 vcc, s15, v7
	s_mov_b64 s[18:19], -1
                                        ; implicit-def: $sgpr15
	s_and_saveexec_b64 s[22:23], vcc
; %bb.1582:
	s_movk_i32 s15, 0x7e00
	s_xor_b64 s[18:19], exec, -1
; %bb.1583:
	s_or_b64 exec, exec, s[22:23]
	s_and_b64 s[18:19], s[18:19], exec
	s_or_saveexec_b64 s[20:21], s[20:21]
	v_mov_b32_e32 v6, s15
	s_xor_b64 exec, exec, s[20:21]
	s_cbranch_execnz .LBB55_1601
.LBB55_1584:
	s_or_b64 exec, exec, s[20:21]
	s_and_saveexec_b64 s[20:21], s[18:19]
	s_cbranch_execz .LBB55_1586
.LBB55_1585:
	v_lshlrev_b32_e32 v6, 24, v7
	v_and_b32_e32 v7, 0xffff, v7
	v_and_b32_e32 v9, 7, v7
	v_ffbh_u32_e32 v11, v9
	v_min_u32_e32 v11, 32, v11
	v_subrev_u32_e32 v12, 28, v11
	v_bfe_u32 v10, v7, 3, 4
	v_lshlrev_b32_e32 v7, v12, v7
	v_sub_u32_e32 v11, 29, v11
	v_and_b32_e32 v7, 7, v7
	v_cmp_eq_u32_e32 vcc, 0, v10
	v_cndmask_b32_e32 v10, v10, v11, vcc
	v_cndmask_b32_e32 v7, v9, v7, vcc
	v_mov_b32_e32 v9, 0x3b800000
	v_lshlrev_b32_e32 v7, 20, v7
	v_and_b32_e32 v6, 0x80000000, v6
	v_lshl_add_u32 v9, v10, 23, v9
	v_or3_b32 v6, v6, v9, v7
	v_cvt_f16_f32_e32 v6, v6
.LBB55_1586:
	s_or_b64 exec, exec, s[20:21]
.LBB55_1587:
	s_mov_b64 s[20:21], -1
.LBB55_1588:
	s_branch .LBB55_1620
.LBB55_1589:
	v_mov_b32_e32 v6, 22
	v_cmp_gt_i16_sdwa s[16:17], v5, v6 src0_sel:BYTE_0 src1_sel:DWORD
	s_and_b64 vcc, exec, s[16:17]
	s_cbranch_vccz .LBB55_1599
; %bb.1590:
	v_mov_b32_e32 v6, 24
	v_cmp_lt_i16_sdwa s[16:17], v5, v6 src0_sel:BYTE_0 src1_sel:DWORD
	s_and_b64 vcc, exec, s[16:17]
	s_cbranch_vccnz .LBB55_1602
; %bb.1591:
	v_cmp_gt_i16_sdwa s[16:17], v5, v6 src0_sel:BYTE_0 src1_sel:DWORD
	s_and_b64 vcc, exec, s[16:17]
	s_cbranch_vccz .LBB55_1603
; %bb.1592:
	global_load_ubyte v7, v[0:1], off
	s_movk_i32 s15, 0x7f
	s_mov_b64 s[16:17], 0
	s_waitcnt vmcnt(0)
	v_cmp_lt_i16_e32 vcc, s15, v7
                                        ; implicit-def: $sgpr15
	s_and_saveexec_b64 s[18:19], vcc
	s_xor_b64 s[18:19], exec, s[18:19]
	s_cbranch_execz .LBB55_1614
; %bb.1593:
	s_movk_i32 s15, 0x80
	v_cmp_eq_u16_e32 vcc, s15, v7
	s_mov_b64 s[16:17], -1
                                        ; implicit-def: $sgpr15
	s_and_saveexec_b64 s[20:21], vcc
; %bb.1594:
	s_movk_i32 s15, 0x7e00
	s_xor_b64 s[16:17], exec, -1
; %bb.1595:
	s_or_b64 exec, exec, s[20:21]
	s_and_b64 s[16:17], s[16:17], exec
	s_or_saveexec_b64 s[18:19], s[18:19]
	v_mov_b32_e32 v6, s15
	s_xor_b64 exec, exec, s[18:19]
	s_cbranch_execnz .LBB55_1615
.LBB55_1596:
	s_or_b64 exec, exec, s[18:19]
	s_and_saveexec_b64 s[18:19], s[16:17]
	s_cbranch_execz .LBB55_1598
.LBB55_1597:
	v_lshlrev_b32_e32 v6, 24, v7
	v_and_b32_e32 v7, 0xffff, v7
	v_and_b32_e32 v9, 3, v7
	v_ffbh_u32_e32 v11, v9
	v_min_u32_e32 v11, 32, v11
	v_subrev_u32_e32 v12, 29, v11
	v_bfe_u32 v10, v7, 2, 5
	v_lshlrev_b32_e32 v7, v12, v7
	v_sub_u32_e32 v11, 30, v11
	v_and_b32_e32 v7, 3, v7
	v_cmp_eq_u32_e32 vcc, 0, v10
	v_cndmask_b32_e32 v10, v10, v11, vcc
	v_cndmask_b32_e32 v7, v9, v7, vcc
	v_mov_b32_e32 v9, 0x37800000
	v_lshlrev_b32_e32 v7, 21, v7
	v_and_b32_e32 v6, 0x80000000, v6
	v_lshl_add_u32 v9, v10, 23, v9
	v_or3_b32 v6, v6, v9, v7
	v_cvt_f16_f32_e32 v6, v6
.LBB55_1598:
	s_or_b64 exec, exec, s[18:19]
	s_mov_b64 s[16:17], 0
	s_branch .LBB55_1604
.LBB55_1599:
                                        ; implicit-def: $vgpr6
	s_mov_b64 s[16:17], 0
	s_branch .LBB55_1610
.LBB55_1600:
	s_or_saveexec_b64 s[20:21], s[20:21]
	v_mov_b32_e32 v6, s15
	s_xor_b64 exec, exec, s[20:21]
	s_cbranch_execz .LBB55_1584
.LBB55_1601:
	v_cmp_ne_u16_e32 vcc, 0, v7
	s_andn2_b64 s[18:19], s[18:19], exec
	s_and_b64 s[22:23], vcc, exec
	s_or_b64 s[18:19], s[18:19], s[22:23]
	v_mov_b32_e32 v6, v7
	s_or_b64 exec, exec, s[20:21]
	s_and_saveexec_b64 s[20:21], s[18:19]
	s_cbranch_execnz .LBB55_1585
	s_branch .LBB55_1586
.LBB55_1602:
	s_mov_b64 s[16:17], -1
                                        ; implicit-def: $vgpr6
	s_branch .LBB55_1607
.LBB55_1603:
	s_mov_b64 s[16:17], -1
                                        ; implicit-def: $vgpr6
.LBB55_1604:
	s_and_b64 vcc, exec, s[16:17]
	s_cbranch_vccz .LBB55_1606
; %bb.1605:
	global_load_ubyte v6, v[0:1], off
	s_mov_b32 s15, 0x7f800000
	s_waitcnt vmcnt(0)
	v_lshlrev_b32_e32 v6, 24, v6
	v_and_b32_e32 v7, 0x7f000000, v6
	v_ffbh_u32_e32 v9, v7
	v_min_u32_e32 v9, 32, v9
	v_sub_u32_e64 v9, v9, 4 clamp
	v_lshlrev_b32_e32 v11, v9, v7
	v_lshlrev_b32_e32 v9, 23, v9
	v_lshrrev_b32_e32 v11, 4, v11
	v_add_u32_e32 v10, 0x1000000, v7
	v_sub_u32_e32 v9, v11, v9
	v_ashrrev_i32_e32 v10, 8, v10
	v_add_u32_e32 v9, 0x3c000000, v9
	v_and_or_b32 v9, v10, s15, v9
	v_cmp_ne_u32_e32 vcc, 0, v7
	v_cndmask_b32_e32 v7, 0, v9, vcc
	s_brev_b32 s15, 1
	v_and_or_b32 v6, v6, s15, v7
	v_cvt_f16_f32_e32 v6, v6
.LBB55_1606:
	s_mov_b64 s[16:17], 0
.LBB55_1607:
	s_andn2_b64 vcc, exec, s[16:17]
	s_cbranch_vccnz .LBB55_1609
; %bb.1608:
	global_load_ubyte v6, v[0:1], off
	s_movk_i32 s15, 0x7f00
	s_brev_b32 s16, 16
	s_waitcnt vmcnt(0)
	v_lshlrev_b16_e32 v7, 8, v6
	v_lshlrev_b32_e32 v6, 25, v6
	v_lshrrev_b32_e32 v9, 4, v6
	v_and_or_b32 v10, v7, s15, 0.5
	v_or_b32_e32 v9, 0x70000000, v9
	v_add_f32_e32 v10, -0.5, v10
	v_mul_f32_e32 v9, 0x7800000, v9
	v_cmp_gt_u32_e32 vcc, s16, v6
	v_bfe_i32 v7, v7, 0, 16
	v_cndmask_b32_e32 v6, v9, v10, vcc
	s_brev_b32 s15, 1
	v_and_or_b32 v6, v7, s15, v6
	v_cvt_f16_f32_e32 v6, v6
.LBB55_1609:
	s_mov_b64 s[20:21], -1
	s_mov_b64 s[16:17], 0
	s_cbranch_execnz .LBB55_1620
.LBB55_1610:
	v_mov_b32_e32 v6, 14
	v_cmp_gt_i16_sdwa s[16:17], v5, v6 src0_sel:BYTE_0 src1_sel:DWORD
	s_and_b64 vcc, exec, s[16:17]
	s_cbranch_vccz .LBB55_1613
; %bb.1611:
	v_mov_b32_e32 v6, 15
	v_cmp_eq_u16_sdwa s[0:1], v5, v6 src0_sel:BYTE_0 src1_sel:DWORD
	s_and_b64 vcc, exec, s[0:1]
	s_cbranch_vccz .LBB55_1616
; %bb.1612:
	global_load_ushort v6, v[0:1], off
	s_mov_b64 s[0:1], 0
	s_mov_b64 s[20:21], -1
	s_waitcnt vmcnt(0)
	v_lshlrev_b32_e32 v6, 16, v6
	v_cvt_f16_f32_e32 v6, v6
	s_branch .LBB55_1617
.LBB55_1613:
	s_mov_b64 s[18:19], -1
                                        ; implicit-def: $vgpr6
	s_branch .LBB55_1618
.LBB55_1614:
	s_or_saveexec_b64 s[18:19], s[18:19]
	v_mov_b32_e32 v6, s15
	s_xor_b64 exec, exec, s[18:19]
	s_cbranch_execz .LBB55_1596
.LBB55_1615:
	v_cmp_ne_u16_e32 vcc, 0, v7
	s_andn2_b64 s[16:17], s[16:17], exec
	s_and_b64 s[20:21], vcc, exec
	s_or_b64 s[16:17], s[16:17], s[20:21]
	v_mov_b32_e32 v6, v7
	s_or_b64 exec, exec, s[18:19]
	s_and_saveexec_b64 s[18:19], s[16:17]
	s_cbranch_execnz .LBB55_1597
	s_branch .LBB55_1598
.LBB55_1616:
	s_mov_b64 s[0:1], -1
                                        ; implicit-def: $vgpr6
.LBB55_1617:
	s_mov_b64 s[18:19], 0
.LBB55_1618:
	s_mov_b64 s[16:17], 0
	s_and_b64 vcc, exec, s[18:19]
	s_cbranch_vccz .LBB55_1620
; %bb.1619:
	v_mov_b32_e32 v6, 11
	v_cmp_ne_u16_sdwa s[0:1], v5, v6 src0_sel:BYTE_0 src1_sel:DWORD
	s_mov_b64 s[16:17], -1
                                        ; implicit-def: $vgpr6
.LBB55_1620:
	s_and_b64 vcc, exec, s[0:1]
	s_mov_b64 s[18:19], s[6:7]
	s_cbranch_vccnz .LBB55_1681
; %bb.1621:
	s_andn2_b64 vcc, exec, s[16:17]
	s_cbranch_vccnz .LBB55_1623
.LBB55_1622:
	global_load_ubyte v6, v[0:1], off
	v_mov_b32_e32 v7, 0x3c00
	s_mov_b64 s[20:21], -1
	s_waitcnt vmcnt(0)
	v_cmp_ne_u16_e32 vcc, 0, v6
	v_cndmask_b32_e32 v6, 0, v7, vcc
.LBB55_1623:
	s_branch .LBB55_1553
.LBB55_1624:
	v_mov_b32_e32 v6, 5
	v_cmp_lt_i16_sdwa s[0:1], v5, v6 src0_sel:BYTE_0 src1_sel:DWORD
	s_and_b64 vcc, exec, s[0:1]
	s_cbranch_vccnz .LBB55_1629
; %bb.1625:
	v_mov_b32_e32 v6, 8
	v_cmp_lt_i16_sdwa s[0:1], v5, v6 src0_sel:BYTE_0 src1_sel:DWORD
	s_and_b64 vcc, exec, s[0:1]
	s_cbranch_vccnz .LBB55_1630
; %bb.1626:
	;; [unrolled: 5-line block ×3, first 2 shown]
	v_cmp_gt_i16_sdwa s[0:1], v5, v6 src0_sel:BYTE_0 src1_sel:DWORD
	s_and_b64 vcc, exec, s[0:1]
	s_cbranch_vccz .LBB55_1632
; %bb.1628:
	global_load_dwordx2 v[6:7], v[0:1], off
	s_mov_b64 s[0:1], 0
	s_waitcnt vmcnt(0)
	v_cvt_f32_f64_e32 v6, v[6:7]
	v_cvt_f16_f32_e32 v6, v6
	s_branch .LBB55_1633
.LBB55_1629:
                                        ; implicit-def: $vgpr6
	s_branch .LBB55_1650
.LBB55_1630:
                                        ; implicit-def: $vgpr6
	s_branch .LBB55_1639
.LBB55_1631:
	s_mov_b64 s[0:1], -1
                                        ; implicit-def: $vgpr6
	s_branch .LBB55_1636
.LBB55_1632:
	s_mov_b64 s[0:1], -1
                                        ; implicit-def: $vgpr6
.LBB55_1633:
	s_andn2_b64 vcc, exec, s[0:1]
	s_cbranch_vccnz .LBB55_1635
; %bb.1634:
	global_load_dword v6, v[0:1], off
	s_waitcnt vmcnt(0)
	v_cvt_f16_f32_e32 v6, v6
.LBB55_1635:
	s_mov_b64 s[0:1], 0
.LBB55_1636:
	s_andn2_b64 vcc, exec, s[0:1]
	s_cbranch_vccnz .LBB55_1638
; %bb.1637:
	global_load_dword v6, v[0:1], off
.LBB55_1638:
	s_cbranch_execnz .LBB55_1649
.LBB55_1639:
	s_waitcnt vmcnt(0)
	v_mov_b32_e32 v6, 6
	v_cmp_lt_i16_sdwa s[0:1], v5, v6 src0_sel:BYTE_0 src1_sel:DWORD
	s_and_b64 vcc, exec, s[0:1]
	s_cbranch_vccnz .LBB55_1642
; %bb.1640:
	v_cmp_gt_i16_sdwa s[0:1], v5, v6 src0_sel:BYTE_0 src1_sel:DWORD
	s_and_b64 vcc, exec, s[0:1]
	s_cbranch_vccz .LBB55_1643
; %bb.1641:
	global_load_dwordx2 v[6:7], v[0:1], off
	s_mov_b64 s[0:1], 0
	s_waitcnt vmcnt(0)
	v_cvt_f32_f64_e32 v6, v[6:7]
	v_cvt_f16_f32_e32 v6, v6
	s_branch .LBB55_1644
.LBB55_1642:
	s_mov_b64 s[0:1], -1
                                        ; implicit-def: $vgpr6
	s_branch .LBB55_1647
.LBB55_1643:
	s_mov_b64 s[0:1], -1
                                        ; implicit-def: $vgpr6
.LBB55_1644:
	s_andn2_b64 vcc, exec, s[0:1]
	s_cbranch_vccnz .LBB55_1646
; %bb.1645:
	global_load_dword v6, v[0:1], off
	s_waitcnt vmcnt(0)
	v_cvt_f16_f32_e32 v6, v6
.LBB55_1646:
	s_mov_b64 s[0:1], 0
.LBB55_1647:
	s_andn2_b64 vcc, exec, s[0:1]
	s_cbranch_vccnz .LBB55_1649
; %bb.1648:
	global_load_ushort v6, v[0:1], off
.LBB55_1649:
	s_cbranch_execnz .LBB55_1668
.LBB55_1650:
	s_waitcnt vmcnt(0)
	v_mov_b32_e32 v6, 2
	v_cmp_lt_i16_sdwa s[0:1], v5, v6 src0_sel:BYTE_0 src1_sel:DWORD
	s_and_b64 vcc, exec, s[0:1]
	s_cbranch_vccnz .LBB55_1654
; %bb.1651:
	v_mov_b32_e32 v6, 3
	v_cmp_lt_i16_sdwa s[0:1], v5, v6 src0_sel:BYTE_0 src1_sel:DWORD
	s_and_b64 vcc, exec, s[0:1]
	s_cbranch_vccnz .LBB55_1655
; %bb.1652:
	v_cmp_gt_i16_sdwa s[0:1], v5, v6 src0_sel:BYTE_0 src1_sel:DWORD
	s_and_b64 vcc, exec, s[0:1]
	s_cbranch_vccz .LBB55_1656
; %bb.1653:
	global_load_dwordx2 v[6:7], v[0:1], off
	s_mov_b64 s[0:1], 0
	s_waitcnt vmcnt(0)
	v_xor_b32_e32 v10, v6, v7
	v_ffbh_i32_e32 v9, v7
	v_ashrrev_i32_e32 v10, 31, v10
	v_add_u32_e32 v9, -1, v9
	v_add_u32_e32 v10, 32, v10
	v_min_u32_e32 v9, v9, v10
	v_lshlrev_b64 v[6:7], v9, v[6:7]
	v_min_u32_e32 v6, 1, v6
	v_or_b32_e32 v6, v7, v6
	v_cvt_f32_i32_e32 v6, v6
	v_sub_u32_e32 v7, 32, v9
	v_ldexp_f32 v6, v6, v7
	v_cvt_f16_f32_e32 v6, v6
	s_branch .LBB55_1657
.LBB55_1654:
                                        ; implicit-def: $vgpr6
	s_branch .LBB55_1663
.LBB55_1655:
	s_mov_b64 s[0:1], -1
                                        ; implicit-def: $vgpr6
	s_branch .LBB55_1660
.LBB55_1656:
	s_mov_b64 s[0:1], -1
                                        ; implicit-def: $vgpr6
.LBB55_1657:
	s_andn2_b64 vcc, exec, s[0:1]
	s_cbranch_vccnz .LBB55_1659
; %bb.1658:
	global_load_dword v6, v[0:1], off
	s_waitcnt vmcnt(0)
	v_cvt_f32_i32_e32 v6, v6
	v_cvt_f16_f32_e32 v6, v6
.LBB55_1659:
	s_mov_b64 s[0:1], 0
.LBB55_1660:
	s_andn2_b64 vcc, exec, s[0:1]
	s_cbranch_vccnz .LBB55_1662
; %bb.1661:
	global_load_ushort v6, v[0:1], off
	s_waitcnt vmcnt(0)
	v_cvt_f16_i16_e32 v6, v6
.LBB55_1662:
	s_cbranch_execnz .LBB55_1668
.LBB55_1663:
	v_mov_b32_e32 v6, 0
	v_cmp_gt_i16_sdwa s[0:1], v5, v6 src0_sel:BYTE_0 src1_sel:DWORD
	s_and_b64 vcc, exec, s[0:1]
	s_cbranch_vccz .LBB55_1665
; %bb.1664:
	global_load_sbyte v6, v[0:1], off
	s_mov_b64 s[0:1], 0
	s_waitcnt vmcnt(0)
	v_cvt_f16_i16_e32 v6, v6
	s_branch .LBB55_1666
.LBB55_1665:
	s_mov_b64 s[0:1], -1
                                        ; implicit-def: $vgpr6
.LBB55_1666:
	s_andn2_b64 vcc, exec, s[0:1]
	s_cbranch_vccnz .LBB55_1668
; %bb.1667:
	global_load_ubyte v0, v[0:1], off
	s_waitcnt vmcnt(0)
	v_cvt_f16_u16_e32 v6, v0
.LBB55_1668:
.LBB55_1669:
	v_mul_lo_u32 v9, s14, v3
	v_ashrrev_i32_e32 v1, 31, v9
	v_mov_b32_e32 v7, s3
	v_add_co_u32_e32 v0, vcc, s2, v9
	v_addc_co_u32_e32 v1, vcc, v7, v1, vcc
	v_mov_b32_e32 v7, 11
	v_cmp_lt_i16_sdwa s[0:1], v4, v7 src0_sel:BYTE_0 src1_sel:DWORD
	s_and_b64 vcc, exec, s[0:1]
	s_cbranch_vccnz .LBB55_1676
; %bb.1670:
	v_mov_b32_e32 v7, 25
	v_cmp_gt_i16_sdwa s[0:1], v4, v7 src0_sel:BYTE_0 src1_sel:DWORD
	s_mov_b64 s[16:17], 0
	s_and_b64 vcc, exec, s[0:1]
	s_cbranch_vccz .LBB55_1678
; %bb.1671:
	v_mov_b32_e32 v7, 28
	v_cmp_gt_i16_sdwa s[0:1], v4, v7 src0_sel:BYTE_0 src1_sel:DWORD
	s_and_b64 vcc, exec, s[0:1]
	s_cbranch_vccz .LBB55_1679
; %bb.1672:
	v_mov_b32_e32 v7, 43
	v_cmp_gt_i16_sdwa s[0:1], v4, v7 src0_sel:BYTE_0 src1_sel:DWORD
	;; [unrolled: 5-line block ×3, first 2 shown]
	s_and_b64 vcc, exec, s[0:1]
	s_cbranch_vccz .LBB55_1682
; %bb.1674:
	v_mov_b32_e32 v7, 46
	v_cmp_eq_u16_sdwa s[0:1], v4, v7 src0_sel:BYTE_0 src1_sel:DWORD
	s_mov_b64 s[22:23], 0
	s_and_b64 vcc, exec, s[0:1]
	s_cbranch_vccz .LBB55_1685
; %bb.1675:
	global_load_dword v7, v[0:1], off
	s_mov_b64 s[0:1], 0
	s_mov_b64 s[20:21], -1
	s_waitcnt vmcnt(0)
	v_lshlrev_b32_e32 v7, 16, v7
	v_cvt_f16_f32_e32 v7, v7
	s_branch .LBB55_1686
.LBB55_1676:
	s_mov_b64 s[20:21], 0
                                        ; implicit-def: $vgpr7
	s_cbranch_execnz .LBB55_1751
.LBB55_1677:
	s_andn2_b64 vcc, exec, s[20:21]
	s_cbranch_vccnz .LBB55_3032
	s_branch .LBB55_1798
.LBB55_1678:
	s_mov_b64 s[20:21], 0
	s_mov_b64 s[0:1], 0
                                        ; implicit-def: $vgpr7
	s_cbranch_execnz .LBB55_1715
	s_branch .LBB55_1747
.LBB55_1679:
	s_mov_b64 s[22:23], -1
	s_mov_b64 s[20:21], 0
	s_mov_b64 s[0:1], 0
                                        ; implicit-def: $vgpr7
	s_branch .LBB55_1696
.LBB55_1680:
	s_mov_b64 s[22:23], -1
	s_mov_b64 s[20:21], 0
	s_mov_b64 s[0:1], 0
                                        ; implicit-def: $vgpr7
	s_branch .LBB55_1691
.LBB55_1681:
	s_or_b64 s[18:19], s[6:7], exec
	s_trap 2
                                        ; implicit-def: $vgpr6
	s_cbranch_execz .LBB55_1622
	s_branch .LBB55_1623
.LBB55_1682:
	s_mov_b64 s[22:23], -1
	s_mov_b64 s[20:21], 0
	s_mov_b64 s[0:1], 0
                                        ; implicit-def: $vgpr7
	s_branch .LBB55_1686
.LBB55_1683:
	s_or_saveexec_b64 s[28:29], s[28:29]
                                        ; implicit-def: $sgpr15
	s_xor_b64 exec, exec, s[28:29]
	s_cbranch_execz .LBB55_1469
.LBB55_1684:
	s_mov_b32 s15, 0x42800000
	v_add_f32_e64 v3, |v2|, s15
	v_and_b32_e32 v3, 0xff, v3
	v_cmp_ne_u32_e32 vcc, 0, v3
	s_andn2_b64 s[26:27], s[26:27], exec
	s_and_b64 s[30:31], vcc, exec
	s_mov_b32 s15, 0
	s_or_b64 s[26:27], s[26:27], s[30:31]
	s_or_b64 exec, exec, s[28:29]
	v_mov_b32_e32 v6, s15
	s_and_saveexec_b64 s[28:29], s[26:27]
	s_cbranch_execnz .LBB55_1470
	s_branch .LBB55_1471
.LBB55_1685:
	s_mov_b64 s[0:1], -1
                                        ; implicit-def: $vgpr7
	s_mov_b64 s[20:21], 0
.LBB55_1686:
	s_and_b64 vcc, exec, s[22:23]
	s_cbranch_vccz .LBB55_1690
; %bb.1687:
	v_mov_b32_e32 v7, 44
	v_cmp_eq_u16_sdwa s[0:1], v4, v7 src0_sel:BYTE_0 src1_sel:DWORD
	s_and_b64 vcc, exec, s[0:1]
	s_cbranch_vccz .LBB55_1689
; %bb.1688:
	global_load_ubyte v7, v[0:1], off
	s_movk_i32 s15, 0xff
	v_mov_b32_e32 v11, 0x7e00
	s_mov_b64 s[0:1], 0
	s_mov_b64 s[20:21], -1
	s_waitcnt vmcnt(0)
	v_lshlrev_b32_e32 v10, 23, v7
	v_cvt_f16_f32_e32 v10, v10
	v_cmp_ne_u32_e32 vcc, s15, v7
	v_cndmask_b32_e32 v10, v11, v10, vcc
	v_cmp_ne_u32_e32 vcc, 0, v7
	v_cndmask_b32_e32 v7, 0, v10, vcc
	s_branch .LBB55_1690
.LBB55_1689:
	s_mov_b64 s[0:1], -1
                                        ; implicit-def: $vgpr7
.LBB55_1690:
	s_mov_b64 s[22:23], 0
.LBB55_1691:
	s_and_b64 vcc, exec, s[22:23]
	s_cbranch_vccz .LBB55_1695
; %bb.1692:
	v_mov_b32_e32 v7, 29
	v_cmp_eq_u16_sdwa s[0:1], v4, v7 src0_sel:BYTE_0 src1_sel:DWORD
	s_and_b64 vcc, exec, s[0:1]
	s_cbranch_vccz .LBB55_1694
; %bb.1693:
	global_load_dwordx2 v[10:11], v[0:1], off
	s_mov_b64 s[0:1], 0
	s_mov_b64 s[20:21], -1
	s_mov_b64 s[22:23], 0
	s_waitcnt vmcnt(0)
	v_ffbh_u32_e32 v7, v11
	v_min_u32_e32 v7, 32, v7
	v_lshlrev_b64 v[10:11], v7, v[10:11]
	v_min_u32_e32 v10, 1, v10
	v_or_b32_e32 v10, v11, v10
	v_cvt_f32_u32_e32 v10, v10
	v_sub_u32_e32 v7, 32, v7
	v_ldexp_f32 v7, v10, v7
	v_cvt_f16_f32_e32 v7, v7
	s_branch .LBB55_1696
.LBB55_1694:
	s_mov_b64 s[0:1], -1
                                        ; implicit-def: $vgpr7
.LBB55_1695:
	s_mov_b64 s[22:23], 0
.LBB55_1696:
	s_and_b64 vcc, exec, s[22:23]
	s_cbranch_vccz .LBB55_1714
; %bb.1697:
	v_mov_b32_e32 v7, 27
	v_cmp_lt_i16_sdwa s[20:21], v4, v7 src0_sel:BYTE_0 src1_sel:DWORD
	s_and_b64 vcc, exec, s[20:21]
	s_cbranch_vccnz .LBB55_1700
; %bb.1698:
	v_cmp_gt_i16_sdwa s[20:21], v4, v7 src0_sel:BYTE_0 src1_sel:DWORD
	s_and_b64 vcc, exec, s[20:21]
	s_cbranch_vccz .LBB55_1701
; %bb.1699:
	global_load_dword v7, v[0:1], off
	s_mov_b64 s[20:21], 0
	s_waitcnt vmcnt(0)
	v_cvt_f32_u32_e32 v7, v7
	v_cvt_f16_f32_e32 v7, v7
	s_branch .LBB55_1702
.LBB55_1700:
	s_mov_b64 s[20:21], -1
                                        ; implicit-def: $vgpr7
	s_branch .LBB55_1705
.LBB55_1701:
	s_mov_b64 s[20:21], -1
                                        ; implicit-def: $vgpr7
.LBB55_1702:
	s_andn2_b64 vcc, exec, s[20:21]
	s_cbranch_vccnz .LBB55_1704
; %bb.1703:
	global_load_ushort v7, v[0:1], off
	s_waitcnt vmcnt(0)
	v_cvt_f16_u16_e32 v7, v7
.LBB55_1704:
	s_mov_b64 s[20:21], 0
.LBB55_1705:
	s_andn2_b64 vcc, exec, s[20:21]
	s_cbranch_vccnz .LBB55_1713
; %bb.1706:
	global_load_ubyte v10, v[0:1], off
	s_movk_i32 s15, 0x7f
	s_mov_b64 s[20:21], 0
	s_waitcnt vmcnt(0)
	v_cmp_lt_i16_e32 vcc, s15, v10
                                        ; implicit-def: $sgpr15
	s_and_saveexec_b64 s[22:23], vcc
	s_xor_b64 s[22:23], exec, s[22:23]
	s_cbranch_execz .LBB55_1726
; %bb.1707:
	s_movk_i32 s15, 0x80
	v_cmp_eq_u16_e32 vcc, s15, v10
	s_mov_b64 s[20:21], -1
                                        ; implicit-def: $sgpr15
	s_and_saveexec_b64 s[24:25], vcc
; %bb.1708:
	s_movk_i32 s15, 0x7e00
	s_xor_b64 s[20:21], exec, -1
; %bb.1709:
	s_or_b64 exec, exec, s[24:25]
	s_and_b64 s[20:21], s[20:21], exec
	s_or_saveexec_b64 s[22:23], s[22:23]
	v_mov_b32_e32 v7, s15
	s_xor_b64 exec, exec, s[22:23]
	s_cbranch_execnz .LBB55_1727
.LBB55_1710:
	s_or_b64 exec, exec, s[22:23]
	s_and_saveexec_b64 s[22:23], s[20:21]
	s_cbranch_execz .LBB55_1712
.LBB55_1711:
	v_lshlrev_b32_e32 v7, 24, v10
	v_and_b32_e32 v10, 0xffff, v10
	v_and_b32_e32 v11, 7, v10
	v_ffbh_u32_e32 v13, v11
	v_min_u32_e32 v13, 32, v13
	v_subrev_u32_e32 v14, 28, v13
	v_bfe_u32 v12, v10, 3, 4
	v_lshlrev_b32_e32 v10, v14, v10
	v_sub_u32_e32 v13, 29, v13
	v_and_b32_e32 v10, 7, v10
	v_cmp_eq_u32_e32 vcc, 0, v12
	v_cndmask_b32_e32 v12, v12, v13, vcc
	v_cndmask_b32_e32 v10, v11, v10, vcc
	v_mov_b32_e32 v11, 0x3b800000
	v_lshlrev_b32_e32 v10, 20, v10
	v_and_b32_e32 v7, 0x80000000, v7
	v_lshl_add_u32 v11, v12, 23, v11
	v_or3_b32 v7, v7, v11, v10
	v_cvt_f16_f32_e32 v7, v7
.LBB55_1712:
	s_or_b64 exec, exec, s[22:23]
.LBB55_1713:
	s_mov_b64 s[20:21], -1
.LBB55_1714:
	s_branch .LBB55_1747
.LBB55_1715:
	v_mov_b32_e32 v7, 22
	v_cmp_gt_i16_sdwa s[16:17], v4, v7 src0_sel:BYTE_0 src1_sel:DWORD
	s_and_b64 vcc, exec, s[16:17]
	s_cbranch_vccz .LBB55_1725
; %bb.1716:
	v_mov_b32_e32 v7, 24
	v_cmp_lt_i16_sdwa s[16:17], v4, v7 src0_sel:BYTE_0 src1_sel:DWORD
	s_and_b64 vcc, exec, s[16:17]
	s_cbranch_vccnz .LBB55_1728
; %bb.1717:
	v_cmp_gt_i16_sdwa s[16:17], v4, v7 src0_sel:BYTE_0 src1_sel:DWORD
	s_and_b64 vcc, exec, s[16:17]
	s_cbranch_vccz .LBB55_1729
; %bb.1718:
	global_load_ubyte v10, v[0:1], off
	s_movk_i32 s15, 0x7f
	s_mov_b64 s[16:17], 0
	s_waitcnt vmcnt(0)
	v_cmp_lt_i16_e32 vcc, s15, v10
                                        ; implicit-def: $sgpr15
	s_and_saveexec_b64 s[20:21], vcc
	s_xor_b64 s[20:21], exec, s[20:21]
	s_cbranch_execz .LBB55_1741
; %bb.1719:
	s_movk_i32 s15, 0x80
	v_cmp_eq_u16_e32 vcc, s15, v10
	s_mov_b64 s[16:17], -1
                                        ; implicit-def: $sgpr15
	s_and_saveexec_b64 s[22:23], vcc
; %bb.1720:
	s_movk_i32 s15, 0x7e00
	s_xor_b64 s[16:17], exec, -1
; %bb.1721:
	s_or_b64 exec, exec, s[22:23]
	s_and_b64 s[16:17], s[16:17], exec
	s_or_saveexec_b64 s[20:21], s[20:21]
	v_mov_b32_e32 v7, s15
	s_xor_b64 exec, exec, s[20:21]
	s_cbranch_execnz .LBB55_1742
.LBB55_1722:
	s_or_b64 exec, exec, s[20:21]
	s_and_saveexec_b64 s[20:21], s[16:17]
	s_cbranch_execz .LBB55_1724
.LBB55_1723:
	v_lshlrev_b32_e32 v7, 24, v10
	v_and_b32_e32 v10, 0xffff, v10
	v_and_b32_e32 v11, 3, v10
	v_ffbh_u32_e32 v13, v11
	v_min_u32_e32 v13, 32, v13
	v_subrev_u32_e32 v14, 29, v13
	v_bfe_u32 v12, v10, 2, 5
	v_lshlrev_b32_e32 v10, v14, v10
	v_sub_u32_e32 v13, 30, v13
	v_and_b32_e32 v10, 3, v10
	v_cmp_eq_u32_e32 vcc, 0, v12
	v_cndmask_b32_e32 v12, v12, v13, vcc
	v_cndmask_b32_e32 v10, v11, v10, vcc
	v_mov_b32_e32 v11, 0x37800000
	v_lshlrev_b32_e32 v10, 21, v10
	v_and_b32_e32 v7, 0x80000000, v7
	v_lshl_add_u32 v11, v12, 23, v11
	v_or3_b32 v7, v7, v11, v10
	v_cvt_f16_f32_e32 v7, v7
.LBB55_1724:
	s_or_b64 exec, exec, s[20:21]
	s_mov_b64 s[16:17], 0
	s_branch .LBB55_1730
.LBB55_1725:
	s_mov_b64 s[16:17], -1
                                        ; implicit-def: $vgpr7
	s_branch .LBB55_1736
.LBB55_1726:
	s_or_saveexec_b64 s[22:23], s[22:23]
	v_mov_b32_e32 v7, s15
	s_xor_b64 exec, exec, s[22:23]
	s_cbranch_execz .LBB55_1710
.LBB55_1727:
	v_cmp_ne_u16_e32 vcc, 0, v10
	s_andn2_b64 s[20:21], s[20:21], exec
	s_and_b64 s[24:25], vcc, exec
	s_or_b64 s[20:21], s[20:21], s[24:25]
	v_mov_b32_e32 v7, v10
	s_or_b64 exec, exec, s[22:23]
	s_and_saveexec_b64 s[22:23], s[20:21]
	s_cbranch_execnz .LBB55_1711
	s_branch .LBB55_1712
.LBB55_1728:
	s_mov_b64 s[16:17], -1
                                        ; implicit-def: $vgpr7
	s_branch .LBB55_1733
.LBB55_1729:
	s_mov_b64 s[16:17], -1
                                        ; implicit-def: $vgpr7
.LBB55_1730:
	s_and_b64 vcc, exec, s[16:17]
	s_cbranch_vccz .LBB55_1732
; %bb.1731:
	global_load_ubyte v7, v[0:1], off
	s_mov_b32 s15, 0x7f800000
	s_waitcnt vmcnt(0)
	v_lshlrev_b32_e32 v7, 24, v7
	v_and_b32_e32 v10, 0x7f000000, v7
	v_ffbh_u32_e32 v11, v10
	v_min_u32_e32 v11, 32, v11
	v_sub_u32_e64 v11, v11, 4 clamp
	v_lshlrev_b32_e32 v13, v11, v10
	v_lshlrev_b32_e32 v11, 23, v11
	v_lshrrev_b32_e32 v13, 4, v13
	v_add_u32_e32 v12, 0x1000000, v10
	v_sub_u32_e32 v11, v13, v11
	v_ashrrev_i32_e32 v12, 8, v12
	v_add_u32_e32 v11, 0x3c000000, v11
	v_and_or_b32 v11, v12, s15, v11
	v_cmp_ne_u32_e32 vcc, 0, v10
	v_cndmask_b32_e32 v10, 0, v11, vcc
	s_brev_b32 s15, 1
	v_and_or_b32 v7, v7, s15, v10
	v_cvt_f16_f32_e32 v7, v7
.LBB55_1732:
	s_mov_b64 s[16:17], 0
.LBB55_1733:
	s_andn2_b64 vcc, exec, s[16:17]
	s_cbranch_vccnz .LBB55_1735
; %bb.1734:
	global_load_ubyte v7, v[0:1], off
	s_movk_i32 s15, 0x7f00
	s_brev_b32 s16, 16
	s_waitcnt vmcnt(0)
	v_lshlrev_b16_e32 v10, 8, v7
	v_lshlrev_b32_e32 v7, 25, v7
	v_lshrrev_b32_e32 v11, 4, v7
	v_and_or_b32 v12, v10, s15, 0.5
	v_or_b32_e32 v11, 0x70000000, v11
	v_add_f32_e32 v12, -0.5, v12
	v_mul_f32_e32 v11, 0x7800000, v11
	v_cmp_gt_u32_e32 vcc, s16, v7
	v_bfe_i32 v10, v10, 0, 16
	v_cndmask_b32_e32 v7, v11, v12, vcc
	s_brev_b32 s15, 1
	v_and_or_b32 v7, v10, s15, v7
	v_cvt_f16_f32_e32 v7, v7
.LBB55_1735:
	s_mov_b64 s[16:17], 0
	s_mov_b64 s[20:21], -1
.LBB55_1736:
	s_andn2_b64 vcc, exec, s[16:17]
	s_mov_b64 s[16:17], 0
	s_cbranch_vccnz .LBB55_1747
; %bb.1737:
	v_mov_b32_e32 v7, 14
	v_cmp_gt_i16_sdwa s[16:17], v4, v7 src0_sel:BYTE_0 src1_sel:DWORD
	s_and_b64 vcc, exec, s[16:17]
	s_cbranch_vccz .LBB55_1740
; %bb.1738:
	v_mov_b32_e32 v7, 15
	v_cmp_eq_u16_sdwa s[0:1], v4, v7 src0_sel:BYTE_0 src1_sel:DWORD
	s_and_b64 vcc, exec, s[0:1]
	s_cbranch_vccz .LBB55_1743
; %bb.1739:
	global_load_ushort v7, v[0:1], off
	s_mov_b64 s[0:1], 0
	s_mov_b64 s[20:21], -1
	s_waitcnt vmcnt(0)
	v_lshlrev_b32_e32 v7, 16, v7
	v_cvt_f16_f32_e32 v7, v7
	s_branch .LBB55_1744
.LBB55_1740:
	s_mov_b64 s[22:23], -1
                                        ; implicit-def: $vgpr7
	s_branch .LBB55_1745
.LBB55_1741:
	s_or_saveexec_b64 s[20:21], s[20:21]
	v_mov_b32_e32 v7, s15
	s_xor_b64 exec, exec, s[20:21]
	s_cbranch_execz .LBB55_1722
.LBB55_1742:
	v_cmp_ne_u16_e32 vcc, 0, v10
	s_andn2_b64 s[16:17], s[16:17], exec
	s_and_b64 s[22:23], vcc, exec
	s_or_b64 s[16:17], s[16:17], s[22:23]
	v_mov_b32_e32 v7, v10
	s_or_b64 exec, exec, s[20:21]
	s_and_saveexec_b64 s[20:21], s[16:17]
	s_cbranch_execnz .LBB55_1723
	s_branch .LBB55_1724
.LBB55_1743:
	s_mov_b64 s[0:1], -1
                                        ; implicit-def: $vgpr7
.LBB55_1744:
	s_mov_b64 s[22:23], 0
.LBB55_1745:
	s_mov_b64 s[16:17], 0
	s_and_b64 vcc, exec, s[22:23]
	s_cbranch_vccz .LBB55_1747
; %bb.1746:
	v_mov_b32_e32 v7, 11
	v_cmp_ne_u16_sdwa s[0:1], v4, v7 src0_sel:BYTE_0 src1_sel:DWORD
	s_mov_b64 s[16:17], -1
                                        ; implicit-def: $vgpr7
.LBB55_1747:
	s_and_b64 vcc, exec, s[0:1]
	s_cbranch_vccnz .LBB55_1810
; %bb.1748:
	s_andn2_b64 vcc, exec, s[16:17]
	s_cbranch_vccnz .LBB55_1750
.LBB55_1749:
	global_load_ubyte v7, v[0:1], off
	v_mov_b32_e32 v10, 0x3c00
	s_mov_b64 s[20:21], -1
	s_waitcnt vmcnt(0)
	v_cmp_ne_u16_e32 vcc, 0, v7
	v_cndmask_b32_e32 v7, 0, v10, vcc
.LBB55_1750:
	s_branch .LBB55_1677
.LBB55_1751:
	v_mov_b32_e32 v7, 5
	v_cmp_lt_i16_sdwa s[0:1], v4, v7 src0_sel:BYTE_0 src1_sel:DWORD
	s_and_b64 vcc, exec, s[0:1]
	s_cbranch_vccnz .LBB55_1756
; %bb.1752:
	v_mov_b32_e32 v7, 8
	v_cmp_lt_i16_sdwa s[0:1], v4, v7 src0_sel:BYTE_0 src1_sel:DWORD
	s_and_b64 vcc, exec, s[0:1]
	s_cbranch_vccnz .LBB55_1757
; %bb.1753:
	;; [unrolled: 5-line block ×3, first 2 shown]
	v_cmp_gt_i16_sdwa s[0:1], v4, v7 src0_sel:BYTE_0 src1_sel:DWORD
	s_and_b64 vcc, exec, s[0:1]
	s_cbranch_vccz .LBB55_1759
; %bb.1755:
	global_load_dwordx2 v[10:11], v[0:1], off
	s_mov_b64 s[0:1], 0
	s_waitcnt vmcnt(0)
	v_cvt_f32_f64_e32 v7, v[10:11]
	v_cvt_f16_f32_e32 v7, v7
	s_branch .LBB55_1760
.LBB55_1756:
                                        ; implicit-def: $vgpr7
	s_branch .LBB55_1778
.LBB55_1757:
	s_mov_b64 s[0:1], -1
                                        ; implicit-def: $vgpr7
	s_branch .LBB55_1766
.LBB55_1758:
	s_mov_b64 s[0:1], -1
                                        ; implicit-def: $vgpr7
	s_branch .LBB55_1763
.LBB55_1759:
	s_mov_b64 s[0:1], -1
                                        ; implicit-def: $vgpr7
.LBB55_1760:
	s_andn2_b64 vcc, exec, s[0:1]
	s_cbranch_vccnz .LBB55_1762
; %bb.1761:
	global_load_dword v7, v[0:1], off
	s_waitcnt vmcnt(0)
	v_cvt_f16_f32_e32 v7, v7
.LBB55_1762:
	s_mov_b64 s[0:1], 0
.LBB55_1763:
	s_andn2_b64 vcc, exec, s[0:1]
	s_cbranch_vccnz .LBB55_1765
; %bb.1764:
	global_load_dword v7, v[0:1], off
.LBB55_1765:
	s_mov_b64 s[0:1], 0
.LBB55_1766:
	s_andn2_b64 vcc, exec, s[0:1]
	s_cbranch_vccnz .LBB55_1777
; %bb.1767:
	s_waitcnt vmcnt(0)
	v_mov_b32_e32 v7, 6
	v_cmp_lt_i16_sdwa s[0:1], v4, v7 src0_sel:BYTE_0 src1_sel:DWORD
	s_and_b64 vcc, exec, s[0:1]
	s_cbranch_vccnz .LBB55_1770
; %bb.1768:
	v_cmp_gt_i16_sdwa s[0:1], v4, v7 src0_sel:BYTE_0 src1_sel:DWORD
	s_and_b64 vcc, exec, s[0:1]
	s_cbranch_vccz .LBB55_1771
; %bb.1769:
	global_load_dwordx2 v[10:11], v[0:1], off
	s_mov_b64 s[0:1], 0
	s_waitcnt vmcnt(0)
	v_cvt_f32_f64_e32 v7, v[10:11]
	v_cvt_f16_f32_e32 v7, v7
	s_branch .LBB55_1772
.LBB55_1770:
	s_mov_b64 s[0:1], -1
                                        ; implicit-def: $vgpr7
	s_branch .LBB55_1775
.LBB55_1771:
	s_mov_b64 s[0:1], -1
                                        ; implicit-def: $vgpr7
.LBB55_1772:
	s_andn2_b64 vcc, exec, s[0:1]
	s_cbranch_vccnz .LBB55_1774
; %bb.1773:
	global_load_dword v7, v[0:1], off
	s_waitcnt vmcnt(0)
	v_cvt_f16_f32_e32 v7, v7
.LBB55_1774:
	s_mov_b64 s[0:1], 0
.LBB55_1775:
	s_andn2_b64 vcc, exec, s[0:1]
	s_cbranch_vccnz .LBB55_1777
; %bb.1776:
	global_load_ushort v7, v[0:1], off
.LBB55_1777:
	s_cbranch_execnz .LBB55_1797
.LBB55_1778:
	s_waitcnt vmcnt(0)
	v_mov_b32_e32 v7, 2
	v_cmp_lt_i16_sdwa s[0:1], v4, v7 src0_sel:BYTE_0 src1_sel:DWORD
	s_and_b64 vcc, exec, s[0:1]
	s_cbranch_vccnz .LBB55_1782
; %bb.1779:
	v_mov_b32_e32 v7, 3
	v_cmp_lt_i16_sdwa s[0:1], v4, v7 src0_sel:BYTE_0 src1_sel:DWORD
	s_and_b64 vcc, exec, s[0:1]
	s_cbranch_vccnz .LBB55_1783
; %bb.1780:
	v_cmp_gt_i16_sdwa s[0:1], v4, v7 src0_sel:BYTE_0 src1_sel:DWORD
	s_and_b64 vcc, exec, s[0:1]
	s_cbranch_vccz .LBB55_1784
; %bb.1781:
	global_load_dwordx2 v[10:11], v[0:1], off
	s_mov_b64 s[0:1], 0
	s_waitcnt vmcnt(0)
	v_xor_b32_e32 v12, v10, v11
	v_ffbh_i32_e32 v7, v11
	v_ashrrev_i32_e32 v12, 31, v12
	v_add_u32_e32 v7, -1, v7
	v_add_u32_e32 v12, 32, v12
	v_min_u32_e32 v7, v7, v12
	v_lshlrev_b64 v[10:11], v7, v[10:11]
	v_min_u32_e32 v10, 1, v10
	v_or_b32_e32 v10, v11, v10
	v_cvt_f32_i32_e32 v10, v10
	v_sub_u32_e32 v7, 32, v7
	v_ldexp_f32 v7, v10, v7
	v_cvt_f16_f32_e32 v7, v7
	s_branch .LBB55_1785
.LBB55_1782:
	s_mov_b64 s[0:1], -1
                                        ; implicit-def: $vgpr7
	s_branch .LBB55_1791
.LBB55_1783:
	s_mov_b64 s[0:1], -1
                                        ; implicit-def: $vgpr7
	s_branch .LBB55_1788
.LBB55_1784:
	s_mov_b64 s[0:1], -1
                                        ; implicit-def: $vgpr7
.LBB55_1785:
	s_andn2_b64 vcc, exec, s[0:1]
	s_cbranch_vccnz .LBB55_1787
; %bb.1786:
	global_load_dword v7, v[0:1], off
	s_waitcnt vmcnt(0)
	v_cvt_f32_i32_e32 v7, v7
	v_cvt_f16_f32_e32 v7, v7
.LBB55_1787:
	s_mov_b64 s[0:1], 0
.LBB55_1788:
	s_andn2_b64 vcc, exec, s[0:1]
	s_cbranch_vccnz .LBB55_1790
; %bb.1789:
	global_load_ushort v7, v[0:1], off
	s_waitcnt vmcnt(0)
	v_cvt_f16_i16_e32 v7, v7
.LBB55_1790:
	s_mov_b64 s[0:1], 0
.LBB55_1791:
	s_andn2_b64 vcc, exec, s[0:1]
	s_cbranch_vccnz .LBB55_1797
; %bb.1792:
	v_mov_b32_e32 v7, 0
	v_cmp_gt_i16_sdwa s[0:1], v4, v7 src0_sel:BYTE_0 src1_sel:DWORD
	s_and_b64 vcc, exec, s[0:1]
	s_cbranch_vccz .LBB55_1794
; %bb.1793:
	global_load_sbyte v7, v[0:1], off
	s_mov_b64 s[0:1], 0
	s_waitcnt vmcnt(0)
	v_cvt_f16_i16_e32 v7, v7
	s_branch .LBB55_1795
.LBB55_1794:
	s_mov_b64 s[0:1], -1
                                        ; implicit-def: $vgpr7
.LBB55_1795:
	s_andn2_b64 vcc, exec, s[0:1]
	s_cbranch_vccnz .LBB55_1797
; %bb.1796:
	global_load_ubyte v0, v[0:1], off
	s_waitcnt vmcnt(0)
	v_cvt_f16_u16_e32 v7, v0
.LBB55_1797:
.LBB55_1798:
	s_lshl_b32 s13, s13, 7
	v_add_u32_e32 v10, s13, v8
	v_ashrrev_i32_e32 v1, 31, v10
	v_mov_b32_e32 v8, s11
	v_add_co_u32_e32 v0, vcc, s10, v10
	v_addc_co_u32_e32 v1, vcc, v8, v1, vcc
	v_mov_b32_e32 v8, 11
	v_cmp_lt_i16_sdwa s[0:1], v5, v8 src0_sel:BYTE_0 src1_sel:DWORD
	s_and_b64 vcc, exec, s[0:1]
	s_cbranch_vccnz .LBB55_1805
; %bb.1799:
	v_mov_b32_e32 v8, 25
	v_cmp_gt_i16_sdwa s[0:1], v5, v8 src0_sel:BYTE_0 src1_sel:DWORD
	s_mov_b64 s[16:17], 0
	s_and_b64 vcc, exec, s[0:1]
	s_cbranch_vccz .LBB55_1807
; %bb.1800:
	v_mov_b32_e32 v8, 28
	v_cmp_gt_i16_sdwa s[0:1], v5, v8 src0_sel:BYTE_0 src1_sel:DWORD
	s_and_b64 vcc, exec, s[0:1]
	s_cbranch_vccz .LBB55_1808
; %bb.1801:
	v_mov_b32_e32 v8, 43
	v_cmp_gt_i16_sdwa s[0:1], v5, v8 src0_sel:BYTE_0 src1_sel:DWORD
	;; [unrolled: 5-line block ×3, first 2 shown]
	s_and_b64 vcc, exec, s[0:1]
	s_cbranch_vccz .LBB55_1811
; %bb.1803:
	v_mov_b32_e32 v8, 46
	v_cmp_eq_u16_sdwa s[0:1], v5, v8 src0_sel:BYTE_0 src1_sel:DWORD
	s_mov_b64 s[22:23], 0
	s_and_b64 vcc, exec, s[0:1]
	s_cbranch_vccz .LBB55_1812
; %bb.1804:
	global_load_dword v8, v[0:1], off
	s_mov_b64 s[0:1], 0
	s_mov_b64 s[20:21], -1
	s_waitcnt vmcnt(0)
	v_lshlrev_b32_e32 v8, 16, v8
	v_cvt_f16_f32_e32 v8, v8
	s_branch .LBB55_1813
.LBB55_1805:
	s_mov_b64 s[20:21], 0
                                        ; implicit-def: $vgpr8
	s_cbranch_execnz .LBB55_1879
.LBB55_1806:
	s_andn2_b64 vcc, exec, s[20:21]
	s_cbranch_vccnz .LBB55_3032
	s_branch .LBB55_1927
.LBB55_1807:
	s_mov_b64 s[22:23], -1
	s_mov_b64 s[20:21], 0
	s_mov_b64 s[0:1], 0
                                        ; implicit-def: $vgpr8
	s_branch .LBB55_1842
.LBB55_1808:
	s_mov_b64 s[22:23], -1
	s_mov_b64 s[20:21], 0
	s_mov_b64 s[0:1], 0
                                        ; implicit-def: $vgpr8
	s_branch .LBB55_1823
.LBB55_1809:
	s_mov_b64 s[22:23], -1
	s_mov_b64 s[20:21], 0
	s_mov_b64 s[0:1], 0
                                        ; implicit-def: $vgpr8
	s_branch .LBB55_1818
.LBB55_1810:
	s_trap 2
	s_or_b64 s[18:19], s[18:19], exec
                                        ; implicit-def: $vgpr7
	s_cbranch_execz .LBB55_1749
	s_branch .LBB55_1750
.LBB55_1811:
	s_mov_b64 s[22:23], -1
	s_mov_b64 s[20:21], 0
	s_mov_b64 s[0:1], 0
                                        ; implicit-def: $vgpr8
	s_branch .LBB55_1813
.LBB55_1812:
	s_mov_b64 s[0:1], -1
                                        ; implicit-def: $vgpr8
	s_mov_b64 s[20:21], 0
.LBB55_1813:
	s_and_b64 vcc, exec, s[22:23]
	s_cbranch_vccz .LBB55_1817
; %bb.1814:
	v_mov_b32_e32 v8, 44
	v_cmp_eq_u16_sdwa s[0:1], v5, v8 src0_sel:BYTE_0 src1_sel:DWORD
	s_and_b64 vcc, exec, s[0:1]
	s_cbranch_vccz .LBB55_1816
; %bb.1815:
	global_load_ubyte v8, v[0:1], off
	s_movk_i32 s15, 0xff
	v_mov_b32_e32 v12, 0x7e00
	s_mov_b64 s[0:1], 0
	s_mov_b64 s[20:21], -1
	s_waitcnt vmcnt(0)
	v_lshlrev_b32_e32 v11, 23, v8
	v_cvt_f16_f32_e32 v11, v11
	v_cmp_ne_u32_e32 vcc, s15, v8
	v_cndmask_b32_e32 v11, v12, v11, vcc
	v_cmp_ne_u32_e32 vcc, 0, v8
	v_cndmask_b32_e32 v8, 0, v11, vcc
	s_branch .LBB55_1817
.LBB55_1816:
	s_mov_b64 s[0:1], -1
                                        ; implicit-def: $vgpr8
.LBB55_1817:
	s_mov_b64 s[22:23], 0
.LBB55_1818:
	s_and_b64 vcc, exec, s[22:23]
	s_cbranch_vccz .LBB55_1822
; %bb.1819:
	v_mov_b32_e32 v8, 29
	v_cmp_eq_u16_sdwa s[0:1], v5, v8 src0_sel:BYTE_0 src1_sel:DWORD
	s_and_b64 vcc, exec, s[0:1]
	s_cbranch_vccz .LBB55_1821
; %bb.1820:
	global_load_dwordx2 v[12:13], v[0:1], off
	s_mov_b64 s[0:1], 0
	s_mov_b64 s[20:21], -1
	s_mov_b64 s[22:23], 0
	s_waitcnt vmcnt(0)
	v_ffbh_u32_e32 v8, v13
	v_min_u32_e32 v8, 32, v8
	v_lshlrev_b64 v[12:13], v8, v[12:13]
	v_min_u32_e32 v11, 1, v12
	v_or_b32_e32 v11, v13, v11
	v_cvt_f32_u32_e32 v11, v11
	v_sub_u32_e32 v8, 32, v8
	v_ldexp_f32 v8, v11, v8
	v_cvt_f16_f32_e32 v8, v8
	s_branch .LBB55_1823
.LBB55_1821:
	s_mov_b64 s[0:1], -1
                                        ; implicit-def: $vgpr8
.LBB55_1822:
	s_mov_b64 s[22:23], 0
.LBB55_1823:
	s_and_b64 vcc, exec, s[22:23]
	s_cbranch_vccz .LBB55_1841
; %bb.1824:
	v_mov_b32_e32 v8, 27
	v_cmp_lt_i16_sdwa s[20:21], v5, v8 src0_sel:BYTE_0 src1_sel:DWORD
	s_and_b64 vcc, exec, s[20:21]
	s_cbranch_vccnz .LBB55_1827
; %bb.1825:
	v_cmp_gt_i16_sdwa s[20:21], v5, v8 src0_sel:BYTE_0 src1_sel:DWORD
	s_and_b64 vcc, exec, s[20:21]
	s_cbranch_vccz .LBB55_1828
; %bb.1826:
	global_load_dword v8, v[0:1], off
	s_mov_b64 s[20:21], 0
	s_waitcnt vmcnt(0)
	v_cvt_f32_u32_e32 v8, v8
	v_cvt_f16_f32_e32 v8, v8
	s_branch .LBB55_1829
.LBB55_1827:
	s_mov_b64 s[20:21], -1
                                        ; implicit-def: $vgpr8
	s_branch .LBB55_1832
.LBB55_1828:
	s_mov_b64 s[20:21], -1
                                        ; implicit-def: $vgpr8
.LBB55_1829:
	s_andn2_b64 vcc, exec, s[20:21]
	s_cbranch_vccnz .LBB55_1831
; %bb.1830:
	global_load_ushort v8, v[0:1], off
	s_waitcnt vmcnt(0)
	v_cvt_f16_u16_e32 v8, v8
.LBB55_1831:
	s_mov_b64 s[20:21], 0
.LBB55_1832:
	s_andn2_b64 vcc, exec, s[20:21]
	s_cbranch_vccnz .LBB55_1840
; %bb.1833:
	global_load_ubyte v11, v[0:1], off
	s_movk_i32 s15, 0x7f
	s_mov_b64 s[20:21], 0
	s_waitcnt vmcnt(0)
	v_cmp_lt_i16_e32 vcc, s15, v11
                                        ; implicit-def: $sgpr15
	s_and_saveexec_b64 s[22:23], vcc
	s_xor_b64 s[22:23], exec, s[22:23]
	s_cbranch_execz .LBB55_1854
; %bb.1834:
	s_movk_i32 s15, 0x80
	v_cmp_eq_u16_e32 vcc, s15, v11
	s_mov_b64 s[20:21], -1
                                        ; implicit-def: $sgpr15
	s_and_saveexec_b64 s[24:25], vcc
; %bb.1835:
	s_movk_i32 s15, 0x7e00
	s_xor_b64 s[20:21], exec, -1
; %bb.1836:
	s_or_b64 exec, exec, s[24:25]
	s_and_b64 s[20:21], s[20:21], exec
	s_or_saveexec_b64 s[22:23], s[22:23]
	v_mov_b32_e32 v8, s15
	s_xor_b64 exec, exec, s[22:23]
	s_cbranch_execnz .LBB55_1855
.LBB55_1837:
	s_or_b64 exec, exec, s[22:23]
	s_and_saveexec_b64 s[22:23], s[20:21]
	s_cbranch_execz .LBB55_1839
.LBB55_1838:
	v_lshlrev_b32_e32 v8, 24, v11
	v_and_b32_e32 v11, 0xffff, v11
	v_and_b32_e32 v12, 7, v11
	v_ffbh_u32_e32 v14, v12
	v_min_u32_e32 v14, 32, v14
	v_subrev_u32_e32 v15, 28, v14
	v_bfe_u32 v13, v11, 3, 4
	v_lshlrev_b32_e32 v11, v15, v11
	v_sub_u32_e32 v14, 29, v14
	v_and_b32_e32 v11, 7, v11
	v_cmp_eq_u32_e32 vcc, 0, v13
	v_cndmask_b32_e32 v13, v13, v14, vcc
	v_cndmask_b32_e32 v11, v12, v11, vcc
	v_mov_b32_e32 v12, 0x3b800000
	v_lshlrev_b32_e32 v11, 20, v11
	v_and_b32_e32 v8, 0x80000000, v8
	v_lshl_add_u32 v12, v13, 23, v12
	v_or3_b32 v8, v8, v12, v11
	v_cvt_f16_f32_e32 v8, v8
.LBB55_1839:
	s_or_b64 exec, exec, s[22:23]
.LBB55_1840:
	s_mov_b64 s[20:21], -1
.LBB55_1841:
	s_mov_b64 s[22:23], 0
.LBB55_1842:
	s_and_b64 vcc, exec, s[22:23]
	s_cbranch_vccz .LBB55_1875
; %bb.1843:
	v_mov_b32_e32 v8, 22
	v_cmp_gt_i16_sdwa s[16:17], v5, v8 src0_sel:BYTE_0 src1_sel:DWORD
	s_and_b64 vcc, exec, s[16:17]
	s_cbranch_vccz .LBB55_1853
; %bb.1844:
	v_mov_b32_e32 v8, 24
	v_cmp_lt_i16_sdwa s[16:17], v5, v8 src0_sel:BYTE_0 src1_sel:DWORD
	s_and_b64 vcc, exec, s[16:17]
	s_cbranch_vccnz .LBB55_1856
; %bb.1845:
	v_cmp_gt_i16_sdwa s[16:17], v5, v8 src0_sel:BYTE_0 src1_sel:DWORD
	s_and_b64 vcc, exec, s[16:17]
	s_cbranch_vccz .LBB55_1857
; %bb.1846:
	global_load_ubyte v11, v[0:1], off
	s_movk_i32 s15, 0x7f
	s_mov_b64 s[16:17], 0
	s_waitcnt vmcnt(0)
	v_cmp_lt_i16_e32 vcc, s15, v11
                                        ; implicit-def: $sgpr15
	s_and_saveexec_b64 s[20:21], vcc
	s_xor_b64 s[20:21], exec, s[20:21]
	s_cbranch_execz .LBB55_1869
; %bb.1847:
	s_movk_i32 s15, 0x80
	v_cmp_eq_u16_e32 vcc, s15, v11
	s_mov_b64 s[16:17], -1
                                        ; implicit-def: $sgpr15
	s_and_saveexec_b64 s[22:23], vcc
; %bb.1848:
	s_movk_i32 s15, 0x7e00
	s_xor_b64 s[16:17], exec, -1
; %bb.1849:
	s_or_b64 exec, exec, s[22:23]
	s_and_b64 s[16:17], s[16:17], exec
	s_or_saveexec_b64 s[20:21], s[20:21]
	v_mov_b32_e32 v8, s15
	s_xor_b64 exec, exec, s[20:21]
	s_cbranch_execnz .LBB55_1870
.LBB55_1850:
	s_or_b64 exec, exec, s[20:21]
	s_and_saveexec_b64 s[20:21], s[16:17]
	s_cbranch_execz .LBB55_1852
.LBB55_1851:
	v_lshlrev_b32_e32 v8, 24, v11
	v_and_b32_e32 v11, 0xffff, v11
	v_and_b32_e32 v12, 3, v11
	v_ffbh_u32_e32 v14, v12
	v_min_u32_e32 v14, 32, v14
	v_subrev_u32_e32 v15, 29, v14
	v_bfe_u32 v13, v11, 2, 5
	v_lshlrev_b32_e32 v11, v15, v11
	v_sub_u32_e32 v14, 30, v14
	v_and_b32_e32 v11, 3, v11
	v_cmp_eq_u32_e32 vcc, 0, v13
	v_cndmask_b32_e32 v13, v13, v14, vcc
	v_cndmask_b32_e32 v11, v12, v11, vcc
	v_mov_b32_e32 v12, 0x37800000
	v_lshlrev_b32_e32 v11, 21, v11
	v_and_b32_e32 v8, 0x80000000, v8
	v_lshl_add_u32 v12, v13, 23, v12
	v_or3_b32 v8, v8, v12, v11
	v_cvt_f16_f32_e32 v8, v8
.LBB55_1852:
	s_or_b64 exec, exec, s[20:21]
	s_mov_b64 s[16:17], 0
	s_branch .LBB55_1858
.LBB55_1853:
	s_mov_b64 s[16:17], -1
                                        ; implicit-def: $vgpr8
	s_branch .LBB55_1864
.LBB55_1854:
	s_or_saveexec_b64 s[22:23], s[22:23]
	v_mov_b32_e32 v8, s15
	s_xor_b64 exec, exec, s[22:23]
	s_cbranch_execz .LBB55_1837
.LBB55_1855:
	v_cmp_ne_u16_e32 vcc, 0, v11
	s_andn2_b64 s[20:21], s[20:21], exec
	s_and_b64 s[24:25], vcc, exec
	s_or_b64 s[20:21], s[20:21], s[24:25]
	v_mov_b32_e32 v8, v11
	s_or_b64 exec, exec, s[22:23]
	s_and_saveexec_b64 s[22:23], s[20:21]
	s_cbranch_execnz .LBB55_1838
	s_branch .LBB55_1839
.LBB55_1856:
	s_mov_b64 s[16:17], -1
                                        ; implicit-def: $vgpr8
	s_branch .LBB55_1861
.LBB55_1857:
	s_mov_b64 s[16:17], -1
                                        ; implicit-def: $vgpr8
.LBB55_1858:
	s_and_b64 vcc, exec, s[16:17]
	s_cbranch_vccz .LBB55_1860
; %bb.1859:
	global_load_ubyte v8, v[0:1], off
	s_mov_b32 s15, 0x7f800000
	s_waitcnt vmcnt(0)
	v_lshlrev_b32_e32 v8, 24, v8
	v_and_b32_e32 v11, 0x7f000000, v8
	v_ffbh_u32_e32 v12, v11
	v_min_u32_e32 v12, 32, v12
	v_sub_u32_e64 v12, v12, 4 clamp
	v_lshlrev_b32_e32 v14, v12, v11
	v_lshlrev_b32_e32 v12, 23, v12
	v_lshrrev_b32_e32 v14, 4, v14
	v_add_u32_e32 v13, 0x1000000, v11
	v_sub_u32_e32 v12, v14, v12
	v_ashrrev_i32_e32 v13, 8, v13
	v_add_u32_e32 v12, 0x3c000000, v12
	v_and_or_b32 v12, v13, s15, v12
	v_cmp_ne_u32_e32 vcc, 0, v11
	v_cndmask_b32_e32 v11, 0, v12, vcc
	s_brev_b32 s15, 1
	v_and_or_b32 v8, v8, s15, v11
	v_cvt_f16_f32_e32 v8, v8
.LBB55_1860:
	s_mov_b64 s[16:17], 0
.LBB55_1861:
	s_andn2_b64 vcc, exec, s[16:17]
	s_cbranch_vccnz .LBB55_1863
; %bb.1862:
	global_load_ubyte v8, v[0:1], off
	s_movk_i32 s15, 0x7f00
	s_brev_b32 s16, 16
	s_waitcnt vmcnt(0)
	v_lshlrev_b16_e32 v11, 8, v8
	v_lshlrev_b32_e32 v8, 25, v8
	v_lshrrev_b32_e32 v12, 4, v8
	v_and_or_b32 v13, v11, s15, 0.5
	v_or_b32_e32 v12, 0x70000000, v12
	v_add_f32_e32 v13, -0.5, v13
	v_mul_f32_e32 v12, 0x7800000, v12
	v_cmp_gt_u32_e32 vcc, s16, v8
	v_bfe_i32 v11, v11, 0, 16
	v_cndmask_b32_e32 v8, v12, v13, vcc
	s_brev_b32 s15, 1
	v_and_or_b32 v8, v11, s15, v8
	v_cvt_f16_f32_e32 v8, v8
.LBB55_1863:
	s_mov_b64 s[16:17], 0
	s_mov_b64 s[20:21], -1
.LBB55_1864:
	s_andn2_b64 vcc, exec, s[16:17]
	s_mov_b64 s[16:17], 0
	s_cbranch_vccnz .LBB55_1875
; %bb.1865:
	v_mov_b32_e32 v8, 14
	v_cmp_gt_i16_sdwa s[16:17], v5, v8 src0_sel:BYTE_0 src1_sel:DWORD
	s_and_b64 vcc, exec, s[16:17]
	s_cbranch_vccz .LBB55_1868
; %bb.1866:
	v_mov_b32_e32 v8, 15
	v_cmp_eq_u16_sdwa s[0:1], v5, v8 src0_sel:BYTE_0 src1_sel:DWORD
	s_and_b64 vcc, exec, s[0:1]
	s_cbranch_vccz .LBB55_1871
; %bb.1867:
	global_load_ushort v8, v[0:1], off
	s_mov_b64 s[0:1], 0
	s_mov_b64 s[20:21], -1
	s_waitcnt vmcnt(0)
	v_lshlrev_b32_e32 v8, 16, v8
	v_cvt_f16_f32_e32 v8, v8
	s_branch .LBB55_1872
.LBB55_1868:
	s_mov_b64 s[22:23], -1
                                        ; implicit-def: $vgpr8
	s_branch .LBB55_1873
.LBB55_1869:
	s_or_saveexec_b64 s[20:21], s[20:21]
	v_mov_b32_e32 v8, s15
	s_xor_b64 exec, exec, s[20:21]
	s_cbranch_execz .LBB55_1850
.LBB55_1870:
	v_cmp_ne_u16_e32 vcc, 0, v11
	s_andn2_b64 s[16:17], s[16:17], exec
	s_and_b64 s[22:23], vcc, exec
	s_or_b64 s[16:17], s[16:17], s[22:23]
	v_mov_b32_e32 v8, v11
	s_or_b64 exec, exec, s[20:21]
	s_and_saveexec_b64 s[20:21], s[16:17]
	s_cbranch_execnz .LBB55_1851
	s_branch .LBB55_1852
.LBB55_1871:
	s_mov_b64 s[0:1], -1
                                        ; implicit-def: $vgpr8
.LBB55_1872:
	s_mov_b64 s[22:23], 0
.LBB55_1873:
	s_mov_b64 s[16:17], 0
	s_and_b64 vcc, exec, s[22:23]
	s_cbranch_vccz .LBB55_1875
; %bb.1874:
	v_mov_b32_e32 v8, 11
	v_cmp_ne_u16_sdwa s[0:1], v5, v8 src0_sel:BYTE_0 src1_sel:DWORD
	s_mov_b64 s[16:17], -1
                                        ; implicit-def: $vgpr8
.LBB55_1875:
	s_and_b64 vcc, exec, s[0:1]
	s_cbranch_vccnz .LBB55_1938
; %bb.1876:
	s_andn2_b64 vcc, exec, s[16:17]
	s_cbranch_vccnz .LBB55_1878
.LBB55_1877:
	global_load_ubyte v8, v[0:1], off
	v_mov_b32_e32 v11, 0x3c00
	s_mov_b64 s[20:21], -1
	s_waitcnt vmcnt(0)
	v_cmp_ne_u16_e32 vcc, 0, v8
	v_cndmask_b32_e32 v8, 0, v11, vcc
.LBB55_1878:
	s_branch .LBB55_1806
.LBB55_1879:
	v_mov_b32_e32 v8, 5
	v_cmp_lt_i16_sdwa s[0:1], v5, v8 src0_sel:BYTE_0 src1_sel:DWORD
	s_and_b64 vcc, exec, s[0:1]
	s_cbranch_vccnz .LBB55_1884
; %bb.1880:
	v_mov_b32_e32 v8, 8
	v_cmp_lt_i16_sdwa s[0:1], v5, v8 src0_sel:BYTE_0 src1_sel:DWORD
	s_and_b64 vcc, exec, s[0:1]
	s_cbranch_vccnz .LBB55_1885
; %bb.1881:
	;; [unrolled: 5-line block ×3, first 2 shown]
	v_cmp_gt_i16_sdwa s[0:1], v5, v8 src0_sel:BYTE_0 src1_sel:DWORD
	s_and_b64 vcc, exec, s[0:1]
	s_cbranch_vccz .LBB55_1887
; %bb.1883:
	global_load_dwordx2 v[12:13], v[0:1], off
	s_mov_b64 s[0:1], 0
	s_waitcnt vmcnt(0)
	v_cvt_f32_f64_e32 v8, v[12:13]
	v_cvt_f16_f32_e32 v8, v8
	s_branch .LBB55_1888
.LBB55_1884:
	s_mov_b64 s[0:1], -1
                                        ; implicit-def: $vgpr8
	s_branch .LBB55_1906
.LBB55_1885:
	s_mov_b64 s[0:1], -1
                                        ; implicit-def: $vgpr8
	s_branch .LBB55_1894
.LBB55_1886:
	s_mov_b64 s[0:1], -1
                                        ; implicit-def: $vgpr8
	s_branch .LBB55_1891
.LBB55_1887:
	s_mov_b64 s[0:1], -1
                                        ; implicit-def: $vgpr8
.LBB55_1888:
	s_andn2_b64 vcc, exec, s[0:1]
	s_cbranch_vccnz .LBB55_1890
; %bb.1889:
	global_load_dword v8, v[0:1], off
	s_waitcnt vmcnt(0)
	v_cvt_f16_f32_e32 v8, v8
.LBB55_1890:
	s_mov_b64 s[0:1], 0
.LBB55_1891:
	s_andn2_b64 vcc, exec, s[0:1]
	s_cbranch_vccnz .LBB55_1893
; %bb.1892:
	global_load_dword v8, v[0:1], off
.LBB55_1893:
	s_mov_b64 s[0:1], 0
.LBB55_1894:
	s_andn2_b64 vcc, exec, s[0:1]
	s_cbranch_vccnz .LBB55_1905
; %bb.1895:
	s_waitcnt vmcnt(0)
	v_mov_b32_e32 v8, 6
	v_cmp_lt_i16_sdwa s[0:1], v5, v8 src0_sel:BYTE_0 src1_sel:DWORD
	s_and_b64 vcc, exec, s[0:1]
	s_cbranch_vccnz .LBB55_1898
; %bb.1896:
	v_cmp_gt_i16_sdwa s[0:1], v5, v8 src0_sel:BYTE_0 src1_sel:DWORD
	s_and_b64 vcc, exec, s[0:1]
	s_cbranch_vccz .LBB55_1899
; %bb.1897:
	global_load_dwordx2 v[12:13], v[0:1], off
	s_mov_b64 s[0:1], 0
	s_waitcnt vmcnt(0)
	v_cvt_f32_f64_e32 v8, v[12:13]
	v_cvt_f16_f32_e32 v8, v8
	s_branch .LBB55_1900
.LBB55_1898:
	s_mov_b64 s[0:1], -1
                                        ; implicit-def: $vgpr8
	s_branch .LBB55_1903
.LBB55_1899:
	s_mov_b64 s[0:1], -1
                                        ; implicit-def: $vgpr8
.LBB55_1900:
	s_andn2_b64 vcc, exec, s[0:1]
	s_cbranch_vccnz .LBB55_1902
; %bb.1901:
	global_load_dword v8, v[0:1], off
	s_waitcnt vmcnt(0)
	v_cvt_f16_f32_e32 v8, v8
.LBB55_1902:
	s_mov_b64 s[0:1], 0
.LBB55_1903:
	s_andn2_b64 vcc, exec, s[0:1]
	s_cbranch_vccnz .LBB55_1905
; %bb.1904:
	global_load_ushort v8, v[0:1], off
.LBB55_1905:
	s_mov_b64 s[0:1], 0
.LBB55_1906:
	s_andn2_b64 vcc, exec, s[0:1]
	s_cbranch_vccnz .LBB55_1926
; %bb.1907:
	s_waitcnt vmcnt(0)
	v_mov_b32_e32 v8, 2
	v_cmp_lt_i16_sdwa s[0:1], v5, v8 src0_sel:BYTE_0 src1_sel:DWORD
	s_and_b64 vcc, exec, s[0:1]
	s_cbranch_vccnz .LBB55_1911
; %bb.1908:
	v_mov_b32_e32 v8, 3
	v_cmp_lt_i16_sdwa s[0:1], v5, v8 src0_sel:BYTE_0 src1_sel:DWORD
	s_and_b64 vcc, exec, s[0:1]
	s_cbranch_vccnz .LBB55_1912
; %bb.1909:
	v_cmp_gt_i16_sdwa s[0:1], v5, v8 src0_sel:BYTE_0 src1_sel:DWORD
	s_and_b64 vcc, exec, s[0:1]
	s_cbranch_vccz .LBB55_1913
; %bb.1910:
	global_load_dwordx2 v[12:13], v[0:1], off
	s_mov_b64 s[0:1], 0
	s_waitcnt vmcnt(0)
	v_xor_b32_e32 v11, v12, v13
	v_ffbh_i32_e32 v8, v13
	v_ashrrev_i32_e32 v11, 31, v11
	v_add_u32_e32 v8, -1, v8
	v_add_u32_e32 v11, 32, v11
	v_min_u32_e32 v8, v8, v11
	v_lshlrev_b64 v[12:13], v8, v[12:13]
	v_min_u32_e32 v11, 1, v12
	v_or_b32_e32 v11, v13, v11
	v_cvt_f32_i32_e32 v11, v11
	v_sub_u32_e32 v8, 32, v8
	v_ldexp_f32 v8, v11, v8
	v_cvt_f16_f32_e32 v8, v8
	s_branch .LBB55_1914
.LBB55_1911:
	s_mov_b64 s[0:1], -1
                                        ; implicit-def: $vgpr8
	s_branch .LBB55_1920
.LBB55_1912:
	s_mov_b64 s[0:1], -1
                                        ; implicit-def: $vgpr8
	s_branch .LBB55_1917
.LBB55_1913:
	s_mov_b64 s[0:1], -1
                                        ; implicit-def: $vgpr8
.LBB55_1914:
	s_andn2_b64 vcc, exec, s[0:1]
	s_cbranch_vccnz .LBB55_1916
; %bb.1915:
	global_load_dword v8, v[0:1], off
	s_waitcnt vmcnt(0)
	v_cvt_f32_i32_e32 v8, v8
	v_cvt_f16_f32_e32 v8, v8
.LBB55_1916:
	s_mov_b64 s[0:1], 0
.LBB55_1917:
	s_andn2_b64 vcc, exec, s[0:1]
	s_cbranch_vccnz .LBB55_1919
; %bb.1918:
	global_load_ushort v8, v[0:1], off
	s_waitcnt vmcnt(0)
	v_cvt_f16_i16_e32 v8, v8
.LBB55_1919:
	s_mov_b64 s[0:1], 0
.LBB55_1920:
	s_andn2_b64 vcc, exec, s[0:1]
	s_cbranch_vccnz .LBB55_1926
; %bb.1921:
	v_mov_b32_e32 v8, 0
	v_cmp_gt_i16_sdwa s[0:1], v5, v8 src0_sel:BYTE_0 src1_sel:DWORD
	s_and_b64 vcc, exec, s[0:1]
	s_cbranch_vccz .LBB55_1923
; %bb.1922:
	global_load_sbyte v8, v[0:1], off
	s_mov_b64 s[0:1], 0
	s_waitcnt vmcnt(0)
	v_cvt_f16_i16_e32 v8, v8
	s_branch .LBB55_1924
.LBB55_1923:
	s_mov_b64 s[0:1], -1
                                        ; implicit-def: $vgpr8
.LBB55_1924:
	s_andn2_b64 vcc, exec, s[0:1]
	s_cbranch_vccnz .LBB55_1926
; %bb.1925:
	global_load_ubyte v0, v[0:1], off
	s_waitcnt vmcnt(0)
	v_cvt_f16_u16_e32 v8, v0
.LBB55_1926:
.LBB55_1927:
	s_lshl_b32 s24, s14, 7
	v_add_u32_e32 v11, s24, v9
	v_ashrrev_i32_e32 v1, 31, v11
	v_mov_b32_e32 v9, s3
	v_add_co_u32_e32 v0, vcc, s2, v11
	v_addc_co_u32_e32 v1, vcc, v9, v1, vcc
	v_mov_b32_e32 v9, 11
	v_cmp_lt_i16_sdwa s[0:1], v4, v9 src0_sel:BYTE_0 src1_sel:DWORD
	s_and_b64 vcc, exec, s[0:1]
	s_cbranch_vccnz .LBB55_1934
; %bb.1928:
	v_mov_b32_e32 v9, 25
	v_cmp_gt_i16_sdwa s[0:1], v4, v9 src0_sel:BYTE_0 src1_sel:DWORD
	s_mov_b64 s[14:15], 0
	s_and_b64 vcc, exec, s[0:1]
	s_cbranch_vccz .LBB55_1935
; %bb.1929:
	v_mov_b32_e32 v9, 28
	v_cmp_gt_i16_sdwa s[0:1], v4, v9 src0_sel:BYTE_0 src1_sel:DWORD
	s_and_b64 vcc, exec, s[0:1]
	s_cbranch_vccz .LBB55_1936
; %bb.1930:
	v_mov_b32_e32 v9, 43
	v_cmp_gt_i16_sdwa s[0:1], v4, v9 src0_sel:BYTE_0 src1_sel:DWORD
	;; [unrolled: 5-line block ×3, first 2 shown]
	s_and_b64 vcc, exec, s[0:1]
	s_cbranch_vccz .LBB55_1939
; %bb.1932:
	v_mov_b32_e32 v9, 46
	v_cmp_eq_u16_sdwa s[0:1], v4, v9 src0_sel:BYTE_0 src1_sel:DWORD
	s_mov_b64 s[20:21], 0
	s_and_b64 vcc, exec, s[0:1]
	s_cbranch_vccz .LBB55_1940
; %bb.1933:
	global_load_dword v9, v[0:1], off
	s_mov_b64 s[0:1], 0
	s_mov_b64 s[16:17], -1
	s_waitcnt vmcnt(0)
	v_lshlrev_b32_e32 v9, 16, v9
	v_cvt_f16_f32_e32 v9, v9
	s_branch .LBB55_1941
.LBB55_1934:
	s_mov_b64 s[0:1], -1
	s_mov_b64 s[16:17], 0
                                        ; implicit-def: $vgpr9
	s_branch .LBB55_2007
.LBB55_1935:
	s_mov_b64 s[20:21], -1
	s_mov_b64 s[16:17], 0
	s_mov_b64 s[0:1], 0
                                        ; implicit-def: $vgpr9
	s_branch .LBB55_1970
.LBB55_1936:
	s_mov_b64 s[20:21], -1
	s_mov_b64 s[16:17], 0
	s_mov_b64 s[0:1], 0
                                        ; implicit-def: $vgpr9
	s_branch .LBB55_1951
.LBB55_1937:
	s_mov_b64 s[20:21], -1
	s_mov_b64 s[16:17], 0
	s_mov_b64 s[0:1], 0
                                        ; implicit-def: $vgpr9
	s_branch .LBB55_1946
.LBB55_1938:
	s_trap 2
	s_or_b64 s[18:19], s[18:19], exec
                                        ; implicit-def: $vgpr8
	s_cbranch_execz .LBB55_1877
	s_branch .LBB55_1878
.LBB55_1939:
	s_mov_b64 s[20:21], -1
	s_mov_b64 s[16:17], 0
	s_mov_b64 s[0:1], 0
                                        ; implicit-def: $vgpr9
	s_branch .LBB55_1941
.LBB55_1940:
	s_mov_b64 s[0:1], -1
                                        ; implicit-def: $vgpr9
	s_mov_b64 s[16:17], 0
.LBB55_1941:
	s_and_b64 vcc, exec, s[20:21]
	s_cbranch_vccz .LBB55_1945
; %bb.1942:
	v_mov_b32_e32 v9, 44
	v_cmp_eq_u16_sdwa s[0:1], v4, v9 src0_sel:BYTE_0 src1_sel:DWORD
	s_and_b64 vcc, exec, s[0:1]
	s_cbranch_vccz .LBB55_1944
; %bb.1943:
	global_load_ubyte v9, v[0:1], off
	s_movk_i32 s16, 0xff
	v_mov_b32_e32 v13, 0x7e00
	s_mov_b64 s[0:1], 0
	s_waitcnt vmcnt(0)
	v_lshlrev_b32_e32 v12, 23, v9
	v_cvt_f16_f32_e32 v12, v12
	v_cmp_ne_u32_e32 vcc, s16, v9
	s_mov_b64 s[16:17], -1
	v_cndmask_b32_e32 v12, v13, v12, vcc
	v_cmp_ne_u32_e32 vcc, 0, v9
	v_cndmask_b32_e32 v9, 0, v12, vcc
	s_branch .LBB55_1945
.LBB55_1944:
	s_mov_b64 s[0:1], -1
                                        ; implicit-def: $vgpr9
.LBB55_1945:
	s_mov_b64 s[20:21], 0
.LBB55_1946:
	s_and_b64 vcc, exec, s[20:21]
	s_cbranch_vccz .LBB55_1950
; %bb.1947:
	v_mov_b32_e32 v9, 29
	v_cmp_eq_u16_sdwa s[0:1], v4, v9 src0_sel:BYTE_0 src1_sel:DWORD
	s_and_b64 vcc, exec, s[0:1]
	s_cbranch_vccz .LBB55_1949
; %bb.1948:
	global_load_dwordx2 v[12:13], v[0:1], off
	s_mov_b64 s[0:1], 0
	s_mov_b64 s[16:17], -1
	s_mov_b64 s[20:21], 0
	s_waitcnt vmcnt(0)
	v_ffbh_u32_e32 v9, v13
	v_min_u32_e32 v9, 32, v9
	v_lshlrev_b64 v[12:13], v9, v[12:13]
	v_min_u32_e32 v12, 1, v12
	v_or_b32_e32 v12, v13, v12
	v_cvt_f32_u32_e32 v12, v12
	v_sub_u32_e32 v9, 32, v9
	v_ldexp_f32 v9, v12, v9
	v_cvt_f16_f32_e32 v9, v9
	s_branch .LBB55_1951
.LBB55_1949:
	s_mov_b64 s[0:1], -1
                                        ; implicit-def: $vgpr9
.LBB55_1950:
	s_mov_b64 s[20:21], 0
.LBB55_1951:
	s_and_b64 vcc, exec, s[20:21]
	s_cbranch_vccz .LBB55_1969
; %bb.1952:
	v_mov_b32_e32 v9, 27
	v_cmp_lt_i16_sdwa s[16:17], v4, v9 src0_sel:BYTE_0 src1_sel:DWORD
	s_and_b64 vcc, exec, s[16:17]
	s_cbranch_vccnz .LBB55_1955
; %bb.1953:
	v_cmp_gt_i16_sdwa s[16:17], v4, v9 src0_sel:BYTE_0 src1_sel:DWORD
	s_and_b64 vcc, exec, s[16:17]
	s_cbranch_vccz .LBB55_1956
; %bb.1954:
	global_load_dword v9, v[0:1], off
	s_mov_b64 s[16:17], 0
	s_waitcnt vmcnt(0)
	v_cvt_f32_u32_e32 v9, v9
	v_cvt_f16_f32_e32 v9, v9
	s_branch .LBB55_1957
.LBB55_1955:
	s_mov_b64 s[16:17], -1
                                        ; implicit-def: $vgpr9
	s_branch .LBB55_1960
.LBB55_1956:
	s_mov_b64 s[16:17], -1
                                        ; implicit-def: $vgpr9
.LBB55_1957:
	s_andn2_b64 vcc, exec, s[16:17]
	s_cbranch_vccnz .LBB55_1959
; %bb.1958:
	global_load_ushort v9, v[0:1], off
	s_waitcnt vmcnt(0)
	v_cvt_f16_u16_e32 v9, v9
.LBB55_1959:
	s_mov_b64 s[16:17], 0
.LBB55_1960:
	s_andn2_b64 vcc, exec, s[16:17]
	s_cbranch_vccnz .LBB55_1968
; %bb.1961:
	global_load_ubyte v12, v[0:1], off
	s_movk_i32 s16, 0x7f
                                        ; implicit-def: $sgpr25
	s_waitcnt vmcnt(0)
	v_cmp_lt_i16_e32 vcc, s16, v12
	s_mov_b64 s[16:17], 0
	s_and_saveexec_b64 s[20:21], vcc
	s_xor_b64 s[20:21], exec, s[20:21]
	s_cbranch_execz .LBB55_1982
; %bb.1962:
	s_movk_i32 s16, 0x80
	v_cmp_eq_u16_e32 vcc, s16, v12
	s_mov_b64 s[16:17], -1
                                        ; implicit-def: $sgpr25
	s_and_saveexec_b64 s[22:23], vcc
; %bb.1963:
	s_movk_i32 s25, 0x7e00
	s_xor_b64 s[16:17], exec, -1
; %bb.1964:
	s_or_b64 exec, exec, s[22:23]
	s_and_b64 s[16:17], s[16:17], exec
	s_or_saveexec_b64 s[20:21], s[20:21]
	v_mov_b32_e32 v9, s25
	s_xor_b64 exec, exec, s[20:21]
	s_cbranch_execnz .LBB55_1983
.LBB55_1965:
	s_or_b64 exec, exec, s[20:21]
	s_and_saveexec_b64 s[20:21], s[16:17]
	s_cbranch_execz .LBB55_1967
.LBB55_1966:
	v_lshlrev_b32_e32 v9, 24, v12
	v_and_b32_e32 v12, 0xffff, v12
	v_and_b32_e32 v13, 7, v12
	v_ffbh_u32_e32 v15, v13
	v_min_u32_e32 v15, 32, v15
	v_subrev_u32_e32 v16, 28, v15
	v_bfe_u32 v14, v12, 3, 4
	v_lshlrev_b32_e32 v12, v16, v12
	v_sub_u32_e32 v15, 29, v15
	v_and_b32_e32 v12, 7, v12
	v_cmp_eq_u32_e32 vcc, 0, v14
	v_cndmask_b32_e32 v14, v14, v15, vcc
	v_cndmask_b32_e32 v12, v13, v12, vcc
	v_mov_b32_e32 v13, 0x3b800000
	v_lshlrev_b32_e32 v12, 20, v12
	v_and_b32_e32 v9, 0x80000000, v9
	v_lshl_add_u32 v13, v14, 23, v13
	v_or3_b32 v9, v9, v13, v12
	v_cvt_f16_f32_e32 v9, v9
.LBB55_1967:
	s_or_b64 exec, exec, s[20:21]
.LBB55_1968:
	s_mov_b64 s[16:17], -1
.LBB55_1969:
	s_mov_b64 s[20:21], 0
.LBB55_1970:
	s_and_b64 vcc, exec, s[20:21]
	s_cbranch_vccz .LBB55_2003
; %bb.1971:
	v_mov_b32_e32 v9, 22
	v_cmp_gt_i16_sdwa s[14:15], v4, v9 src0_sel:BYTE_0 src1_sel:DWORD
	s_and_b64 vcc, exec, s[14:15]
	s_cbranch_vccz .LBB55_1981
; %bb.1972:
	v_mov_b32_e32 v9, 24
	v_cmp_lt_i16_sdwa s[14:15], v4, v9 src0_sel:BYTE_0 src1_sel:DWORD
	s_and_b64 vcc, exec, s[14:15]
	s_cbranch_vccnz .LBB55_1984
; %bb.1973:
	v_cmp_gt_i16_sdwa s[14:15], v4, v9 src0_sel:BYTE_0 src1_sel:DWORD
	s_and_b64 vcc, exec, s[14:15]
	s_cbranch_vccz .LBB55_1985
; %bb.1974:
	global_load_ubyte v12, v[0:1], off
	s_movk_i32 s14, 0x7f
                                        ; implicit-def: $sgpr22
	s_waitcnt vmcnt(0)
	v_cmp_lt_i16_e32 vcc, s14, v12
	s_mov_b64 s[14:15], 0
	s_and_saveexec_b64 s[16:17], vcc
	s_xor_b64 s[16:17], exec, s[16:17]
	s_cbranch_execz .LBB55_1997
; %bb.1975:
	s_movk_i32 s14, 0x80
	v_cmp_eq_u16_e32 vcc, s14, v12
	s_mov_b64 s[14:15], -1
                                        ; implicit-def: $sgpr22
	s_and_saveexec_b64 s[20:21], vcc
; %bb.1976:
	s_movk_i32 s22, 0x7e00
	s_xor_b64 s[14:15], exec, -1
; %bb.1977:
	s_or_b64 exec, exec, s[20:21]
	s_and_b64 s[14:15], s[14:15], exec
	s_or_saveexec_b64 s[16:17], s[16:17]
	v_mov_b32_e32 v9, s22
	s_xor_b64 exec, exec, s[16:17]
	s_cbranch_execnz .LBB55_1998
.LBB55_1978:
	s_or_b64 exec, exec, s[16:17]
	s_and_saveexec_b64 s[16:17], s[14:15]
	s_cbranch_execz .LBB55_1980
.LBB55_1979:
	v_lshlrev_b32_e32 v9, 24, v12
	v_and_b32_e32 v12, 0xffff, v12
	v_and_b32_e32 v13, 3, v12
	v_ffbh_u32_e32 v15, v13
	v_min_u32_e32 v15, 32, v15
	v_subrev_u32_e32 v16, 29, v15
	v_bfe_u32 v14, v12, 2, 5
	v_lshlrev_b32_e32 v12, v16, v12
	v_sub_u32_e32 v15, 30, v15
	v_and_b32_e32 v12, 3, v12
	v_cmp_eq_u32_e32 vcc, 0, v14
	v_cndmask_b32_e32 v14, v14, v15, vcc
	v_cndmask_b32_e32 v12, v13, v12, vcc
	v_mov_b32_e32 v13, 0x37800000
	v_lshlrev_b32_e32 v12, 21, v12
	v_and_b32_e32 v9, 0x80000000, v9
	v_lshl_add_u32 v13, v14, 23, v13
	v_or3_b32 v9, v9, v13, v12
	v_cvt_f16_f32_e32 v9, v9
.LBB55_1980:
	s_or_b64 exec, exec, s[16:17]
	s_mov_b64 s[14:15], 0
	s_branch .LBB55_1986
.LBB55_1981:
	s_mov_b64 s[14:15], -1
                                        ; implicit-def: $vgpr9
	s_branch .LBB55_1992
.LBB55_1982:
	s_or_saveexec_b64 s[20:21], s[20:21]
	v_mov_b32_e32 v9, s25
	s_xor_b64 exec, exec, s[20:21]
	s_cbranch_execz .LBB55_1965
.LBB55_1983:
	v_cmp_ne_u16_e32 vcc, 0, v12
	s_andn2_b64 s[16:17], s[16:17], exec
	s_and_b64 s[22:23], vcc, exec
	s_or_b64 s[16:17], s[16:17], s[22:23]
	v_mov_b32_e32 v9, v12
	s_or_b64 exec, exec, s[20:21]
	s_and_saveexec_b64 s[20:21], s[16:17]
	s_cbranch_execnz .LBB55_1966
	s_branch .LBB55_1967
.LBB55_1984:
	s_mov_b64 s[14:15], -1
                                        ; implicit-def: $vgpr9
	s_branch .LBB55_1989
.LBB55_1985:
	s_mov_b64 s[14:15], -1
                                        ; implicit-def: $vgpr9
.LBB55_1986:
	s_and_b64 vcc, exec, s[14:15]
	s_cbranch_vccz .LBB55_1988
; %bb.1987:
	global_load_ubyte v9, v[0:1], off
	s_mov_b32 s14, 0x7f800000
	s_waitcnt vmcnt(0)
	v_lshlrev_b32_e32 v9, 24, v9
	v_and_b32_e32 v12, 0x7f000000, v9
	v_ffbh_u32_e32 v13, v12
	v_min_u32_e32 v13, 32, v13
	v_sub_u32_e64 v13, v13, 4 clamp
	v_lshlrev_b32_e32 v15, v13, v12
	v_lshlrev_b32_e32 v13, 23, v13
	v_lshrrev_b32_e32 v15, 4, v15
	v_add_u32_e32 v14, 0x1000000, v12
	v_sub_u32_e32 v13, v15, v13
	v_ashrrev_i32_e32 v14, 8, v14
	v_add_u32_e32 v13, 0x3c000000, v13
	v_and_or_b32 v13, v14, s14, v13
	v_cmp_ne_u32_e32 vcc, 0, v12
	v_cndmask_b32_e32 v12, 0, v13, vcc
	s_brev_b32 s14, 1
	v_and_or_b32 v9, v9, s14, v12
	v_cvt_f16_f32_e32 v9, v9
.LBB55_1988:
	s_mov_b64 s[14:15], 0
.LBB55_1989:
	s_andn2_b64 vcc, exec, s[14:15]
	s_cbranch_vccnz .LBB55_1991
; %bb.1990:
	global_load_ubyte v9, v[0:1], off
	s_movk_i32 s14, 0x7f00
	s_brev_b32 s15, 16
	s_waitcnt vmcnt(0)
	v_lshlrev_b16_e32 v12, 8, v9
	v_lshlrev_b32_e32 v9, 25, v9
	v_lshrrev_b32_e32 v13, 4, v9
	v_and_or_b32 v14, v12, s14, 0.5
	v_or_b32_e32 v13, 0x70000000, v13
	v_add_f32_e32 v14, -0.5, v14
	v_mul_f32_e32 v13, 0x7800000, v13
	v_cmp_gt_u32_e32 vcc, s15, v9
	v_bfe_i32 v12, v12, 0, 16
	v_cndmask_b32_e32 v9, v13, v14, vcc
	s_brev_b32 s14, 1
	v_and_or_b32 v9, v12, s14, v9
	v_cvt_f16_f32_e32 v9, v9
.LBB55_1991:
	s_mov_b64 s[14:15], 0
	s_mov_b64 s[16:17], -1
.LBB55_1992:
	s_andn2_b64 vcc, exec, s[14:15]
	s_mov_b64 s[14:15], 0
	s_cbranch_vccnz .LBB55_2003
; %bb.1993:
	v_mov_b32_e32 v9, 14
	v_cmp_gt_i16_sdwa s[14:15], v4, v9 src0_sel:BYTE_0 src1_sel:DWORD
	s_and_b64 vcc, exec, s[14:15]
	s_cbranch_vccz .LBB55_1996
; %bb.1994:
	v_mov_b32_e32 v9, 15
	v_cmp_eq_u16_sdwa s[0:1], v4, v9 src0_sel:BYTE_0 src1_sel:DWORD
	s_and_b64 vcc, exec, s[0:1]
	s_cbranch_vccz .LBB55_1999
; %bb.1995:
	global_load_ushort v9, v[0:1], off
	s_mov_b64 s[0:1], 0
	s_mov_b64 s[16:17], -1
	s_waitcnt vmcnt(0)
	v_lshlrev_b32_e32 v9, 16, v9
	v_cvt_f16_f32_e32 v9, v9
	s_branch .LBB55_2000
.LBB55_1996:
	s_mov_b64 s[20:21], -1
                                        ; implicit-def: $vgpr9
	s_branch .LBB55_2001
.LBB55_1997:
	s_or_saveexec_b64 s[16:17], s[16:17]
	v_mov_b32_e32 v9, s22
	s_xor_b64 exec, exec, s[16:17]
	s_cbranch_execz .LBB55_1978
.LBB55_1998:
	v_cmp_ne_u16_e32 vcc, 0, v12
	s_andn2_b64 s[14:15], s[14:15], exec
	s_and_b64 s[20:21], vcc, exec
	s_or_b64 s[14:15], s[14:15], s[20:21]
	v_mov_b32_e32 v9, v12
	s_or_b64 exec, exec, s[16:17]
	s_and_saveexec_b64 s[16:17], s[14:15]
	s_cbranch_execnz .LBB55_1979
	s_branch .LBB55_1980
.LBB55_1999:
	s_mov_b64 s[0:1], -1
                                        ; implicit-def: $vgpr9
.LBB55_2000:
	s_mov_b64 s[20:21], 0
.LBB55_2001:
	s_mov_b64 s[14:15], 0
	s_and_b64 vcc, exec, s[20:21]
	s_cbranch_vccz .LBB55_2003
; %bb.2002:
	v_mov_b32_e32 v9, 11
	v_cmp_ne_u16_sdwa s[0:1], v4, v9 src0_sel:BYTE_0 src1_sel:DWORD
	s_mov_b64 s[14:15], -1
                                        ; implicit-def: $vgpr9
.LBB55_2003:
	s_and_b64 vcc, exec, s[0:1]
	s_cbranch_vccnz .LBB55_2068
; %bb.2004:
	s_andn2_b64 vcc, exec, s[14:15]
	s_cbranch_vccnz .LBB55_2006
.LBB55_2005:
	global_load_ubyte v9, v[0:1], off
	v_mov_b32_e32 v12, 0x3c00
	s_mov_b64 s[16:17], -1
	s_waitcnt vmcnt(0)
	v_cmp_ne_u16_e32 vcc, 0, v9
	v_cndmask_b32_e32 v9, 0, v12, vcc
.LBB55_2006:
	s_mov_b64 s[0:1], 0
.LBB55_2007:
	s_and_b64 vcc, exec, s[0:1]
	s_cbranch_vccz .LBB55_2056
; %bb.2008:
	v_mov_b32_e32 v9, 5
	v_cmp_lt_i16_sdwa s[0:1], v4, v9 src0_sel:BYTE_0 src1_sel:DWORD
	s_and_b64 vcc, exec, s[0:1]
	s_cbranch_vccnz .LBB55_2013
; %bb.2009:
	v_mov_b32_e32 v9, 8
	v_cmp_lt_i16_sdwa s[0:1], v4, v9 src0_sel:BYTE_0 src1_sel:DWORD
	s_and_b64 vcc, exec, s[0:1]
	s_cbranch_vccnz .LBB55_2014
	;; [unrolled: 5-line block ×3, first 2 shown]
; %bb.2011:
	v_cmp_gt_i16_sdwa s[0:1], v4, v9 src0_sel:BYTE_0 src1_sel:DWORD
	s_and_b64 vcc, exec, s[0:1]
	s_cbranch_vccz .LBB55_2016
; %bb.2012:
	global_load_dwordx2 v[12:13], v[0:1], off
	s_mov_b64 s[0:1], 0
	s_waitcnt vmcnt(0)
	v_cvt_f32_f64_e32 v9, v[12:13]
	v_cvt_f16_f32_e32 v9, v9
	s_branch .LBB55_2017
.LBB55_2013:
	s_mov_b64 s[0:1], -1
                                        ; implicit-def: $vgpr9
	s_branch .LBB55_2035
.LBB55_2014:
	s_mov_b64 s[0:1], -1
                                        ; implicit-def: $vgpr9
	s_branch .LBB55_2023
.LBB55_2015:
	s_mov_b64 s[0:1], -1
                                        ; implicit-def: $vgpr9
	s_branch .LBB55_2020
.LBB55_2016:
	s_mov_b64 s[0:1], -1
                                        ; implicit-def: $vgpr9
.LBB55_2017:
	s_andn2_b64 vcc, exec, s[0:1]
	s_cbranch_vccnz .LBB55_2019
; %bb.2018:
	global_load_dword v9, v[0:1], off
	s_waitcnt vmcnt(0)
	v_cvt_f16_f32_e32 v9, v9
.LBB55_2019:
	s_mov_b64 s[0:1], 0
.LBB55_2020:
	s_andn2_b64 vcc, exec, s[0:1]
	s_cbranch_vccnz .LBB55_2022
; %bb.2021:
	global_load_dword v9, v[0:1], off
.LBB55_2022:
	s_mov_b64 s[0:1], 0
.LBB55_2023:
	s_andn2_b64 vcc, exec, s[0:1]
	s_cbranch_vccnz .LBB55_2034
; %bb.2024:
	s_waitcnt vmcnt(0)
	v_mov_b32_e32 v9, 6
	v_cmp_lt_i16_sdwa s[0:1], v4, v9 src0_sel:BYTE_0 src1_sel:DWORD
	s_and_b64 vcc, exec, s[0:1]
	s_cbranch_vccnz .LBB55_2027
; %bb.2025:
	v_cmp_gt_i16_sdwa s[0:1], v4, v9 src0_sel:BYTE_0 src1_sel:DWORD
	s_and_b64 vcc, exec, s[0:1]
	s_cbranch_vccz .LBB55_2028
; %bb.2026:
	global_load_dwordx2 v[12:13], v[0:1], off
	s_mov_b64 s[0:1], 0
	s_waitcnt vmcnt(0)
	v_cvt_f32_f64_e32 v9, v[12:13]
	v_cvt_f16_f32_e32 v9, v9
	s_branch .LBB55_2029
.LBB55_2027:
	s_mov_b64 s[0:1], -1
                                        ; implicit-def: $vgpr9
	s_branch .LBB55_2032
.LBB55_2028:
	s_mov_b64 s[0:1], -1
                                        ; implicit-def: $vgpr9
.LBB55_2029:
	s_andn2_b64 vcc, exec, s[0:1]
	s_cbranch_vccnz .LBB55_2031
; %bb.2030:
	global_load_dword v9, v[0:1], off
	s_waitcnt vmcnt(0)
	v_cvt_f16_f32_e32 v9, v9
.LBB55_2031:
	s_mov_b64 s[0:1], 0
.LBB55_2032:
	s_andn2_b64 vcc, exec, s[0:1]
	s_cbranch_vccnz .LBB55_2034
; %bb.2033:
	global_load_ushort v9, v[0:1], off
.LBB55_2034:
	s_mov_b64 s[0:1], 0
.LBB55_2035:
	s_andn2_b64 vcc, exec, s[0:1]
	s_cbranch_vccnz .LBB55_2055
; %bb.2036:
	s_waitcnt vmcnt(0)
	v_mov_b32_e32 v9, 2
	v_cmp_lt_i16_sdwa s[0:1], v4, v9 src0_sel:BYTE_0 src1_sel:DWORD
	s_and_b64 vcc, exec, s[0:1]
	s_cbranch_vccnz .LBB55_2040
; %bb.2037:
	v_mov_b32_e32 v9, 3
	v_cmp_lt_i16_sdwa s[0:1], v4, v9 src0_sel:BYTE_0 src1_sel:DWORD
	s_and_b64 vcc, exec, s[0:1]
	s_cbranch_vccnz .LBB55_2041
; %bb.2038:
	v_cmp_gt_i16_sdwa s[0:1], v4, v9 src0_sel:BYTE_0 src1_sel:DWORD
	s_and_b64 vcc, exec, s[0:1]
	s_cbranch_vccz .LBB55_2042
; %bb.2039:
	global_load_dwordx2 v[12:13], v[0:1], off
	s_mov_b64 s[0:1], 0
	s_waitcnt vmcnt(0)
	v_xor_b32_e32 v14, v12, v13
	v_ffbh_i32_e32 v9, v13
	v_ashrrev_i32_e32 v14, 31, v14
	v_add_u32_e32 v9, -1, v9
	v_add_u32_e32 v14, 32, v14
	v_min_u32_e32 v9, v9, v14
	v_lshlrev_b64 v[12:13], v9, v[12:13]
	v_min_u32_e32 v12, 1, v12
	v_or_b32_e32 v12, v13, v12
	v_cvt_f32_i32_e32 v12, v12
	v_sub_u32_e32 v9, 32, v9
	v_ldexp_f32 v9, v12, v9
	v_cvt_f16_f32_e32 v9, v9
	s_branch .LBB55_2043
.LBB55_2040:
	s_mov_b64 s[0:1], -1
                                        ; implicit-def: $vgpr9
	s_branch .LBB55_2049
.LBB55_2041:
	s_mov_b64 s[0:1], -1
                                        ; implicit-def: $vgpr9
	s_branch .LBB55_2046
.LBB55_2042:
	s_mov_b64 s[0:1], -1
                                        ; implicit-def: $vgpr9
.LBB55_2043:
	s_andn2_b64 vcc, exec, s[0:1]
	s_cbranch_vccnz .LBB55_2045
; %bb.2044:
	global_load_dword v9, v[0:1], off
	s_waitcnt vmcnt(0)
	v_cvt_f32_i32_e32 v9, v9
	v_cvt_f16_f32_e32 v9, v9
.LBB55_2045:
	s_mov_b64 s[0:1], 0
.LBB55_2046:
	s_andn2_b64 vcc, exec, s[0:1]
	s_cbranch_vccnz .LBB55_2048
; %bb.2047:
	global_load_ushort v9, v[0:1], off
	s_waitcnt vmcnt(0)
	v_cvt_f16_i16_e32 v9, v9
.LBB55_2048:
	s_mov_b64 s[0:1], 0
.LBB55_2049:
	s_andn2_b64 vcc, exec, s[0:1]
	s_cbranch_vccnz .LBB55_2055
; %bb.2050:
	v_mov_b32_e32 v9, 0
	v_cmp_gt_i16_sdwa s[0:1], v4, v9 src0_sel:BYTE_0 src1_sel:DWORD
	s_and_b64 vcc, exec, s[0:1]
	s_cbranch_vccz .LBB55_2052
; %bb.2051:
	global_load_sbyte v9, v[0:1], off
	s_mov_b64 s[0:1], 0
	s_waitcnt vmcnt(0)
	v_cvt_f16_i16_e32 v9, v9
	s_branch .LBB55_2053
.LBB55_2052:
	s_mov_b64 s[0:1], -1
                                        ; implicit-def: $vgpr9
.LBB55_2053:
	s_andn2_b64 vcc, exec, s[0:1]
	s_cbranch_vccnz .LBB55_2055
; %bb.2054:
	global_load_ubyte v0, v[0:1], off
	s_waitcnt vmcnt(0)
	v_cvt_f16_u16_e32 v9, v0
.LBB55_2055:
	s_mov_b64 s[16:17], -1
.LBB55_2056:
	s_andn2_b64 vcc, exec, s[16:17]
	s_cbranch_vccnz .LBB55_3032
; %bb.2057:
	v_add_u32_e32 v12, s13, v10
	v_ashrrev_i32_e32 v1, 31, v12
	v_mov_b32_e32 v10, s11
	v_add_co_u32_e32 v0, vcc, s10, v12
	v_addc_co_u32_e32 v1, vcc, v10, v1, vcc
	v_mov_b32_e32 v10, 11
	v_cmp_lt_i16_sdwa s[0:1], v5, v10 src0_sel:BYTE_0 src1_sel:DWORD
	s_and_b64 vcc, exec, s[0:1]
	s_cbranch_vccnz .LBB55_2064
; %bb.2058:
	v_mov_b32_e32 v10, 25
	v_cmp_gt_i16_sdwa s[0:1], v5, v10 src0_sel:BYTE_0 src1_sel:DWORD
	s_mov_b64 s[14:15], 0
	s_and_b64 vcc, exec, s[0:1]
	s_cbranch_vccz .LBB55_2065
; %bb.2059:
	v_mov_b32_e32 v10, 28
	v_cmp_gt_i16_sdwa s[0:1], v5, v10 src0_sel:BYTE_0 src1_sel:DWORD
	s_and_b64 vcc, exec, s[0:1]
	s_cbranch_vccz .LBB55_2066
; %bb.2060:
	v_mov_b32_e32 v10, 43
	v_cmp_gt_i16_sdwa s[0:1], v5, v10 src0_sel:BYTE_0 src1_sel:DWORD
	;; [unrolled: 5-line block ×3, first 2 shown]
	s_and_b64 vcc, exec, s[0:1]
	s_cbranch_vccz .LBB55_2069
; %bb.2062:
	v_mov_b32_e32 v10, 46
	v_cmp_eq_u16_sdwa s[0:1], v5, v10 src0_sel:BYTE_0 src1_sel:DWORD
	s_mov_b64 s[20:21], 0
	s_and_b64 vcc, exec, s[0:1]
	s_cbranch_vccz .LBB55_2070
; %bb.2063:
	global_load_dword v10, v[0:1], off
	s_mov_b64 s[0:1], 0
	s_mov_b64 s[16:17], -1
	s_waitcnt vmcnt(0)
	v_lshlrev_b32_e32 v10, 16, v10
	v_cvt_f16_f32_e32 v10, v10
	s_branch .LBB55_2071
.LBB55_2064:
	s_mov_b64 s[0:1], -1
	s_mov_b64 s[16:17], 0
                                        ; implicit-def: $vgpr10
	s_branch .LBB55_2137
.LBB55_2065:
	s_mov_b64 s[20:21], -1
	s_mov_b64 s[16:17], 0
	s_mov_b64 s[0:1], 0
                                        ; implicit-def: $vgpr10
	s_branch .LBB55_2100
.LBB55_2066:
	s_mov_b64 s[20:21], -1
	s_mov_b64 s[16:17], 0
	s_mov_b64 s[0:1], 0
                                        ; implicit-def: $vgpr10
	s_branch .LBB55_2081
.LBB55_2067:
	s_mov_b64 s[20:21], -1
	s_mov_b64 s[16:17], 0
	s_mov_b64 s[0:1], 0
                                        ; implicit-def: $vgpr10
	s_branch .LBB55_2076
.LBB55_2068:
	s_trap 2
	s_or_b64 s[18:19], s[18:19], exec
                                        ; implicit-def: $vgpr9
	s_cbranch_execz .LBB55_2005
	s_branch .LBB55_2006
.LBB55_2069:
	s_mov_b64 s[20:21], -1
	s_mov_b64 s[16:17], 0
	s_mov_b64 s[0:1], 0
                                        ; implicit-def: $vgpr10
	s_branch .LBB55_2071
.LBB55_2070:
	s_mov_b64 s[0:1], -1
                                        ; implicit-def: $vgpr10
	s_mov_b64 s[16:17], 0
.LBB55_2071:
	s_and_b64 vcc, exec, s[20:21]
	s_cbranch_vccz .LBB55_2075
; %bb.2072:
	v_mov_b32_e32 v10, 44
	v_cmp_eq_u16_sdwa s[0:1], v5, v10 src0_sel:BYTE_0 src1_sel:DWORD
	s_and_b64 vcc, exec, s[0:1]
	s_cbranch_vccz .LBB55_2074
; %bb.2073:
	global_load_ubyte v10, v[0:1], off
	s_movk_i32 s16, 0xff
	v_mov_b32_e32 v14, 0x7e00
	s_mov_b64 s[0:1], 0
	s_waitcnt vmcnt(0)
	v_lshlrev_b32_e32 v13, 23, v10
	v_cvt_f16_f32_e32 v13, v13
	v_cmp_ne_u32_e32 vcc, s16, v10
	s_mov_b64 s[16:17], -1
	v_cndmask_b32_e32 v13, v14, v13, vcc
	v_cmp_ne_u32_e32 vcc, 0, v10
	v_cndmask_b32_e32 v10, 0, v13, vcc
	s_branch .LBB55_2075
.LBB55_2074:
	s_mov_b64 s[0:1], -1
                                        ; implicit-def: $vgpr10
.LBB55_2075:
	s_mov_b64 s[20:21], 0
.LBB55_2076:
	s_and_b64 vcc, exec, s[20:21]
	s_cbranch_vccz .LBB55_2080
; %bb.2077:
	v_mov_b32_e32 v10, 29
	v_cmp_eq_u16_sdwa s[0:1], v5, v10 src0_sel:BYTE_0 src1_sel:DWORD
	s_and_b64 vcc, exec, s[0:1]
	s_cbranch_vccz .LBB55_2079
; %bb.2078:
	global_load_dwordx2 v[14:15], v[0:1], off
	s_mov_b64 s[0:1], 0
	s_mov_b64 s[16:17], -1
	s_mov_b64 s[20:21], 0
	s_waitcnt vmcnt(0)
	v_ffbh_u32_e32 v10, v15
	v_min_u32_e32 v10, 32, v10
	v_lshlrev_b64 v[14:15], v10, v[14:15]
	v_min_u32_e32 v13, 1, v14
	v_or_b32_e32 v13, v15, v13
	v_cvt_f32_u32_e32 v13, v13
	v_sub_u32_e32 v10, 32, v10
	v_ldexp_f32 v10, v13, v10
	v_cvt_f16_f32_e32 v10, v10
	s_branch .LBB55_2081
.LBB55_2079:
	s_mov_b64 s[0:1], -1
                                        ; implicit-def: $vgpr10
.LBB55_2080:
	s_mov_b64 s[20:21], 0
.LBB55_2081:
	s_and_b64 vcc, exec, s[20:21]
	s_cbranch_vccz .LBB55_2099
; %bb.2082:
	v_mov_b32_e32 v10, 27
	v_cmp_lt_i16_sdwa s[16:17], v5, v10 src0_sel:BYTE_0 src1_sel:DWORD
	s_and_b64 vcc, exec, s[16:17]
	s_cbranch_vccnz .LBB55_2085
; %bb.2083:
	v_cmp_gt_i16_sdwa s[16:17], v5, v10 src0_sel:BYTE_0 src1_sel:DWORD
	s_and_b64 vcc, exec, s[16:17]
	s_cbranch_vccz .LBB55_2086
; %bb.2084:
	global_load_dword v10, v[0:1], off
	s_mov_b64 s[16:17], 0
	s_waitcnt vmcnt(0)
	v_cvt_f32_u32_e32 v10, v10
	v_cvt_f16_f32_e32 v10, v10
	s_branch .LBB55_2087
.LBB55_2085:
	s_mov_b64 s[16:17], -1
                                        ; implicit-def: $vgpr10
	s_branch .LBB55_2090
.LBB55_2086:
	s_mov_b64 s[16:17], -1
                                        ; implicit-def: $vgpr10
.LBB55_2087:
	s_andn2_b64 vcc, exec, s[16:17]
	s_cbranch_vccnz .LBB55_2089
; %bb.2088:
	global_load_ushort v10, v[0:1], off
	s_waitcnt vmcnt(0)
	v_cvt_f16_u16_e32 v10, v10
.LBB55_2089:
	s_mov_b64 s[16:17], 0
.LBB55_2090:
	s_andn2_b64 vcc, exec, s[16:17]
	s_cbranch_vccnz .LBB55_2098
; %bb.2091:
	global_load_ubyte v13, v[0:1], off
	s_movk_i32 s16, 0x7f
                                        ; implicit-def: $sgpr25
	s_waitcnt vmcnt(0)
	v_cmp_lt_i16_e32 vcc, s16, v13
	s_mov_b64 s[16:17], 0
	s_and_saveexec_b64 s[20:21], vcc
	s_xor_b64 s[20:21], exec, s[20:21]
	s_cbranch_execz .LBB55_2112
; %bb.2092:
	s_movk_i32 s16, 0x80
	v_cmp_eq_u16_e32 vcc, s16, v13
	s_mov_b64 s[16:17], -1
                                        ; implicit-def: $sgpr25
	s_and_saveexec_b64 s[22:23], vcc
; %bb.2093:
	s_movk_i32 s25, 0x7e00
	s_xor_b64 s[16:17], exec, -1
; %bb.2094:
	s_or_b64 exec, exec, s[22:23]
	s_and_b64 s[16:17], s[16:17], exec
	s_or_saveexec_b64 s[20:21], s[20:21]
	v_mov_b32_e32 v10, s25
	s_xor_b64 exec, exec, s[20:21]
	s_cbranch_execnz .LBB55_2113
.LBB55_2095:
	s_or_b64 exec, exec, s[20:21]
	s_and_saveexec_b64 s[20:21], s[16:17]
	s_cbranch_execz .LBB55_2097
.LBB55_2096:
	v_lshlrev_b32_e32 v10, 24, v13
	v_and_b32_e32 v13, 0xffff, v13
	v_and_b32_e32 v14, 7, v13
	v_ffbh_u32_e32 v16, v14
	v_min_u32_e32 v16, 32, v16
	v_subrev_u32_e32 v17, 28, v16
	v_bfe_u32 v15, v13, 3, 4
	v_lshlrev_b32_e32 v13, v17, v13
	v_sub_u32_e32 v16, 29, v16
	v_and_b32_e32 v13, 7, v13
	v_cmp_eq_u32_e32 vcc, 0, v15
	v_cndmask_b32_e32 v15, v15, v16, vcc
	v_cndmask_b32_e32 v13, v14, v13, vcc
	v_mov_b32_e32 v14, 0x3b800000
	v_lshlrev_b32_e32 v13, 20, v13
	v_and_b32_e32 v10, 0x80000000, v10
	v_lshl_add_u32 v14, v15, 23, v14
	v_or3_b32 v10, v10, v14, v13
	v_cvt_f16_f32_e32 v10, v10
.LBB55_2097:
	s_or_b64 exec, exec, s[20:21]
.LBB55_2098:
	s_mov_b64 s[16:17], -1
.LBB55_2099:
	s_mov_b64 s[20:21], 0
.LBB55_2100:
	s_and_b64 vcc, exec, s[20:21]
	s_cbranch_vccz .LBB55_2133
; %bb.2101:
	v_mov_b32_e32 v10, 22
	v_cmp_gt_i16_sdwa s[14:15], v5, v10 src0_sel:BYTE_0 src1_sel:DWORD
	s_and_b64 vcc, exec, s[14:15]
	s_cbranch_vccz .LBB55_2111
; %bb.2102:
	v_mov_b32_e32 v10, 24
	v_cmp_lt_i16_sdwa s[14:15], v5, v10 src0_sel:BYTE_0 src1_sel:DWORD
	s_and_b64 vcc, exec, s[14:15]
	s_cbranch_vccnz .LBB55_2114
; %bb.2103:
	v_cmp_gt_i16_sdwa s[14:15], v5, v10 src0_sel:BYTE_0 src1_sel:DWORD
	s_and_b64 vcc, exec, s[14:15]
	s_cbranch_vccz .LBB55_2115
; %bb.2104:
	global_load_ubyte v13, v[0:1], off
	s_movk_i32 s14, 0x7f
                                        ; implicit-def: $sgpr22
	s_waitcnt vmcnt(0)
	v_cmp_lt_i16_e32 vcc, s14, v13
	s_mov_b64 s[14:15], 0
	s_and_saveexec_b64 s[16:17], vcc
	s_xor_b64 s[16:17], exec, s[16:17]
	s_cbranch_execz .LBB55_2127
; %bb.2105:
	s_movk_i32 s14, 0x80
	v_cmp_eq_u16_e32 vcc, s14, v13
	s_mov_b64 s[14:15], -1
                                        ; implicit-def: $sgpr22
	s_and_saveexec_b64 s[20:21], vcc
; %bb.2106:
	s_movk_i32 s22, 0x7e00
	s_xor_b64 s[14:15], exec, -1
; %bb.2107:
	s_or_b64 exec, exec, s[20:21]
	s_and_b64 s[14:15], s[14:15], exec
	s_or_saveexec_b64 s[16:17], s[16:17]
	v_mov_b32_e32 v10, s22
	s_xor_b64 exec, exec, s[16:17]
	s_cbranch_execnz .LBB55_2128
.LBB55_2108:
	s_or_b64 exec, exec, s[16:17]
	s_and_saveexec_b64 s[16:17], s[14:15]
	s_cbranch_execz .LBB55_2110
.LBB55_2109:
	v_lshlrev_b32_e32 v10, 24, v13
	v_and_b32_e32 v13, 0xffff, v13
	v_and_b32_e32 v14, 3, v13
	v_ffbh_u32_e32 v16, v14
	v_min_u32_e32 v16, 32, v16
	v_subrev_u32_e32 v17, 29, v16
	v_bfe_u32 v15, v13, 2, 5
	v_lshlrev_b32_e32 v13, v17, v13
	v_sub_u32_e32 v16, 30, v16
	v_and_b32_e32 v13, 3, v13
	v_cmp_eq_u32_e32 vcc, 0, v15
	v_cndmask_b32_e32 v15, v15, v16, vcc
	v_cndmask_b32_e32 v13, v14, v13, vcc
	v_mov_b32_e32 v14, 0x37800000
	v_lshlrev_b32_e32 v13, 21, v13
	v_and_b32_e32 v10, 0x80000000, v10
	v_lshl_add_u32 v14, v15, 23, v14
	v_or3_b32 v10, v10, v14, v13
	v_cvt_f16_f32_e32 v10, v10
.LBB55_2110:
	s_or_b64 exec, exec, s[16:17]
	s_mov_b64 s[14:15], 0
	s_branch .LBB55_2116
.LBB55_2111:
	s_mov_b64 s[14:15], -1
                                        ; implicit-def: $vgpr10
	s_branch .LBB55_2122
.LBB55_2112:
	s_or_saveexec_b64 s[20:21], s[20:21]
	v_mov_b32_e32 v10, s25
	s_xor_b64 exec, exec, s[20:21]
	s_cbranch_execz .LBB55_2095
.LBB55_2113:
	v_cmp_ne_u16_e32 vcc, 0, v13
	s_andn2_b64 s[16:17], s[16:17], exec
	s_and_b64 s[22:23], vcc, exec
	s_or_b64 s[16:17], s[16:17], s[22:23]
	v_mov_b32_e32 v10, v13
	s_or_b64 exec, exec, s[20:21]
	s_and_saveexec_b64 s[20:21], s[16:17]
	s_cbranch_execnz .LBB55_2096
	s_branch .LBB55_2097
.LBB55_2114:
	s_mov_b64 s[14:15], -1
                                        ; implicit-def: $vgpr10
	s_branch .LBB55_2119
.LBB55_2115:
	s_mov_b64 s[14:15], -1
                                        ; implicit-def: $vgpr10
.LBB55_2116:
	s_and_b64 vcc, exec, s[14:15]
	s_cbranch_vccz .LBB55_2118
; %bb.2117:
	global_load_ubyte v10, v[0:1], off
	s_mov_b32 s14, 0x7f800000
	s_waitcnt vmcnt(0)
	v_lshlrev_b32_e32 v10, 24, v10
	v_and_b32_e32 v13, 0x7f000000, v10
	v_ffbh_u32_e32 v14, v13
	v_min_u32_e32 v14, 32, v14
	v_sub_u32_e64 v14, v14, 4 clamp
	v_lshlrev_b32_e32 v16, v14, v13
	v_lshlrev_b32_e32 v14, 23, v14
	v_lshrrev_b32_e32 v16, 4, v16
	v_add_u32_e32 v15, 0x1000000, v13
	v_sub_u32_e32 v14, v16, v14
	v_ashrrev_i32_e32 v15, 8, v15
	v_add_u32_e32 v14, 0x3c000000, v14
	v_and_or_b32 v14, v15, s14, v14
	v_cmp_ne_u32_e32 vcc, 0, v13
	v_cndmask_b32_e32 v13, 0, v14, vcc
	s_brev_b32 s14, 1
	v_and_or_b32 v10, v10, s14, v13
	v_cvt_f16_f32_e32 v10, v10
.LBB55_2118:
	s_mov_b64 s[14:15], 0
.LBB55_2119:
	s_andn2_b64 vcc, exec, s[14:15]
	s_cbranch_vccnz .LBB55_2121
; %bb.2120:
	global_load_ubyte v10, v[0:1], off
	s_movk_i32 s14, 0x7f00
	s_brev_b32 s15, 16
	s_waitcnt vmcnt(0)
	v_lshlrev_b16_e32 v13, 8, v10
	v_lshlrev_b32_e32 v10, 25, v10
	v_lshrrev_b32_e32 v14, 4, v10
	v_and_or_b32 v15, v13, s14, 0.5
	v_or_b32_e32 v14, 0x70000000, v14
	v_add_f32_e32 v15, -0.5, v15
	v_mul_f32_e32 v14, 0x7800000, v14
	v_cmp_gt_u32_e32 vcc, s15, v10
	v_bfe_i32 v13, v13, 0, 16
	v_cndmask_b32_e32 v10, v14, v15, vcc
	s_brev_b32 s14, 1
	v_and_or_b32 v10, v13, s14, v10
	v_cvt_f16_f32_e32 v10, v10
.LBB55_2121:
	s_mov_b64 s[14:15], 0
	s_mov_b64 s[16:17], -1
.LBB55_2122:
	s_andn2_b64 vcc, exec, s[14:15]
	s_mov_b64 s[14:15], 0
	s_cbranch_vccnz .LBB55_2133
; %bb.2123:
	v_mov_b32_e32 v10, 14
	v_cmp_gt_i16_sdwa s[14:15], v5, v10 src0_sel:BYTE_0 src1_sel:DWORD
	s_and_b64 vcc, exec, s[14:15]
	s_cbranch_vccz .LBB55_2126
; %bb.2124:
	v_mov_b32_e32 v10, 15
	v_cmp_eq_u16_sdwa s[0:1], v5, v10 src0_sel:BYTE_0 src1_sel:DWORD
	s_and_b64 vcc, exec, s[0:1]
	s_cbranch_vccz .LBB55_2129
; %bb.2125:
	global_load_ushort v10, v[0:1], off
	s_mov_b64 s[0:1], 0
	s_mov_b64 s[16:17], -1
	s_waitcnt vmcnt(0)
	v_lshlrev_b32_e32 v10, 16, v10
	v_cvt_f16_f32_e32 v10, v10
	s_branch .LBB55_2130
.LBB55_2126:
	s_mov_b64 s[20:21], -1
                                        ; implicit-def: $vgpr10
	s_branch .LBB55_2131
.LBB55_2127:
	s_or_saveexec_b64 s[16:17], s[16:17]
	v_mov_b32_e32 v10, s22
	s_xor_b64 exec, exec, s[16:17]
	s_cbranch_execz .LBB55_2108
.LBB55_2128:
	v_cmp_ne_u16_e32 vcc, 0, v13
	s_andn2_b64 s[14:15], s[14:15], exec
	s_and_b64 s[20:21], vcc, exec
	s_or_b64 s[14:15], s[14:15], s[20:21]
	v_mov_b32_e32 v10, v13
	s_or_b64 exec, exec, s[16:17]
	s_and_saveexec_b64 s[16:17], s[14:15]
	s_cbranch_execnz .LBB55_2109
	s_branch .LBB55_2110
.LBB55_2129:
	s_mov_b64 s[0:1], -1
                                        ; implicit-def: $vgpr10
.LBB55_2130:
	s_mov_b64 s[20:21], 0
.LBB55_2131:
	s_mov_b64 s[14:15], 0
	s_and_b64 vcc, exec, s[20:21]
	s_cbranch_vccz .LBB55_2133
; %bb.2132:
	v_mov_b32_e32 v10, 11
	v_cmp_ne_u16_sdwa s[0:1], v5, v10 src0_sel:BYTE_0 src1_sel:DWORD
	s_mov_b64 s[14:15], -1
                                        ; implicit-def: $vgpr10
.LBB55_2133:
	s_and_b64 vcc, exec, s[0:1]
	s_cbranch_vccnz .LBB55_2198
; %bb.2134:
	s_andn2_b64 vcc, exec, s[14:15]
	s_cbranch_vccnz .LBB55_2136
.LBB55_2135:
	global_load_ubyte v10, v[0:1], off
	v_mov_b32_e32 v13, 0x3c00
	s_mov_b64 s[16:17], -1
	s_waitcnt vmcnt(0)
	v_cmp_ne_u16_e32 vcc, 0, v10
	v_cndmask_b32_e32 v10, 0, v13, vcc
.LBB55_2136:
	s_mov_b64 s[0:1], 0
.LBB55_2137:
	s_and_b64 vcc, exec, s[0:1]
	s_cbranch_vccz .LBB55_2186
; %bb.2138:
	v_mov_b32_e32 v10, 5
	v_cmp_lt_i16_sdwa s[0:1], v5, v10 src0_sel:BYTE_0 src1_sel:DWORD
	s_and_b64 vcc, exec, s[0:1]
	s_cbranch_vccnz .LBB55_2143
; %bb.2139:
	v_mov_b32_e32 v10, 8
	v_cmp_lt_i16_sdwa s[0:1], v5, v10 src0_sel:BYTE_0 src1_sel:DWORD
	s_and_b64 vcc, exec, s[0:1]
	s_cbranch_vccnz .LBB55_2144
	;; [unrolled: 5-line block ×3, first 2 shown]
; %bb.2141:
	v_cmp_gt_i16_sdwa s[0:1], v5, v10 src0_sel:BYTE_0 src1_sel:DWORD
	s_and_b64 vcc, exec, s[0:1]
	s_cbranch_vccz .LBB55_2146
; %bb.2142:
	global_load_dwordx2 v[14:15], v[0:1], off
	s_mov_b64 s[0:1], 0
	s_waitcnt vmcnt(0)
	v_cvt_f32_f64_e32 v10, v[14:15]
	v_cvt_f16_f32_e32 v10, v10
	s_branch .LBB55_2147
.LBB55_2143:
	s_mov_b64 s[0:1], -1
                                        ; implicit-def: $vgpr10
	s_branch .LBB55_2165
.LBB55_2144:
	s_mov_b64 s[0:1], -1
                                        ; implicit-def: $vgpr10
	s_branch .LBB55_2153
.LBB55_2145:
	s_mov_b64 s[0:1], -1
                                        ; implicit-def: $vgpr10
	s_branch .LBB55_2150
.LBB55_2146:
	s_mov_b64 s[0:1], -1
                                        ; implicit-def: $vgpr10
.LBB55_2147:
	s_andn2_b64 vcc, exec, s[0:1]
	s_cbranch_vccnz .LBB55_2149
; %bb.2148:
	global_load_dword v10, v[0:1], off
	s_waitcnt vmcnt(0)
	v_cvt_f16_f32_e32 v10, v10
.LBB55_2149:
	s_mov_b64 s[0:1], 0
.LBB55_2150:
	s_andn2_b64 vcc, exec, s[0:1]
	s_cbranch_vccnz .LBB55_2152
; %bb.2151:
	global_load_dword v10, v[0:1], off
.LBB55_2152:
	s_mov_b64 s[0:1], 0
.LBB55_2153:
	s_andn2_b64 vcc, exec, s[0:1]
	s_cbranch_vccnz .LBB55_2164
; %bb.2154:
	s_waitcnt vmcnt(0)
	v_mov_b32_e32 v10, 6
	v_cmp_lt_i16_sdwa s[0:1], v5, v10 src0_sel:BYTE_0 src1_sel:DWORD
	s_and_b64 vcc, exec, s[0:1]
	s_cbranch_vccnz .LBB55_2157
; %bb.2155:
	v_cmp_gt_i16_sdwa s[0:1], v5, v10 src0_sel:BYTE_0 src1_sel:DWORD
	s_and_b64 vcc, exec, s[0:1]
	s_cbranch_vccz .LBB55_2158
; %bb.2156:
	global_load_dwordx2 v[14:15], v[0:1], off
	s_mov_b64 s[0:1], 0
	s_waitcnt vmcnt(0)
	v_cvt_f32_f64_e32 v10, v[14:15]
	v_cvt_f16_f32_e32 v10, v10
	s_branch .LBB55_2159
.LBB55_2157:
	s_mov_b64 s[0:1], -1
                                        ; implicit-def: $vgpr10
	s_branch .LBB55_2162
.LBB55_2158:
	s_mov_b64 s[0:1], -1
                                        ; implicit-def: $vgpr10
.LBB55_2159:
	s_andn2_b64 vcc, exec, s[0:1]
	s_cbranch_vccnz .LBB55_2161
; %bb.2160:
	global_load_dword v10, v[0:1], off
	s_waitcnt vmcnt(0)
	v_cvt_f16_f32_e32 v10, v10
.LBB55_2161:
	s_mov_b64 s[0:1], 0
.LBB55_2162:
	s_andn2_b64 vcc, exec, s[0:1]
	s_cbranch_vccnz .LBB55_2164
; %bb.2163:
	global_load_ushort v10, v[0:1], off
.LBB55_2164:
	s_mov_b64 s[0:1], 0
.LBB55_2165:
	s_andn2_b64 vcc, exec, s[0:1]
	s_cbranch_vccnz .LBB55_2185
; %bb.2166:
	s_waitcnt vmcnt(0)
	v_mov_b32_e32 v10, 2
	v_cmp_lt_i16_sdwa s[0:1], v5, v10 src0_sel:BYTE_0 src1_sel:DWORD
	s_and_b64 vcc, exec, s[0:1]
	s_cbranch_vccnz .LBB55_2170
; %bb.2167:
	v_mov_b32_e32 v10, 3
	v_cmp_lt_i16_sdwa s[0:1], v5, v10 src0_sel:BYTE_0 src1_sel:DWORD
	s_and_b64 vcc, exec, s[0:1]
	s_cbranch_vccnz .LBB55_2171
; %bb.2168:
	v_cmp_gt_i16_sdwa s[0:1], v5, v10 src0_sel:BYTE_0 src1_sel:DWORD
	s_and_b64 vcc, exec, s[0:1]
	s_cbranch_vccz .LBB55_2172
; %bb.2169:
	global_load_dwordx2 v[14:15], v[0:1], off
	s_mov_b64 s[0:1], 0
	s_waitcnt vmcnt(0)
	v_xor_b32_e32 v13, v14, v15
	v_ffbh_i32_e32 v10, v15
	v_ashrrev_i32_e32 v13, 31, v13
	v_add_u32_e32 v10, -1, v10
	v_add_u32_e32 v13, 32, v13
	v_min_u32_e32 v10, v10, v13
	v_lshlrev_b64 v[14:15], v10, v[14:15]
	v_min_u32_e32 v13, 1, v14
	v_or_b32_e32 v13, v15, v13
	v_cvt_f32_i32_e32 v13, v13
	v_sub_u32_e32 v10, 32, v10
	v_ldexp_f32 v10, v13, v10
	v_cvt_f16_f32_e32 v10, v10
	s_branch .LBB55_2173
.LBB55_2170:
	s_mov_b64 s[0:1], -1
                                        ; implicit-def: $vgpr10
	s_branch .LBB55_2179
.LBB55_2171:
	s_mov_b64 s[0:1], -1
                                        ; implicit-def: $vgpr10
	s_branch .LBB55_2176
.LBB55_2172:
	s_mov_b64 s[0:1], -1
                                        ; implicit-def: $vgpr10
.LBB55_2173:
	s_andn2_b64 vcc, exec, s[0:1]
	s_cbranch_vccnz .LBB55_2175
; %bb.2174:
	global_load_dword v10, v[0:1], off
	s_waitcnt vmcnt(0)
	v_cvt_f32_i32_e32 v10, v10
	v_cvt_f16_f32_e32 v10, v10
.LBB55_2175:
	s_mov_b64 s[0:1], 0
.LBB55_2176:
	s_andn2_b64 vcc, exec, s[0:1]
	s_cbranch_vccnz .LBB55_2178
; %bb.2177:
	global_load_ushort v10, v[0:1], off
	s_waitcnt vmcnt(0)
	v_cvt_f16_i16_e32 v10, v10
.LBB55_2178:
	s_mov_b64 s[0:1], 0
.LBB55_2179:
	s_andn2_b64 vcc, exec, s[0:1]
	s_cbranch_vccnz .LBB55_2185
; %bb.2180:
	v_mov_b32_e32 v10, 0
	v_cmp_gt_i16_sdwa s[0:1], v5, v10 src0_sel:BYTE_0 src1_sel:DWORD
	s_and_b64 vcc, exec, s[0:1]
	s_cbranch_vccz .LBB55_2182
; %bb.2181:
	global_load_sbyte v10, v[0:1], off
	s_mov_b64 s[0:1], 0
	s_waitcnt vmcnt(0)
	v_cvt_f16_i16_e32 v10, v10
	s_branch .LBB55_2183
.LBB55_2182:
	s_mov_b64 s[0:1], -1
                                        ; implicit-def: $vgpr10
.LBB55_2183:
	s_andn2_b64 vcc, exec, s[0:1]
	s_cbranch_vccnz .LBB55_2185
; %bb.2184:
	global_load_ubyte v0, v[0:1], off
	s_waitcnt vmcnt(0)
	v_cvt_f16_u16_e32 v10, v0
.LBB55_2185:
	s_mov_b64 s[16:17], -1
.LBB55_2186:
	s_andn2_b64 vcc, exec, s[16:17]
	s_cbranch_vccnz .LBB55_3032
; %bb.2187:
	v_add_u32_e32 v13, s24, v11
	v_ashrrev_i32_e32 v1, 31, v13
	v_mov_b32_e32 v11, s3
	v_add_co_u32_e32 v0, vcc, s2, v13
	v_addc_co_u32_e32 v1, vcc, v11, v1, vcc
	v_mov_b32_e32 v11, 11
	v_cmp_lt_i16_sdwa s[0:1], v4, v11 src0_sel:BYTE_0 src1_sel:DWORD
	s_and_b64 vcc, exec, s[0:1]
	s_cbranch_vccnz .LBB55_2194
; %bb.2188:
	v_mov_b32_e32 v11, 25
	v_cmp_gt_i16_sdwa s[0:1], v4, v11 src0_sel:BYTE_0 src1_sel:DWORD
	s_mov_b64 s[14:15], 0
	s_and_b64 vcc, exec, s[0:1]
	s_cbranch_vccz .LBB55_2195
; %bb.2189:
	v_mov_b32_e32 v11, 28
	v_cmp_gt_i16_sdwa s[0:1], v4, v11 src0_sel:BYTE_0 src1_sel:DWORD
	s_and_b64 vcc, exec, s[0:1]
	s_cbranch_vccz .LBB55_2196
; %bb.2190:
	v_mov_b32_e32 v11, 43
	v_cmp_gt_i16_sdwa s[0:1], v4, v11 src0_sel:BYTE_0 src1_sel:DWORD
	;; [unrolled: 5-line block ×3, first 2 shown]
	s_and_b64 vcc, exec, s[0:1]
	s_cbranch_vccz .LBB55_2199
; %bb.2192:
	v_mov_b32_e32 v11, 46
	v_cmp_eq_u16_sdwa s[0:1], v4, v11 src0_sel:BYTE_0 src1_sel:DWORD
	s_mov_b64 s[20:21], 0
	s_and_b64 vcc, exec, s[0:1]
	s_cbranch_vccz .LBB55_2202
; %bb.2193:
	global_load_dword v11, v[0:1], off
	s_mov_b64 s[0:1], 0
	s_mov_b64 s[16:17], -1
	s_waitcnt vmcnt(0)
	v_lshlrev_b32_e32 v11, 16, v11
	v_cvt_f16_f32_e32 v11, v11
	s_branch .LBB55_2203
.LBB55_2194:
	s_mov_b64 s[0:1], -1
	s_mov_b64 s[16:17], 0
                                        ; implicit-def: $vgpr11
	s_branch .LBB55_2269
.LBB55_2195:
	s_mov_b64 s[20:21], -1
	s_mov_b64 s[16:17], 0
	s_mov_b64 s[0:1], 0
                                        ; implicit-def: $vgpr11
	s_branch .LBB55_2232
.LBB55_2196:
	s_mov_b64 s[20:21], -1
	s_mov_b64 s[16:17], 0
	s_mov_b64 s[0:1], 0
                                        ; implicit-def: $vgpr11
	s_branch .LBB55_2213
.LBB55_2197:
	s_mov_b64 s[20:21], -1
	s_mov_b64 s[16:17], 0
	s_mov_b64 s[0:1], 0
                                        ; implicit-def: $vgpr11
	s_branch .LBB55_2208
.LBB55_2198:
	s_trap 2
	s_or_b64 s[18:19], s[18:19], exec
                                        ; implicit-def: $vgpr10
	s_cbranch_execz .LBB55_2135
	s_branch .LBB55_2136
.LBB55_2199:
	s_mov_b64 s[20:21], -1
	s_mov_b64 s[16:17], 0
	s_mov_b64 s[0:1], 0
                                        ; implicit-def: $vgpr11
	s_branch .LBB55_2203
.LBB55_2200:
	s_or_saveexec_b64 s[44:45], s[44:45]
                                        ; implicit-def: $sgpr15
	s_xor_b64 exec, exec, s[44:45]
	s_cbranch_execz .LBB55_1085
.LBB55_2201:
	s_mov_b32 s15, 0x42800000
	v_add_f32_e64 v8, |v7|, s15
	v_and_b32_e32 v8, 0xff, v8
	v_cmp_ne_u32_e32 vcc, 0, v8
	s_andn2_b64 s[42:43], s[42:43], exec
	s_and_b64 s[46:47], vcc, exec
	s_mov_b32 s15, 0
	s_or_b64 s[42:43], s[42:43], s[46:47]
	s_or_b64 exec, exec, s[44:45]
	v_mov_b32_e32 v9, s15
	s_and_saveexec_b64 s[44:45], s[42:43]
	s_cbranch_execnz .LBB55_1086
	s_branch .LBB55_1087
.LBB55_2202:
	s_mov_b64 s[0:1], -1
                                        ; implicit-def: $vgpr11
	s_mov_b64 s[16:17], 0
.LBB55_2203:
	s_and_b64 vcc, exec, s[20:21]
	s_cbranch_vccz .LBB55_2207
; %bb.2204:
	v_mov_b32_e32 v11, 44
	v_cmp_eq_u16_sdwa s[0:1], v4, v11 src0_sel:BYTE_0 src1_sel:DWORD
	s_and_b64 vcc, exec, s[0:1]
	s_cbranch_vccz .LBB55_2206
; %bb.2205:
	global_load_ubyte v11, v[0:1], off
	s_movk_i32 s16, 0xff
	v_mov_b32_e32 v15, 0x7e00
	s_mov_b64 s[0:1], 0
	s_waitcnt vmcnt(0)
	v_lshlrev_b32_e32 v14, 23, v11
	v_cvt_f16_f32_e32 v14, v14
	v_cmp_ne_u32_e32 vcc, s16, v11
	s_mov_b64 s[16:17], -1
	v_cndmask_b32_e32 v14, v15, v14, vcc
	v_cmp_ne_u32_e32 vcc, 0, v11
	v_cndmask_b32_e32 v11, 0, v14, vcc
	s_branch .LBB55_2207
.LBB55_2206:
	s_mov_b64 s[0:1], -1
                                        ; implicit-def: $vgpr11
.LBB55_2207:
	s_mov_b64 s[20:21], 0
.LBB55_2208:
	s_and_b64 vcc, exec, s[20:21]
	s_cbranch_vccz .LBB55_2212
; %bb.2209:
	v_mov_b32_e32 v11, 29
	v_cmp_eq_u16_sdwa s[0:1], v4, v11 src0_sel:BYTE_0 src1_sel:DWORD
	s_and_b64 vcc, exec, s[0:1]
	s_cbranch_vccz .LBB55_2211
; %bb.2210:
	global_load_dwordx2 v[14:15], v[0:1], off
	s_mov_b64 s[0:1], 0
	s_mov_b64 s[16:17], -1
	s_mov_b64 s[20:21], 0
	s_waitcnt vmcnt(0)
	v_ffbh_u32_e32 v11, v15
	v_min_u32_e32 v11, 32, v11
	v_lshlrev_b64 v[14:15], v11, v[14:15]
	v_min_u32_e32 v14, 1, v14
	v_or_b32_e32 v14, v15, v14
	v_cvt_f32_u32_e32 v14, v14
	v_sub_u32_e32 v11, 32, v11
	v_ldexp_f32 v11, v14, v11
	v_cvt_f16_f32_e32 v11, v11
	s_branch .LBB55_2213
.LBB55_2211:
	s_mov_b64 s[0:1], -1
                                        ; implicit-def: $vgpr11
.LBB55_2212:
	s_mov_b64 s[20:21], 0
.LBB55_2213:
	s_and_b64 vcc, exec, s[20:21]
	s_cbranch_vccz .LBB55_2231
; %bb.2214:
	v_mov_b32_e32 v11, 27
	v_cmp_lt_i16_sdwa s[16:17], v4, v11 src0_sel:BYTE_0 src1_sel:DWORD
	s_and_b64 vcc, exec, s[16:17]
	s_cbranch_vccnz .LBB55_2217
; %bb.2215:
	v_cmp_gt_i16_sdwa s[16:17], v4, v11 src0_sel:BYTE_0 src1_sel:DWORD
	s_and_b64 vcc, exec, s[16:17]
	s_cbranch_vccz .LBB55_2218
; %bb.2216:
	global_load_dword v11, v[0:1], off
	s_mov_b64 s[16:17], 0
	s_waitcnt vmcnt(0)
	v_cvt_f32_u32_e32 v11, v11
	v_cvt_f16_f32_e32 v11, v11
	s_branch .LBB55_2219
.LBB55_2217:
	s_mov_b64 s[16:17], -1
                                        ; implicit-def: $vgpr11
	s_branch .LBB55_2222
.LBB55_2218:
	s_mov_b64 s[16:17], -1
                                        ; implicit-def: $vgpr11
.LBB55_2219:
	s_andn2_b64 vcc, exec, s[16:17]
	s_cbranch_vccnz .LBB55_2221
; %bb.2220:
	global_load_ushort v11, v[0:1], off
	s_waitcnt vmcnt(0)
	v_cvt_f16_u16_e32 v11, v11
.LBB55_2221:
	s_mov_b64 s[16:17], 0
.LBB55_2222:
	s_andn2_b64 vcc, exec, s[16:17]
	s_cbranch_vccnz .LBB55_2230
; %bb.2223:
	global_load_ubyte v14, v[0:1], off
	s_movk_i32 s16, 0x7f
                                        ; implicit-def: $sgpr25
	s_waitcnt vmcnt(0)
	v_cmp_lt_i16_e32 vcc, s16, v14
	s_mov_b64 s[16:17], 0
	s_and_saveexec_b64 s[20:21], vcc
	s_xor_b64 s[20:21], exec, s[20:21]
	s_cbranch_execz .LBB55_2244
; %bb.2224:
	s_movk_i32 s16, 0x80
	v_cmp_eq_u16_e32 vcc, s16, v14
	s_mov_b64 s[16:17], -1
                                        ; implicit-def: $sgpr25
	s_and_saveexec_b64 s[22:23], vcc
; %bb.2225:
	s_movk_i32 s25, 0x7e00
	s_xor_b64 s[16:17], exec, -1
; %bb.2226:
	s_or_b64 exec, exec, s[22:23]
	s_and_b64 s[16:17], s[16:17], exec
	s_or_saveexec_b64 s[20:21], s[20:21]
	v_mov_b32_e32 v11, s25
	s_xor_b64 exec, exec, s[20:21]
	s_cbranch_execnz .LBB55_2245
.LBB55_2227:
	s_or_b64 exec, exec, s[20:21]
	s_and_saveexec_b64 s[20:21], s[16:17]
	s_cbranch_execz .LBB55_2229
.LBB55_2228:
	v_lshlrev_b32_e32 v11, 24, v14
	v_and_b32_e32 v14, 0xffff, v14
	v_and_b32_e32 v15, 7, v14
	v_ffbh_u32_e32 v17, v15
	v_min_u32_e32 v17, 32, v17
	v_subrev_u32_e32 v18, 28, v17
	v_bfe_u32 v16, v14, 3, 4
	v_lshlrev_b32_e32 v14, v18, v14
	v_sub_u32_e32 v17, 29, v17
	v_and_b32_e32 v14, 7, v14
	v_cmp_eq_u32_e32 vcc, 0, v16
	v_cndmask_b32_e32 v16, v16, v17, vcc
	v_cndmask_b32_e32 v14, v15, v14, vcc
	v_mov_b32_e32 v15, 0x3b800000
	v_lshlrev_b32_e32 v14, 20, v14
	v_and_b32_e32 v11, 0x80000000, v11
	v_lshl_add_u32 v15, v16, 23, v15
	v_or3_b32 v11, v11, v15, v14
	v_cvt_f16_f32_e32 v11, v11
.LBB55_2229:
	s_or_b64 exec, exec, s[20:21]
.LBB55_2230:
	s_mov_b64 s[16:17], -1
.LBB55_2231:
	s_mov_b64 s[20:21], 0
.LBB55_2232:
	s_and_b64 vcc, exec, s[20:21]
	s_cbranch_vccz .LBB55_2265
; %bb.2233:
	v_mov_b32_e32 v11, 22
	v_cmp_gt_i16_sdwa s[14:15], v4, v11 src0_sel:BYTE_0 src1_sel:DWORD
	s_and_b64 vcc, exec, s[14:15]
	s_cbranch_vccz .LBB55_2243
; %bb.2234:
	v_mov_b32_e32 v11, 24
	v_cmp_lt_i16_sdwa s[14:15], v4, v11 src0_sel:BYTE_0 src1_sel:DWORD
	s_and_b64 vcc, exec, s[14:15]
	s_cbranch_vccnz .LBB55_2246
; %bb.2235:
	v_cmp_gt_i16_sdwa s[14:15], v4, v11 src0_sel:BYTE_0 src1_sel:DWORD
	s_and_b64 vcc, exec, s[14:15]
	s_cbranch_vccz .LBB55_2247
; %bb.2236:
	global_load_ubyte v14, v[0:1], off
	s_movk_i32 s14, 0x7f
                                        ; implicit-def: $sgpr22
	s_waitcnt vmcnt(0)
	v_cmp_lt_i16_e32 vcc, s14, v14
	s_mov_b64 s[14:15], 0
	s_and_saveexec_b64 s[16:17], vcc
	s_xor_b64 s[16:17], exec, s[16:17]
	s_cbranch_execz .LBB55_2259
; %bb.2237:
	s_movk_i32 s14, 0x80
	v_cmp_eq_u16_e32 vcc, s14, v14
	s_mov_b64 s[14:15], -1
                                        ; implicit-def: $sgpr22
	s_and_saveexec_b64 s[20:21], vcc
; %bb.2238:
	s_movk_i32 s22, 0x7e00
	s_xor_b64 s[14:15], exec, -1
; %bb.2239:
	s_or_b64 exec, exec, s[20:21]
	s_and_b64 s[14:15], s[14:15], exec
	s_or_saveexec_b64 s[16:17], s[16:17]
	v_mov_b32_e32 v11, s22
	s_xor_b64 exec, exec, s[16:17]
	s_cbranch_execnz .LBB55_2260
.LBB55_2240:
	s_or_b64 exec, exec, s[16:17]
	s_and_saveexec_b64 s[16:17], s[14:15]
	s_cbranch_execz .LBB55_2242
.LBB55_2241:
	v_lshlrev_b32_e32 v11, 24, v14
	v_and_b32_e32 v14, 0xffff, v14
	v_and_b32_e32 v15, 3, v14
	v_ffbh_u32_e32 v17, v15
	v_min_u32_e32 v17, 32, v17
	v_subrev_u32_e32 v18, 29, v17
	v_bfe_u32 v16, v14, 2, 5
	v_lshlrev_b32_e32 v14, v18, v14
	v_sub_u32_e32 v17, 30, v17
	v_and_b32_e32 v14, 3, v14
	v_cmp_eq_u32_e32 vcc, 0, v16
	v_cndmask_b32_e32 v16, v16, v17, vcc
	v_cndmask_b32_e32 v14, v15, v14, vcc
	v_mov_b32_e32 v15, 0x37800000
	v_lshlrev_b32_e32 v14, 21, v14
	v_and_b32_e32 v11, 0x80000000, v11
	v_lshl_add_u32 v15, v16, 23, v15
	v_or3_b32 v11, v11, v15, v14
	v_cvt_f16_f32_e32 v11, v11
.LBB55_2242:
	s_or_b64 exec, exec, s[16:17]
	s_mov_b64 s[14:15], 0
	s_branch .LBB55_2248
.LBB55_2243:
	s_mov_b64 s[14:15], -1
                                        ; implicit-def: $vgpr11
	s_branch .LBB55_2254
.LBB55_2244:
	s_or_saveexec_b64 s[20:21], s[20:21]
	v_mov_b32_e32 v11, s25
	s_xor_b64 exec, exec, s[20:21]
	s_cbranch_execz .LBB55_2227
.LBB55_2245:
	v_cmp_ne_u16_e32 vcc, 0, v14
	s_andn2_b64 s[16:17], s[16:17], exec
	s_and_b64 s[22:23], vcc, exec
	s_or_b64 s[16:17], s[16:17], s[22:23]
	v_mov_b32_e32 v11, v14
	s_or_b64 exec, exec, s[20:21]
	s_and_saveexec_b64 s[20:21], s[16:17]
	s_cbranch_execnz .LBB55_2228
	s_branch .LBB55_2229
.LBB55_2246:
	s_mov_b64 s[14:15], -1
                                        ; implicit-def: $vgpr11
	s_branch .LBB55_2251
.LBB55_2247:
	s_mov_b64 s[14:15], -1
                                        ; implicit-def: $vgpr11
.LBB55_2248:
	s_and_b64 vcc, exec, s[14:15]
	s_cbranch_vccz .LBB55_2250
; %bb.2249:
	global_load_ubyte v11, v[0:1], off
	s_mov_b32 s14, 0x7f800000
	s_waitcnt vmcnt(0)
	v_lshlrev_b32_e32 v11, 24, v11
	v_and_b32_e32 v14, 0x7f000000, v11
	v_ffbh_u32_e32 v15, v14
	v_min_u32_e32 v15, 32, v15
	v_sub_u32_e64 v15, v15, 4 clamp
	v_lshlrev_b32_e32 v17, v15, v14
	v_lshlrev_b32_e32 v15, 23, v15
	v_lshrrev_b32_e32 v17, 4, v17
	v_add_u32_e32 v16, 0x1000000, v14
	v_sub_u32_e32 v15, v17, v15
	v_ashrrev_i32_e32 v16, 8, v16
	v_add_u32_e32 v15, 0x3c000000, v15
	v_and_or_b32 v15, v16, s14, v15
	v_cmp_ne_u32_e32 vcc, 0, v14
	v_cndmask_b32_e32 v14, 0, v15, vcc
	s_brev_b32 s14, 1
	v_and_or_b32 v11, v11, s14, v14
	v_cvt_f16_f32_e32 v11, v11
.LBB55_2250:
	s_mov_b64 s[14:15], 0
.LBB55_2251:
	s_andn2_b64 vcc, exec, s[14:15]
	s_cbranch_vccnz .LBB55_2253
; %bb.2252:
	global_load_ubyte v11, v[0:1], off
	s_movk_i32 s14, 0x7f00
	s_brev_b32 s15, 16
	s_waitcnt vmcnt(0)
	v_lshlrev_b16_e32 v14, 8, v11
	v_lshlrev_b32_e32 v11, 25, v11
	v_lshrrev_b32_e32 v15, 4, v11
	v_and_or_b32 v16, v14, s14, 0.5
	v_or_b32_e32 v15, 0x70000000, v15
	v_add_f32_e32 v16, -0.5, v16
	v_mul_f32_e32 v15, 0x7800000, v15
	v_cmp_gt_u32_e32 vcc, s15, v11
	v_bfe_i32 v14, v14, 0, 16
	v_cndmask_b32_e32 v11, v15, v16, vcc
	s_brev_b32 s14, 1
	v_and_or_b32 v11, v14, s14, v11
	v_cvt_f16_f32_e32 v11, v11
.LBB55_2253:
	s_mov_b64 s[14:15], 0
	s_mov_b64 s[16:17], -1
.LBB55_2254:
	s_andn2_b64 vcc, exec, s[14:15]
	s_mov_b64 s[14:15], 0
	s_cbranch_vccnz .LBB55_2265
; %bb.2255:
	v_mov_b32_e32 v11, 14
	v_cmp_gt_i16_sdwa s[14:15], v4, v11 src0_sel:BYTE_0 src1_sel:DWORD
	s_and_b64 vcc, exec, s[14:15]
	s_cbranch_vccz .LBB55_2258
; %bb.2256:
	v_mov_b32_e32 v11, 15
	v_cmp_eq_u16_sdwa s[0:1], v4, v11 src0_sel:BYTE_0 src1_sel:DWORD
	s_and_b64 vcc, exec, s[0:1]
	s_cbranch_vccz .LBB55_2261
; %bb.2257:
	global_load_ushort v11, v[0:1], off
	s_mov_b64 s[0:1], 0
	s_mov_b64 s[16:17], -1
	s_waitcnt vmcnt(0)
	v_lshlrev_b32_e32 v11, 16, v11
	v_cvt_f16_f32_e32 v11, v11
	s_branch .LBB55_2262
.LBB55_2258:
	s_mov_b64 s[20:21], -1
                                        ; implicit-def: $vgpr11
	s_branch .LBB55_2263
.LBB55_2259:
	s_or_saveexec_b64 s[16:17], s[16:17]
	v_mov_b32_e32 v11, s22
	s_xor_b64 exec, exec, s[16:17]
	s_cbranch_execz .LBB55_2240
.LBB55_2260:
	v_cmp_ne_u16_e32 vcc, 0, v14
	s_andn2_b64 s[14:15], s[14:15], exec
	s_and_b64 s[20:21], vcc, exec
	s_or_b64 s[14:15], s[14:15], s[20:21]
	v_mov_b32_e32 v11, v14
	s_or_b64 exec, exec, s[16:17]
	s_and_saveexec_b64 s[16:17], s[14:15]
	s_cbranch_execnz .LBB55_2241
	s_branch .LBB55_2242
.LBB55_2261:
	s_mov_b64 s[0:1], -1
                                        ; implicit-def: $vgpr11
.LBB55_2262:
	s_mov_b64 s[20:21], 0
.LBB55_2263:
	s_mov_b64 s[14:15], 0
	s_and_b64 vcc, exec, s[20:21]
	s_cbranch_vccz .LBB55_2265
; %bb.2264:
	v_mov_b32_e32 v11, 11
	v_cmp_ne_u16_sdwa s[0:1], v4, v11 src0_sel:BYTE_0 src1_sel:DWORD
	s_mov_b64 s[14:15], -1
                                        ; implicit-def: $vgpr11
.LBB55_2265:
	s_and_b64 vcc, exec, s[0:1]
	s_cbranch_vccnz .LBB55_2330
; %bb.2266:
	s_andn2_b64 vcc, exec, s[14:15]
	s_cbranch_vccnz .LBB55_2268
.LBB55_2267:
	global_load_ubyte v11, v[0:1], off
	v_mov_b32_e32 v14, 0x3c00
	s_mov_b64 s[16:17], -1
	s_waitcnt vmcnt(0)
	v_cmp_ne_u16_e32 vcc, 0, v11
	v_cndmask_b32_e32 v11, 0, v14, vcc
.LBB55_2268:
	s_mov_b64 s[0:1], 0
.LBB55_2269:
	s_and_b64 vcc, exec, s[0:1]
	s_cbranch_vccz .LBB55_2318
; %bb.2270:
	v_mov_b32_e32 v11, 5
	v_cmp_lt_i16_sdwa s[0:1], v4, v11 src0_sel:BYTE_0 src1_sel:DWORD
	s_and_b64 vcc, exec, s[0:1]
	s_cbranch_vccnz .LBB55_2275
; %bb.2271:
	v_mov_b32_e32 v11, 8
	v_cmp_lt_i16_sdwa s[0:1], v4, v11 src0_sel:BYTE_0 src1_sel:DWORD
	s_and_b64 vcc, exec, s[0:1]
	s_cbranch_vccnz .LBB55_2276
	;; [unrolled: 5-line block ×3, first 2 shown]
; %bb.2273:
	v_cmp_gt_i16_sdwa s[0:1], v4, v11 src0_sel:BYTE_0 src1_sel:DWORD
	s_and_b64 vcc, exec, s[0:1]
	s_cbranch_vccz .LBB55_2278
; %bb.2274:
	global_load_dwordx2 v[14:15], v[0:1], off
	s_mov_b64 s[0:1], 0
	s_waitcnt vmcnt(0)
	v_cvt_f32_f64_e32 v11, v[14:15]
	v_cvt_f16_f32_e32 v11, v11
	s_branch .LBB55_2279
.LBB55_2275:
	s_mov_b64 s[0:1], -1
                                        ; implicit-def: $vgpr11
	s_branch .LBB55_2297
.LBB55_2276:
	s_mov_b64 s[0:1], -1
                                        ; implicit-def: $vgpr11
	s_branch .LBB55_2285
.LBB55_2277:
	s_mov_b64 s[0:1], -1
                                        ; implicit-def: $vgpr11
	s_branch .LBB55_2282
.LBB55_2278:
	s_mov_b64 s[0:1], -1
                                        ; implicit-def: $vgpr11
.LBB55_2279:
	s_andn2_b64 vcc, exec, s[0:1]
	s_cbranch_vccnz .LBB55_2281
; %bb.2280:
	global_load_dword v11, v[0:1], off
	s_waitcnt vmcnt(0)
	v_cvt_f16_f32_e32 v11, v11
.LBB55_2281:
	s_mov_b64 s[0:1], 0
.LBB55_2282:
	s_andn2_b64 vcc, exec, s[0:1]
	s_cbranch_vccnz .LBB55_2284
; %bb.2283:
	global_load_dword v11, v[0:1], off
.LBB55_2284:
	s_mov_b64 s[0:1], 0
.LBB55_2285:
	s_andn2_b64 vcc, exec, s[0:1]
	s_cbranch_vccnz .LBB55_2296
; %bb.2286:
	s_waitcnt vmcnt(0)
	v_mov_b32_e32 v11, 6
	v_cmp_lt_i16_sdwa s[0:1], v4, v11 src0_sel:BYTE_0 src1_sel:DWORD
	s_and_b64 vcc, exec, s[0:1]
	s_cbranch_vccnz .LBB55_2289
; %bb.2287:
	v_cmp_gt_i16_sdwa s[0:1], v4, v11 src0_sel:BYTE_0 src1_sel:DWORD
	s_and_b64 vcc, exec, s[0:1]
	s_cbranch_vccz .LBB55_2290
; %bb.2288:
	global_load_dwordx2 v[14:15], v[0:1], off
	s_mov_b64 s[0:1], 0
	s_waitcnt vmcnt(0)
	v_cvt_f32_f64_e32 v11, v[14:15]
	v_cvt_f16_f32_e32 v11, v11
	s_branch .LBB55_2291
.LBB55_2289:
	s_mov_b64 s[0:1], -1
                                        ; implicit-def: $vgpr11
	s_branch .LBB55_2294
.LBB55_2290:
	s_mov_b64 s[0:1], -1
                                        ; implicit-def: $vgpr11
.LBB55_2291:
	s_andn2_b64 vcc, exec, s[0:1]
	s_cbranch_vccnz .LBB55_2293
; %bb.2292:
	global_load_dword v11, v[0:1], off
	s_waitcnt vmcnt(0)
	v_cvt_f16_f32_e32 v11, v11
.LBB55_2293:
	s_mov_b64 s[0:1], 0
.LBB55_2294:
	s_andn2_b64 vcc, exec, s[0:1]
	s_cbranch_vccnz .LBB55_2296
; %bb.2295:
	global_load_ushort v11, v[0:1], off
.LBB55_2296:
	s_mov_b64 s[0:1], 0
.LBB55_2297:
	s_andn2_b64 vcc, exec, s[0:1]
	s_cbranch_vccnz .LBB55_2317
; %bb.2298:
	s_waitcnt vmcnt(0)
	v_mov_b32_e32 v11, 2
	v_cmp_lt_i16_sdwa s[0:1], v4, v11 src0_sel:BYTE_0 src1_sel:DWORD
	s_and_b64 vcc, exec, s[0:1]
	s_cbranch_vccnz .LBB55_2302
; %bb.2299:
	v_mov_b32_e32 v11, 3
	v_cmp_lt_i16_sdwa s[0:1], v4, v11 src0_sel:BYTE_0 src1_sel:DWORD
	s_and_b64 vcc, exec, s[0:1]
	s_cbranch_vccnz .LBB55_2303
; %bb.2300:
	v_cmp_gt_i16_sdwa s[0:1], v4, v11 src0_sel:BYTE_0 src1_sel:DWORD
	s_and_b64 vcc, exec, s[0:1]
	s_cbranch_vccz .LBB55_2304
; %bb.2301:
	global_load_dwordx2 v[14:15], v[0:1], off
	s_mov_b64 s[0:1], 0
	s_waitcnt vmcnt(0)
	v_xor_b32_e32 v16, v14, v15
	v_ffbh_i32_e32 v11, v15
	v_ashrrev_i32_e32 v16, 31, v16
	v_add_u32_e32 v11, -1, v11
	v_add_u32_e32 v16, 32, v16
	v_min_u32_e32 v11, v11, v16
	v_lshlrev_b64 v[14:15], v11, v[14:15]
	v_min_u32_e32 v14, 1, v14
	v_or_b32_e32 v14, v15, v14
	v_cvt_f32_i32_e32 v14, v14
	v_sub_u32_e32 v11, 32, v11
	v_ldexp_f32 v11, v14, v11
	v_cvt_f16_f32_e32 v11, v11
	s_branch .LBB55_2305
.LBB55_2302:
	s_mov_b64 s[0:1], -1
                                        ; implicit-def: $vgpr11
	s_branch .LBB55_2311
.LBB55_2303:
	s_mov_b64 s[0:1], -1
                                        ; implicit-def: $vgpr11
	s_branch .LBB55_2308
.LBB55_2304:
	s_mov_b64 s[0:1], -1
                                        ; implicit-def: $vgpr11
.LBB55_2305:
	s_andn2_b64 vcc, exec, s[0:1]
	s_cbranch_vccnz .LBB55_2307
; %bb.2306:
	global_load_dword v11, v[0:1], off
	s_waitcnt vmcnt(0)
	v_cvt_f32_i32_e32 v11, v11
	v_cvt_f16_f32_e32 v11, v11
.LBB55_2307:
	s_mov_b64 s[0:1], 0
.LBB55_2308:
	s_andn2_b64 vcc, exec, s[0:1]
	s_cbranch_vccnz .LBB55_2310
; %bb.2309:
	global_load_ushort v11, v[0:1], off
	s_waitcnt vmcnt(0)
	v_cvt_f16_i16_e32 v11, v11
.LBB55_2310:
	s_mov_b64 s[0:1], 0
.LBB55_2311:
	s_andn2_b64 vcc, exec, s[0:1]
	s_cbranch_vccnz .LBB55_2317
; %bb.2312:
	v_mov_b32_e32 v11, 0
	v_cmp_gt_i16_sdwa s[0:1], v4, v11 src0_sel:BYTE_0 src1_sel:DWORD
	s_and_b64 vcc, exec, s[0:1]
	s_cbranch_vccz .LBB55_2314
; %bb.2313:
	global_load_sbyte v11, v[0:1], off
	s_mov_b64 s[0:1], 0
	s_waitcnt vmcnt(0)
	v_cvt_f16_i16_e32 v11, v11
	s_branch .LBB55_2315
.LBB55_2314:
	s_mov_b64 s[0:1], -1
                                        ; implicit-def: $vgpr11
.LBB55_2315:
	s_andn2_b64 vcc, exec, s[0:1]
	s_cbranch_vccnz .LBB55_2317
; %bb.2316:
	global_load_ubyte v0, v[0:1], off
	s_waitcnt vmcnt(0)
	v_cvt_f16_u16_e32 v11, v0
.LBB55_2317:
	s_mov_b64 s[16:17], -1
.LBB55_2318:
	s_andn2_b64 vcc, exec, s[16:17]
	s_cbranch_vccnz .LBB55_3032
; %bb.2319:
	v_add_u32_e32 v0, s13, v12
	v_ashrrev_i32_e32 v1, 31, v0
	v_mov_b32_e32 v12, s11
	v_add_co_u32_e32 v0, vcc, s10, v0
	v_addc_co_u32_e32 v1, vcc, v12, v1, vcc
	v_mov_b32_e32 v12, 11
	v_cmp_lt_i16_sdwa s[0:1], v5, v12 src0_sel:BYTE_0 src1_sel:DWORD
	s_and_b64 vcc, exec, s[0:1]
	s_cbranch_vccnz .LBB55_2326
; %bb.2320:
	v_mov_b32_e32 v12, 25
	v_cmp_gt_i16_sdwa s[0:1], v5, v12 src0_sel:BYTE_0 src1_sel:DWORD
	s_mov_b64 s[10:11], 0
	s_and_b64 vcc, exec, s[0:1]
	s_cbranch_vccz .LBB55_2327
; %bb.2321:
	v_mov_b32_e32 v12, 28
	v_cmp_gt_i16_sdwa s[0:1], v5, v12 src0_sel:BYTE_0 src1_sel:DWORD
	s_and_b64 vcc, exec, s[0:1]
	s_cbranch_vccz .LBB55_2328
; %bb.2322:
	v_mov_b32_e32 v12, 43
	v_cmp_gt_i16_sdwa s[0:1], v5, v12 src0_sel:BYTE_0 src1_sel:DWORD
	;; [unrolled: 5-line block ×3, first 2 shown]
	s_and_b64 vcc, exec, s[0:1]
	s_cbranch_vccz .LBB55_2331
; %bb.2324:
	v_mov_b32_e32 v12, 46
	v_cmp_eq_u16_sdwa s[0:1], v5, v12 src0_sel:BYTE_0 src1_sel:DWORD
	s_mov_b64 s[16:17], 0
	s_and_b64 vcc, exec, s[0:1]
	s_cbranch_vccz .LBB55_2332
; %bb.2325:
	global_load_dword v12, v[0:1], off
	s_mov_b64 s[0:1], 0
	s_mov_b64 s[14:15], -1
	s_waitcnt vmcnt(0)
	v_lshlrev_b32_e32 v12, 16, v12
	v_cvt_f16_f32_e32 v12, v12
	s_branch .LBB55_2333
.LBB55_2326:
	s_mov_b64 s[0:1], -1
	s_mov_b64 s[14:15], 0
                                        ; implicit-def: $vgpr12
	s_branch .LBB55_2399
.LBB55_2327:
	s_mov_b64 s[16:17], -1
	s_mov_b64 s[14:15], 0
	s_mov_b64 s[0:1], 0
                                        ; implicit-def: $vgpr12
	s_branch .LBB55_2362
.LBB55_2328:
	s_mov_b64 s[16:17], -1
	s_mov_b64 s[14:15], 0
	s_mov_b64 s[0:1], 0
                                        ; implicit-def: $vgpr12
	s_branch .LBB55_2343
.LBB55_2329:
	s_mov_b64 s[16:17], -1
	s_mov_b64 s[14:15], 0
	s_mov_b64 s[0:1], 0
                                        ; implicit-def: $vgpr12
	s_branch .LBB55_2338
.LBB55_2330:
	s_trap 2
	s_or_b64 s[18:19], s[18:19], exec
                                        ; implicit-def: $vgpr11
	s_cbranch_execz .LBB55_2267
	s_branch .LBB55_2268
.LBB55_2331:
	s_mov_b64 s[16:17], -1
	s_mov_b64 s[14:15], 0
	s_mov_b64 s[0:1], 0
                                        ; implicit-def: $vgpr12
	s_branch .LBB55_2333
.LBB55_2332:
	s_mov_b64 s[0:1], -1
                                        ; implicit-def: $vgpr12
	s_mov_b64 s[14:15], 0
.LBB55_2333:
	s_and_b64 vcc, exec, s[16:17]
	s_cbranch_vccz .LBB55_2337
; %bb.2334:
	v_mov_b32_e32 v12, 44
	v_cmp_eq_u16_sdwa s[0:1], v5, v12 src0_sel:BYTE_0 src1_sel:DWORD
	s_and_b64 vcc, exec, s[0:1]
	s_cbranch_vccz .LBB55_2336
; %bb.2335:
	global_load_ubyte v12, v[0:1], off
	s_movk_i32 s13, 0xff
	v_mov_b32_e32 v15, 0x7e00
	s_mov_b64 s[0:1], 0
	s_mov_b64 s[14:15], -1
	s_waitcnt vmcnt(0)
	v_lshlrev_b32_e32 v14, 23, v12
	v_cvt_f16_f32_e32 v14, v14
	v_cmp_ne_u32_e32 vcc, s13, v12
	v_cndmask_b32_e32 v14, v15, v14, vcc
	v_cmp_ne_u32_e32 vcc, 0, v12
	v_cndmask_b32_e32 v12, 0, v14, vcc
	s_branch .LBB55_2337
.LBB55_2336:
	s_mov_b64 s[0:1], -1
                                        ; implicit-def: $vgpr12
.LBB55_2337:
	s_mov_b64 s[16:17], 0
.LBB55_2338:
	s_and_b64 vcc, exec, s[16:17]
	s_cbranch_vccz .LBB55_2342
; %bb.2339:
	v_mov_b32_e32 v12, 29
	v_cmp_eq_u16_sdwa s[0:1], v5, v12 src0_sel:BYTE_0 src1_sel:DWORD
	s_and_b64 vcc, exec, s[0:1]
	s_cbranch_vccz .LBB55_2341
; %bb.2340:
	global_load_dwordx2 v[14:15], v[0:1], off
	s_mov_b64 s[0:1], 0
	s_mov_b64 s[14:15], -1
	s_mov_b64 s[16:17], 0
	s_waitcnt vmcnt(0)
	v_ffbh_u32_e32 v12, v15
	v_min_u32_e32 v12, 32, v12
	v_lshlrev_b64 v[14:15], v12, v[14:15]
	v_min_u32_e32 v14, 1, v14
	v_or_b32_e32 v14, v15, v14
	v_cvt_f32_u32_e32 v14, v14
	v_sub_u32_e32 v12, 32, v12
	v_ldexp_f32 v12, v14, v12
	v_cvt_f16_f32_e32 v12, v12
	s_branch .LBB55_2343
.LBB55_2341:
	s_mov_b64 s[0:1], -1
                                        ; implicit-def: $vgpr12
.LBB55_2342:
	s_mov_b64 s[16:17], 0
.LBB55_2343:
	s_and_b64 vcc, exec, s[16:17]
	s_cbranch_vccz .LBB55_2361
; %bb.2344:
	v_mov_b32_e32 v12, 27
	v_cmp_lt_i16_sdwa s[14:15], v5, v12 src0_sel:BYTE_0 src1_sel:DWORD
	s_and_b64 vcc, exec, s[14:15]
	s_cbranch_vccnz .LBB55_2347
; %bb.2345:
	v_cmp_gt_i16_sdwa s[14:15], v5, v12 src0_sel:BYTE_0 src1_sel:DWORD
	s_and_b64 vcc, exec, s[14:15]
	s_cbranch_vccz .LBB55_2348
; %bb.2346:
	global_load_dword v12, v[0:1], off
	s_mov_b64 s[14:15], 0
	s_waitcnt vmcnt(0)
	v_cvt_f32_u32_e32 v12, v12
	v_cvt_f16_f32_e32 v12, v12
	s_branch .LBB55_2349
.LBB55_2347:
	s_mov_b64 s[14:15], -1
                                        ; implicit-def: $vgpr12
	s_branch .LBB55_2352
.LBB55_2348:
	s_mov_b64 s[14:15], -1
                                        ; implicit-def: $vgpr12
.LBB55_2349:
	s_andn2_b64 vcc, exec, s[14:15]
	s_cbranch_vccnz .LBB55_2351
; %bb.2350:
	global_load_ushort v12, v[0:1], off
	s_waitcnt vmcnt(0)
	v_cvt_f16_u16_e32 v12, v12
.LBB55_2351:
	s_mov_b64 s[14:15], 0
.LBB55_2352:
	s_andn2_b64 vcc, exec, s[14:15]
	s_cbranch_vccnz .LBB55_2360
; %bb.2353:
	global_load_ubyte v14, v[0:1], off
	s_movk_i32 s13, 0x7f
	s_mov_b64 s[14:15], 0
	s_waitcnt vmcnt(0)
	v_cmp_lt_i16_e32 vcc, s13, v14
                                        ; implicit-def: $sgpr13
	s_and_saveexec_b64 s[16:17], vcc
	s_xor_b64 s[16:17], exec, s[16:17]
	s_cbranch_execz .LBB55_2374
; %bb.2354:
	s_movk_i32 s13, 0x80
	v_cmp_eq_u16_e32 vcc, s13, v14
	s_mov_b64 s[14:15], -1
                                        ; implicit-def: $sgpr13
	s_and_saveexec_b64 s[20:21], vcc
; %bb.2355:
	s_movk_i32 s13, 0x7e00
	s_xor_b64 s[14:15], exec, -1
; %bb.2356:
	s_or_b64 exec, exec, s[20:21]
	s_and_b64 s[14:15], s[14:15], exec
	s_or_saveexec_b64 s[16:17], s[16:17]
	v_mov_b32_e32 v12, s13
	s_xor_b64 exec, exec, s[16:17]
	s_cbranch_execnz .LBB55_2375
.LBB55_2357:
	s_or_b64 exec, exec, s[16:17]
	s_and_saveexec_b64 s[16:17], s[14:15]
	s_cbranch_execz .LBB55_2359
.LBB55_2358:
	v_lshlrev_b32_e32 v12, 24, v14
	v_and_b32_e32 v14, 0xffff, v14
	v_and_b32_e32 v15, 7, v14
	v_ffbh_u32_e32 v17, v15
	v_min_u32_e32 v17, 32, v17
	v_subrev_u32_e32 v18, 28, v17
	v_bfe_u32 v16, v14, 3, 4
	v_lshlrev_b32_e32 v14, v18, v14
	v_sub_u32_e32 v17, 29, v17
	v_and_b32_e32 v14, 7, v14
	v_cmp_eq_u32_e32 vcc, 0, v16
	v_cndmask_b32_e32 v16, v16, v17, vcc
	v_cndmask_b32_e32 v14, v15, v14, vcc
	v_mov_b32_e32 v15, 0x3b800000
	v_lshlrev_b32_e32 v14, 20, v14
	v_and_b32_e32 v12, 0x80000000, v12
	v_lshl_add_u32 v15, v16, 23, v15
	v_or3_b32 v12, v12, v15, v14
	v_cvt_f16_f32_e32 v12, v12
.LBB55_2359:
	s_or_b64 exec, exec, s[16:17]
.LBB55_2360:
	s_mov_b64 s[14:15], -1
.LBB55_2361:
	s_mov_b64 s[16:17], 0
.LBB55_2362:
	s_and_b64 vcc, exec, s[16:17]
	s_cbranch_vccz .LBB55_2395
; %bb.2363:
	v_mov_b32_e32 v12, 22
	v_cmp_gt_i16_sdwa s[10:11], v5, v12 src0_sel:BYTE_0 src1_sel:DWORD
	s_and_b64 vcc, exec, s[10:11]
	s_cbranch_vccz .LBB55_2373
; %bb.2364:
	v_mov_b32_e32 v12, 24
	v_cmp_lt_i16_sdwa s[10:11], v5, v12 src0_sel:BYTE_0 src1_sel:DWORD
	s_and_b64 vcc, exec, s[10:11]
	s_cbranch_vccnz .LBB55_2376
; %bb.2365:
	v_cmp_gt_i16_sdwa s[10:11], v5, v12 src0_sel:BYTE_0 src1_sel:DWORD
	s_and_b64 vcc, exec, s[10:11]
	s_cbranch_vccz .LBB55_2377
; %bb.2366:
	global_load_ubyte v14, v[0:1], off
	s_movk_i32 s10, 0x7f
                                        ; implicit-def: $sgpr13
	s_waitcnt vmcnt(0)
	v_cmp_lt_i16_e32 vcc, s10, v14
	s_mov_b64 s[10:11], 0
	s_and_saveexec_b64 s[14:15], vcc
	s_xor_b64 s[14:15], exec, s[14:15]
	s_cbranch_execz .LBB55_2389
; %bb.2367:
	s_movk_i32 s10, 0x80
	v_cmp_eq_u16_e32 vcc, s10, v14
	s_mov_b64 s[10:11], -1
                                        ; implicit-def: $sgpr13
	s_and_saveexec_b64 s[16:17], vcc
; %bb.2368:
	s_movk_i32 s13, 0x7e00
	s_xor_b64 s[10:11], exec, -1
; %bb.2369:
	s_or_b64 exec, exec, s[16:17]
	s_and_b64 s[10:11], s[10:11], exec
	s_or_saveexec_b64 s[14:15], s[14:15]
	v_mov_b32_e32 v12, s13
	s_xor_b64 exec, exec, s[14:15]
	s_cbranch_execnz .LBB55_2390
.LBB55_2370:
	s_or_b64 exec, exec, s[14:15]
	s_and_saveexec_b64 s[14:15], s[10:11]
	s_cbranch_execz .LBB55_2372
.LBB55_2371:
	v_lshlrev_b32_e32 v12, 24, v14
	v_and_b32_e32 v14, 0xffff, v14
	v_and_b32_e32 v15, 3, v14
	v_ffbh_u32_e32 v17, v15
	v_min_u32_e32 v17, 32, v17
	v_subrev_u32_e32 v18, 29, v17
	v_bfe_u32 v16, v14, 2, 5
	v_lshlrev_b32_e32 v14, v18, v14
	v_sub_u32_e32 v17, 30, v17
	v_and_b32_e32 v14, 3, v14
	v_cmp_eq_u32_e32 vcc, 0, v16
	v_cndmask_b32_e32 v16, v16, v17, vcc
	v_cndmask_b32_e32 v14, v15, v14, vcc
	v_mov_b32_e32 v15, 0x37800000
	v_lshlrev_b32_e32 v14, 21, v14
	v_and_b32_e32 v12, 0x80000000, v12
	v_lshl_add_u32 v15, v16, 23, v15
	v_or3_b32 v12, v12, v15, v14
	v_cvt_f16_f32_e32 v12, v12
.LBB55_2372:
	s_or_b64 exec, exec, s[14:15]
	s_mov_b64 s[10:11], 0
	s_branch .LBB55_2378
.LBB55_2373:
	s_mov_b64 s[10:11], -1
                                        ; implicit-def: $vgpr12
	s_branch .LBB55_2384
.LBB55_2374:
	s_or_saveexec_b64 s[16:17], s[16:17]
	v_mov_b32_e32 v12, s13
	s_xor_b64 exec, exec, s[16:17]
	s_cbranch_execz .LBB55_2357
.LBB55_2375:
	v_cmp_ne_u16_e32 vcc, 0, v14
	s_andn2_b64 s[14:15], s[14:15], exec
	s_and_b64 s[20:21], vcc, exec
	s_or_b64 s[14:15], s[14:15], s[20:21]
	v_mov_b32_e32 v12, v14
	s_or_b64 exec, exec, s[16:17]
	s_and_saveexec_b64 s[16:17], s[14:15]
	s_cbranch_execnz .LBB55_2358
	s_branch .LBB55_2359
.LBB55_2376:
	s_mov_b64 s[10:11], -1
                                        ; implicit-def: $vgpr12
	s_branch .LBB55_2381
.LBB55_2377:
	s_mov_b64 s[10:11], -1
                                        ; implicit-def: $vgpr12
.LBB55_2378:
	s_and_b64 vcc, exec, s[10:11]
	s_cbranch_vccz .LBB55_2380
; %bb.2379:
	global_load_ubyte v12, v[0:1], off
	s_mov_b32 s10, 0x7f800000
	s_waitcnt vmcnt(0)
	v_lshlrev_b32_e32 v12, 24, v12
	v_and_b32_e32 v14, 0x7f000000, v12
	v_ffbh_u32_e32 v15, v14
	v_min_u32_e32 v15, 32, v15
	v_sub_u32_e64 v15, v15, 4 clamp
	v_lshlrev_b32_e32 v17, v15, v14
	v_lshlrev_b32_e32 v15, 23, v15
	v_lshrrev_b32_e32 v17, 4, v17
	v_add_u32_e32 v16, 0x1000000, v14
	v_sub_u32_e32 v15, v17, v15
	v_ashrrev_i32_e32 v16, 8, v16
	v_add_u32_e32 v15, 0x3c000000, v15
	v_and_or_b32 v15, v16, s10, v15
	v_cmp_ne_u32_e32 vcc, 0, v14
	v_cndmask_b32_e32 v14, 0, v15, vcc
	s_brev_b32 s10, 1
	v_and_or_b32 v12, v12, s10, v14
	v_cvt_f16_f32_e32 v12, v12
.LBB55_2380:
	s_mov_b64 s[10:11], 0
.LBB55_2381:
	s_andn2_b64 vcc, exec, s[10:11]
	s_cbranch_vccnz .LBB55_2383
; %bb.2382:
	global_load_ubyte v12, v[0:1], off
	s_movk_i32 s10, 0x7f00
	s_brev_b32 s11, 16
	s_waitcnt vmcnt(0)
	v_lshlrev_b16_e32 v14, 8, v12
	v_lshlrev_b32_e32 v12, 25, v12
	v_lshrrev_b32_e32 v15, 4, v12
	v_and_or_b32 v16, v14, s10, 0.5
	v_or_b32_e32 v15, 0x70000000, v15
	v_add_f32_e32 v16, -0.5, v16
	v_mul_f32_e32 v15, 0x7800000, v15
	v_cmp_gt_u32_e32 vcc, s11, v12
	v_bfe_i32 v14, v14, 0, 16
	v_cndmask_b32_e32 v12, v15, v16, vcc
	s_brev_b32 s10, 1
	v_and_or_b32 v12, v14, s10, v12
	v_cvt_f16_f32_e32 v12, v12
.LBB55_2383:
	s_mov_b64 s[10:11], 0
	s_mov_b64 s[14:15], -1
.LBB55_2384:
	s_andn2_b64 vcc, exec, s[10:11]
	s_mov_b64 s[10:11], 0
	s_cbranch_vccnz .LBB55_2395
; %bb.2385:
	v_mov_b32_e32 v12, 14
	v_cmp_gt_i16_sdwa s[10:11], v5, v12 src0_sel:BYTE_0 src1_sel:DWORD
	s_and_b64 vcc, exec, s[10:11]
	s_cbranch_vccz .LBB55_2388
; %bb.2386:
	v_mov_b32_e32 v12, 15
	v_cmp_eq_u16_sdwa s[0:1], v5, v12 src0_sel:BYTE_0 src1_sel:DWORD
	s_and_b64 vcc, exec, s[0:1]
	s_cbranch_vccz .LBB55_2391
; %bb.2387:
	global_load_ushort v12, v[0:1], off
	s_mov_b64 s[0:1], 0
	s_mov_b64 s[14:15], -1
	s_waitcnt vmcnt(0)
	v_lshlrev_b32_e32 v12, 16, v12
	v_cvt_f16_f32_e32 v12, v12
	s_branch .LBB55_2392
.LBB55_2388:
	s_mov_b64 s[16:17], -1
                                        ; implicit-def: $vgpr12
	s_branch .LBB55_2393
.LBB55_2389:
	s_or_saveexec_b64 s[14:15], s[14:15]
	v_mov_b32_e32 v12, s13
	s_xor_b64 exec, exec, s[14:15]
	s_cbranch_execz .LBB55_2370
.LBB55_2390:
	v_cmp_ne_u16_e32 vcc, 0, v14
	s_andn2_b64 s[10:11], s[10:11], exec
	s_and_b64 s[16:17], vcc, exec
	s_or_b64 s[10:11], s[10:11], s[16:17]
	v_mov_b32_e32 v12, v14
	s_or_b64 exec, exec, s[14:15]
	s_and_saveexec_b64 s[14:15], s[10:11]
	s_cbranch_execnz .LBB55_2371
	s_branch .LBB55_2372
.LBB55_2391:
	s_mov_b64 s[0:1], -1
                                        ; implicit-def: $vgpr12
.LBB55_2392:
	s_mov_b64 s[16:17], 0
.LBB55_2393:
	s_mov_b64 s[10:11], 0
	s_and_b64 vcc, exec, s[16:17]
	s_cbranch_vccz .LBB55_2395
; %bb.2394:
	v_mov_b32_e32 v12, 11
	v_cmp_ne_u16_sdwa s[0:1], v5, v12 src0_sel:BYTE_0 src1_sel:DWORD
	s_mov_b64 s[10:11], -1
                                        ; implicit-def: $vgpr12
.LBB55_2395:
	s_and_b64 vcc, exec, s[0:1]
	s_cbranch_vccnz .LBB55_2460
; %bb.2396:
	s_andn2_b64 vcc, exec, s[10:11]
	s_cbranch_vccnz .LBB55_2398
.LBB55_2397:
	global_load_ubyte v12, v[0:1], off
	v_mov_b32_e32 v14, 0x3c00
	s_mov_b64 s[14:15], -1
	s_waitcnt vmcnt(0)
	v_cmp_ne_u16_e32 vcc, 0, v12
	v_cndmask_b32_e32 v12, 0, v14, vcc
.LBB55_2398:
	s_mov_b64 s[0:1], 0
.LBB55_2399:
	s_and_b64 vcc, exec, s[0:1]
	s_cbranch_vccz .LBB55_2448
; %bb.2400:
	v_mov_b32_e32 v12, 5
	v_cmp_lt_i16_sdwa s[0:1], v5, v12 src0_sel:BYTE_0 src1_sel:DWORD
	s_and_b64 vcc, exec, s[0:1]
	s_cbranch_vccnz .LBB55_2405
; %bb.2401:
	v_mov_b32_e32 v12, 8
	v_cmp_lt_i16_sdwa s[0:1], v5, v12 src0_sel:BYTE_0 src1_sel:DWORD
	s_and_b64 vcc, exec, s[0:1]
	s_cbranch_vccnz .LBB55_2406
; %bb.2402:
	v_mov_b32_e32 v12, 9
	v_cmp_lt_i16_sdwa s[0:1], v5, v12 src0_sel:BYTE_0 src1_sel:DWORD
	s_and_b64 vcc, exec, s[0:1]
	s_cbranch_vccnz .LBB55_2407
; %bb.2403:
	v_cmp_gt_i16_sdwa s[0:1], v5, v12 src0_sel:BYTE_0 src1_sel:DWORD
	s_and_b64 vcc, exec, s[0:1]
	s_cbranch_vccz .LBB55_2408
; %bb.2404:
	global_load_dwordx2 v[14:15], v[0:1], off
	s_mov_b64 s[0:1], 0
	s_waitcnt vmcnt(0)
	v_cvt_f32_f64_e32 v12, v[14:15]
	v_cvt_f16_f32_e32 v12, v12
	s_branch .LBB55_2409
.LBB55_2405:
	s_mov_b64 s[0:1], -1
                                        ; implicit-def: $vgpr12
	s_branch .LBB55_2427
.LBB55_2406:
	s_mov_b64 s[0:1], -1
                                        ; implicit-def: $vgpr12
	s_branch .LBB55_2415
.LBB55_2407:
	s_mov_b64 s[0:1], -1
                                        ; implicit-def: $vgpr12
	s_branch .LBB55_2412
.LBB55_2408:
	s_mov_b64 s[0:1], -1
                                        ; implicit-def: $vgpr12
.LBB55_2409:
	s_andn2_b64 vcc, exec, s[0:1]
	s_cbranch_vccnz .LBB55_2411
; %bb.2410:
	global_load_dword v12, v[0:1], off
	s_waitcnt vmcnt(0)
	v_cvt_f16_f32_e32 v12, v12
.LBB55_2411:
	s_mov_b64 s[0:1], 0
.LBB55_2412:
	s_andn2_b64 vcc, exec, s[0:1]
	s_cbranch_vccnz .LBB55_2414
; %bb.2413:
	global_load_dword v12, v[0:1], off
.LBB55_2414:
	s_mov_b64 s[0:1], 0
.LBB55_2415:
	s_andn2_b64 vcc, exec, s[0:1]
	s_cbranch_vccnz .LBB55_2426
; %bb.2416:
	s_waitcnt vmcnt(0)
	v_mov_b32_e32 v12, 6
	v_cmp_lt_i16_sdwa s[0:1], v5, v12 src0_sel:BYTE_0 src1_sel:DWORD
	s_and_b64 vcc, exec, s[0:1]
	s_cbranch_vccnz .LBB55_2419
; %bb.2417:
	v_cmp_gt_i16_sdwa s[0:1], v5, v12 src0_sel:BYTE_0 src1_sel:DWORD
	s_and_b64 vcc, exec, s[0:1]
	s_cbranch_vccz .LBB55_2420
; %bb.2418:
	global_load_dwordx2 v[14:15], v[0:1], off
	s_mov_b64 s[0:1], 0
	s_waitcnt vmcnt(0)
	v_cvt_f32_f64_e32 v12, v[14:15]
	v_cvt_f16_f32_e32 v12, v12
	s_branch .LBB55_2421
.LBB55_2419:
	s_mov_b64 s[0:1], -1
                                        ; implicit-def: $vgpr12
	s_branch .LBB55_2424
.LBB55_2420:
	s_mov_b64 s[0:1], -1
                                        ; implicit-def: $vgpr12
.LBB55_2421:
	s_andn2_b64 vcc, exec, s[0:1]
	s_cbranch_vccnz .LBB55_2423
; %bb.2422:
	global_load_dword v12, v[0:1], off
	s_waitcnt vmcnt(0)
	v_cvt_f16_f32_e32 v12, v12
.LBB55_2423:
	s_mov_b64 s[0:1], 0
.LBB55_2424:
	s_andn2_b64 vcc, exec, s[0:1]
	s_cbranch_vccnz .LBB55_2426
; %bb.2425:
	global_load_ushort v12, v[0:1], off
.LBB55_2426:
	s_mov_b64 s[0:1], 0
.LBB55_2427:
	s_andn2_b64 vcc, exec, s[0:1]
	s_cbranch_vccnz .LBB55_2447
; %bb.2428:
	s_waitcnt vmcnt(0)
	v_mov_b32_e32 v12, 2
	v_cmp_lt_i16_sdwa s[0:1], v5, v12 src0_sel:BYTE_0 src1_sel:DWORD
	s_and_b64 vcc, exec, s[0:1]
	s_cbranch_vccnz .LBB55_2432
; %bb.2429:
	v_mov_b32_e32 v12, 3
	v_cmp_lt_i16_sdwa s[0:1], v5, v12 src0_sel:BYTE_0 src1_sel:DWORD
	s_and_b64 vcc, exec, s[0:1]
	s_cbranch_vccnz .LBB55_2433
; %bb.2430:
	v_cmp_gt_i16_sdwa s[0:1], v5, v12 src0_sel:BYTE_0 src1_sel:DWORD
	s_and_b64 vcc, exec, s[0:1]
	s_cbranch_vccz .LBB55_2434
; %bb.2431:
	global_load_dwordx2 v[14:15], v[0:1], off
	s_mov_b64 s[0:1], 0
	s_waitcnt vmcnt(0)
	v_xor_b32_e32 v16, v14, v15
	v_ffbh_i32_e32 v12, v15
	v_ashrrev_i32_e32 v16, 31, v16
	v_add_u32_e32 v12, -1, v12
	v_add_u32_e32 v16, 32, v16
	v_min_u32_e32 v12, v12, v16
	v_lshlrev_b64 v[14:15], v12, v[14:15]
	v_min_u32_e32 v14, 1, v14
	v_or_b32_e32 v14, v15, v14
	v_cvt_f32_i32_e32 v14, v14
	v_sub_u32_e32 v12, 32, v12
	v_ldexp_f32 v12, v14, v12
	v_cvt_f16_f32_e32 v12, v12
	s_branch .LBB55_2435
.LBB55_2432:
	s_mov_b64 s[0:1], -1
                                        ; implicit-def: $vgpr12
	s_branch .LBB55_2441
.LBB55_2433:
	s_mov_b64 s[0:1], -1
                                        ; implicit-def: $vgpr12
	s_branch .LBB55_2438
.LBB55_2434:
	s_mov_b64 s[0:1], -1
                                        ; implicit-def: $vgpr12
.LBB55_2435:
	s_andn2_b64 vcc, exec, s[0:1]
	s_cbranch_vccnz .LBB55_2437
; %bb.2436:
	global_load_dword v12, v[0:1], off
	s_waitcnt vmcnt(0)
	v_cvt_f32_i32_e32 v12, v12
	v_cvt_f16_f32_e32 v12, v12
.LBB55_2437:
	s_mov_b64 s[0:1], 0
.LBB55_2438:
	s_andn2_b64 vcc, exec, s[0:1]
	s_cbranch_vccnz .LBB55_2440
; %bb.2439:
	global_load_ushort v12, v[0:1], off
	s_waitcnt vmcnt(0)
	v_cvt_f16_i16_e32 v12, v12
.LBB55_2440:
	s_mov_b64 s[0:1], 0
.LBB55_2441:
	s_andn2_b64 vcc, exec, s[0:1]
	s_cbranch_vccnz .LBB55_2447
; %bb.2442:
	v_mov_b32_e32 v12, 0
	v_cmp_gt_i16_sdwa s[0:1], v5, v12 src0_sel:BYTE_0 src1_sel:DWORD
	s_and_b64 vcc, exec, s[0:1]
	s_cbranch_vccz .LBB55_2444
; %bb.2443:
	global_load_sbyte v5, v[0:1], off
	s_mov_b64 s[0:1], 0
	s_waitcnt vmcnt(0)
	v_cvt_f16_i16_e32 v12, v5
	s_branch .LBB55_2445
.LBB55_2444:
	s_mov_b64 s[0:1], -1
                                        ; implicit-def: $vgpr12
.LBB55_2445:
	s_andn2_b64 vcc, exec, s[0:1]
	s_cbranch_vccnz .LBB55_2447
; %bb.2446:
	global_load_ubyte v0, v[0:1], off
	s_waitcnt vmcnt(0)
	v_cvt_f16_u16_e32 v12, v0
.LBB55_2447:
	s_mov_b64 s[14:15], -1
.LBB55_2448:
	s_andn2_b64 vcc, exec, s[14:15]
	s_cbranch_vccnz .LBB55_3032
; %bb.2449:
	v_add_u32_e32 v0, s24, v13
	v_ashrrev_i32_e32 v1, 31, v0
	v_mov_b32_e32 v5, s3
	v_add_co_u32_e32 v0, vcc, s2, v0
	v_addc_co_u32_e32 v1, vcc, v5, v1, vcc
	v_mov_b32_e32 v5, 11
	v_cmp_lt_i16_sdwa s[0:1], v4, v5 src0_sel:BYTE_0 src1_sel:DWORD
	s_and_b64 vcc, exec, s[0:1]
	s_cbranch_vccnz .LBB55_2456
; %bb.2450:
	v_mov_b32_e32 v5, 25
	v_cmp_gt_i16_sdwa s[0:1], v4, v5 src0_sel:BYTE_0 src1_sel:DWORD
	s_mov_b64 s[2:3], 0
	s_and_b64 vcc, exec, s[0:1]
	s_cbranch_vccz .LBB55_2457
; %bb.2451:
	v_mov_b32_e32 v5, 28
	v_cmp_gt_i16_sdwa s[0:1], v4, v5 src0_sel:BYTE_0 src1_sel:DWORD
	s_and_b64 vcc, exec, s[0:1]
	s_cbranch_vccz .LBB55_2458
; %bb.2452:
	v_mov_b32_e32 v5, 43
	v_cmp_gt_i16_sdwa s[0:1], v4, v5 src0_sel:BYTE_0 src1_sel:DWORD
	;; [unrolled: 5-line block ×3, first 2 shown]
	s_and_b64 vcc, exec, s[0:1]
	s_cbranch_vccz .LBB55_2461
; %bb.2454:
	v_mov_b32_e32 v5, 46
	v_cmp_eq_u16_sdwa s[0:1], v4, v5 src0_sel:BYTE_0 src1_sel:DWORD
	s_mov_b64 s[14:15], 0
	s_and_b64 vcc, exec, s[0:1]
	s_cbranch_vccz .LBB55_2462
; %bb.2455:
	global_load_dword v5, v[0:1], off
	s_mov_b64 s[0:1], 0
	s_mov_b64 s[10:11], -1
	s_waitcnt vmcnt(0)
	v_lshlrev_b32_e32 v5, 16, v5
	v_cvt_f16_f32_e32 v5, v5
	s_branch .LBB55_2463
.LBB55_2456:
	s_mov_b64 s[0:1], -1
	s_mov_b64 s[10:11], 0
                                        ; implicit-def: $vgpr5
	s_branch .LBB55_2529
.LBB55_2457:
	s_mov_b64 s[14:15], -1
	s_mov_b64 s[10:11], 0
	s_mov_b64 s[0:1], 0
                                        ; implicit-def: $vgpr5
	s_branch .LBB55_2492
.LBB55_2458:
	s_mov_b64 s[14:15], -1
	s_mov_b64 s[10:11], 0
	s_mov_b64 s[0:1], 0
                                        ; implicit-def: $vgpr5
	s_branch .LBB55_2473
.LBB55_2459:
	s_mov_b64 s[14:15], -1
	s_mov_b64 s[10:11], 0
	s_mov_b64 s[0:1], 0
                                        ; implicit-def: $vgpr5
	s_branch .LBB55_2468
.LBB55_2460:
	s_trap 2
	s_or_b64 s[18:19], s[18:19], exec
                                        ; implicit-def: $vgpr12
	s_cbranch_execz .LBB55_2397
	s_branch .LBB55_2398
.LBB55_2461:
	s_mov_b64 s[14:15], -1
	s_mov_b64 s[10:11], 0
	s_mov_b64 s[0:1], 0
                                        ; implicit-def: $vgpr5
	s_branch .LBB55_2463
.LBB55_2462:
	s_mov_b64 s[0:1], -1
                                        ; implicit-def: $vgpr5
	s_mov_b64 s[10:11], 0
.LBB55_2463:
	s_and_b64 vcc, exec, s[14:15]
	s_cbranch_vccz .LBB55_2467
; %bb.2464:
	v_mov_b32_e32 v5, 44
	v_cmp_eq_u16_sdwa s[0:1], v4, v5 src0_sel:BYTE_0 src1_sel:DWORD
	s_and_b64 vcc, exec, s[0:1]
	s_cbranch_vccz .LBB55_2466
; %bb.2465:
	global_load_ubyte v5, v[0:1], off
	s_movk_i32 s10, 0xff
	v_mov_b32_e32 v14, 0x7e00
	s_mov_b64 s[0:1], 0
	s_waitcnt vmcnt(0)
	v_lshlrev_b32_e32 v13, 23, v5
	v_cvt_f16_f32_e32 v13, v13
	v_cmp_ne_u32_e32 vcc, s10, v5
	s_mov_b64 s[10:11], -1
	v_cndmask_b32_e32 v13, v14, v13, vcc
	v_cmp_ne_u32_e32 vcc, 0, v5
	v_cndmask_b32_e32 v5, 0, v13, vcc
	s_branch .LBB55_2467
.LBB55_2466:
	s_mov_b64 s[0:1], -1
                                        ; implicit-def: $vgpr5
.LBB55_2467:
	s_mov_b64 s[14:15], 0
.LBB55_2468:
	s_and_b64 vcc, exec, s[14:15]
	s_cbranch_vccz .LBB55_2472
; %bb.2469:
	v_mov_b32_e32 v5, 29
	v_cmp_eq_u16_sdwa s[0:1], v4, v5 src0_sel:BYTE_0 src1_sel:DWORD
	s_and_b64 vcc, exec, s[0:1]
	s_cbranch_vccz .LBB55_2471
; %bb.2470:
	global_load_dwordx2 v[14:15], v[0:1], off
	s_mov_b64 s[0:1], 0
	s_mov_b64 s[10:11], -1
	s_mov_b64 s[14:15], 0
	s_waitcnt vmcnt(0)
	v_ffbh_u32_e32 v5, v15
	v_min_u32_e32 v5, 32, v5
	v_lshlrev_b64 v[14:15], v5, v[14:15]
	v_min_u32_e32 v13, 1, v14
	v_or_b32_e32 v13, v15, v13
	v_cvt_f32_u32_e32 v13, v13
	v_sub_u32_e32 v5, 32, v5
	v_ldexp_f32 v5, v13, v5
	v_cvt_f16_f32_e32 v5, v5
	s_branch .LBB55_2473
.LBB55_2471:
	s_mov_b64 s[0:1], -1
                                        ; implicit-def: $vgpr5
.LBB55_2472:
	s_mov_b64 s[14:15], 0
.LBB55_2473:
	s_and_b64 vcc, exec, s[14:15]
	s_cbranch_vccz .LBB55_2491
; %bb.2474:
	v_mov_b32_e32 v5, 27
	v_cmp_lt_i16_sdwa s[10:11], v4, v5 src0_sel:BYTE_0 src1_sel:DWORD
	s_and_b64 vcc, exec, s[10:11]
	s_cbranch_vccnz .LBB55_2477
; %bb.2475:
	v_cmp_gt_i16_sdwa s[10:11], v4, v5 src0_sel:BYTE_0 src1_sel:DWORD
	s_and_b64 vcc, exec, s[10:11]
	s_cbranch_vccz .LBB55_2478
; %bb.2476:
	global_load_dword v5, v[0:1], off
	s_mov_b64 s[10:11], 0
	s_waitcnt vmcnt(0)
	v_cvt_f32_u32_e32 v5, v5
	v_cvt_f16_f32_e32 v5, v5
	s_branch .LBB55_2479
.LBB55_2477:
	s_mov_b64 s[10:11], -1
                                        ; implicit-def: $vgpr5
	s_branch .LBB55_2482
.LBB55_2478:
	s_mov_b64 s[10:11], -1
                                        ; implicit-def: $vgpr5
.LBB55_2479:
	s_andn2_b64 vcc, exec, s[10:11]
	s_cbranch_vccnz .LBB55_2481
; %bb.2480:
	global_load_ushort v5, v[0:1], off
	s_waitcnt vmcnt(0)
	v_cvt_f16_u16_e32 v5, v5
.LBB55_2481:
	s_mov_b64 s[10:11], 0
.LBB55_2482:
	s_andn2_b64 vcc, exec, s[10:11]
	s_cbranch_vccnz .LBB55_2490
; %bb.2483:
	global_load_ubyte v13, v[0:1], off
	s_movk_i32 s10, 0x7f
                                        ; implicit-def: $sgpr13
	s_waitcnt vmcnt(0)
	v_cmp_lt_i16_e32 vcc, s10, v13
	s_mov_b64 s[10:11], 0
	s_and_saveexec_b64 s[14:15], vcc
	s_xor_b64 s[14:15], exec, s[14:15]
	s_cbranch_execz .LBB55_2504
; %bb.2484:
	s_movk_i32 s10, 0x80
	v_cmp_eq_u16_e32 vcc, s10, v13
	s_mov_b64 s[10:11], -1
                                        ; implicit-def: $sgpr13
	s_and_saveexec_b64 s[16:17], vcc
; %bb.2485:
	s_movk_i32 s13, 0x7e00
	s_xor_b64 s[10:11], exec, -1
; %bb.2486:
	s_or_b64 exec, exec, s[16:17]
	s_and_b64 s[10:11], s[10:11], exec
	s_or_saveexec_b64 s[14:15], s[14:15]
	v_mov_b32_e32 v5, s13
	s_xor_b64 exec, exec, s[14:15]
	s_cbranch_execnz .LBB55_2505
.LBB55_2487:
	s_or_b64 exec, exec, s[14:15]
	s_and_saveexec_b64 s[14:15], s[10:11]
	s_cbranch_execz .LBB55_2489
.LBB55_2488:
	v_lshlrev_b32_e32 v5, 24, v13
	v_and_b32_e32 v13, 0xffff, v13
	v_and_b32_e32 v14, 7, v13
	v_ffbh_u32_e32 v16, v14
	v_min_u32_e32 v16, 32, v16
	v_subrev_u32_e32 v17, 28, v16
	v_bfe_u32 v15, v13, 3, 4
	v_lshlrev_b32_e32 v13, v17, v13
	v_sub_u32_e32 v16, 29, v16
	v_and_b32_e32 v13, 7, v13
	v_cmp_eq_u32_e32 vcc, 0, v15
	v_cndmask_b32_e32 v15, v15, v16, vcc
	v_cndmask_b32_e32 v13, v14, v13, vcc
	v_mov_b32_e32 v14, 0x3b800000
	v_lshlrev_b32_e32 v13, 20, v13
	v_and_b32_e32 v5, 0x80000000, v5
	v_lshl_add_u32 v14, v15, 23, v14
	v_or3_b32 v5, v5, v14, v13
	v_cvt_f16_f32_e32 v5, v5
.LBB55_2489:
	s_or_b64 exec, exec, s[14:15]
.LBB55_2490:
	s_mov_b64 s[10:11], -1
.LBB55_2491:
	s_mov_b64 s[14:15], 0
.LBB55_2492:
	s_and_b64 vcc, exec, s[14:15]
	s_cbranch_vccz .LBB55_2525
; %bb.2493:
	v_mov_b32_e32 v5, 22
	v_cmp_gt_i16_sdwa s[2:3], v4, v5 src0_sel:BYTE_0 src1_sel:DWORD
	s_and_b64 vcc, exec, s[2:3]
	s_cbranch_vccz .LBB55_2503
; %bb.2494:
	v_mov_b32_e32 v5, 24
	v_cmp_lt_i16_sdwa s[2:3], v4, v5 src0_sel:BYTE_0 src1_sel:DWORD
	s_and_b64 vcc, exec, s[2:3]
	s_cbranch_vccnz .LBB55_2506
; %bb.2495:
	v_cmp_gt_i16_sdwa s[2:3], v4, v5 src0_sel:BYTE_0 src1_sel:DWORD
	s_and_b64 vcc, exec, s[2:3]
	s_cbranch_vccz .LBB55_2507
; %bb.2496:
	global_load_ubyte v13, v[0:1], off
	s_movk_i32 s2, 0x7f
                                        ; implicit-def: $sgpr13
	s_waitcnt vmcnt(0)
	v_cmp_lt_i16_e32 vcc, s2, v13
	s_mov_b64 s[2:3], 0
	s_and_saveexec_b64 s[10:11], vcc
	s_xor_b64 s[10:11], exec, s[10:11]
	s_cbranch_execz .LBB55_2519
; %bb.2497:
	s_movk_i32 s2, 0x80
	v_cmp_eq_u16_e32 vcc, s2, v13
	s_mov_b64 s[2:3], -1
                                        ; implicit-def: $sgpr13
	s_and_saveexec_b64 s[14:15], vcc
; %bb.2498:
	s_movk_i32 s13, 0x7e00
	s_xor_b64 s[2:3], exec, -1
; %bb.2499:
	s_or_b64 exec, exec, s[14:15]
	s_and_b64 s[2:3], s[2:3], exec
	s_or_saveexec_b64 s[10:11], s[10:11]
	v_mov_b32_e32 v5, s13
	s_xor_b64 exec, exec, s[10:11]
	s_cbranch_execnz .LBB55_2520
.LBB55_2500:
	s_or_b64 exec, exec, s[10:11]
	s_and_saveexec_b64 s[10:11], s[2:3]
	s_cbranch_execz .LBB55_2502
.LBB55_2501:
	v_lshlrev_b32_e32 v5, 24, v13
	v_and_b32_e32 v13, 0xffff, v13
	v_and_b32_e32 v14, 3, v13
	v_ffbh_u32_e32 v16, v14
	v_min_u32_e32 v16, 32, v16
	v_subrev_u32_e32 v17, 29, v16
	v_bfe_u32 v15, v13, 2, 5
	v_lshlrev_b32_e32 v13, v17, v13
	v_sub_u32_e32 v16, 30, v16
	v_and_b32_e32 v13, 3, v13
	v_cmp_eq_u32_e32 vcc, 0, v15
	v_cndmask_b32_e32 v15, v15, v16, vcc
	v_cndmask_b32_e32 v13, v14, v13, vcc
	v_mov_b32_e32 v14, 0x37800000
	v_lshlrev_b32_e32 v13, 21, v13
	v_and_b32_e32 v5, 0x80000000, v5
	v_lshl_add_u32 v14, v15, 23, v14
	v_or3_b32 v5, v5, v14, v13
	v_cvt_f16_f32_e32 v5, v5
.LBB55_2502:
	s_or_b64 exec, exec, s[10:11]
	s_mov_b64 s[2:3], 0
	s_branch .LBB55_2508
.LBB55_2503:
	s_mov_b64 s[2:3], -1
                                        ; implicit-def: $vgpr5
	s_branch .LBB55_2514
.LBB55_2504:
	s_or_saveexec_b64 s[14:15], s[14:15]
	v_mov_b32_e32 v5, s13
	s_xor_b64 exec, exec, s[14:15]
	s_cbranch_execz .LBB55_2487
.LBB55_2505:
	v_cmp_ne_u16_e32 vcc, 0, v13
	s_andn2_b64 s[10:11], s[10:11], exec
	s_and_b64 s[16:17], vcc, exec
	s_or_b64 s[10:11], s[10:11], s[16:17]
	v_mov_b32_e32 v5, v13
	s_or_b64 exec, exec, s[14:15]
	s_and_saveexec_b64 s[14:15], s[10:11]
	s_cbranch_execnz .LBB55_2488
	s_branch .LBB55_2489
.LBB55_2506:
	s_mov_b64 s[2:3], -1
                                        ; implicit-def: $vgpr5
	s_branch .LBB55_2511
.LBB55_2507:
	s_mov_b64 s[2:3], -1
                                        ; implicit-def: $vgpr5
.LBB55_2508:
	s_and_b64 vcc, exec, s[2:3]
	s_cbranch_vccz .LBB55_2510
; %bb.2509:
	global_load_ubyte v5, v[0:1], off
	s_mov_b32 s2, 0x7f800000
	s_waitcnt vmcnt(0)
	v_lshlrev_b32_e32 v5, 24, v5
	v_and_b32_e32 v13, 0x7f000000, v5
	v_ffbh_u32_e32 v14, v13
	v_min_u32_e32 v14, 32, v14
	v_sub_u32_e64 v14, v14, 4 clamp
	v_lshlrev_b32_e32 v16, v14, v13
	v_lshlrev_b32_e32 v14, 23, v14
	v_lshrrev_b32_e32 v16, 4, v16
	v_add_u32_e32 v15, 0x1000000, v13
	v_sub_u32_e32 v14, v16, v14
	v_ashrrev_i32_e32 v15, 8, v15
	v_add_u32_e32 v14, 0x3c000000, v14
	v_and_or_b32 v14, v15, s2, v14
	v_cmp_ne_u32_e32 vcc, 0, v13
	v_cndmask_b32_e32 v13, 0, v14, vcc
	s_brev_b32 s2, 1
	v_and_or_b32 v5, v5, s2, v13
	v_cvt_f16_f32_e32 v5, v5
.LBB55_2510:
	s_mov_b64 s[2:3], 0
.LBB55_2511:
	s_andn2_b64 vcc, exec, s[2:3]
	s_cbranch_vccnz .LBB55_2513
; %bb.2512:
	global_load_ubyte v5, v[0:1], off
	s_movk_i32 s2, 0x7f00
	s_brev_b32 s3, 16
	s_waitcnt vmcnt(0)
	v_lshlrev_b16_e32 v13, 8, v5
	v_lshlrev_b32_e32 v5, 25, v5
	v_lshrrev_b32_e32 v14, 4, v5
	v_and_or_b32 v15, v13, s2, 0.5
	v_or_b32_e32 v14, 0x70000000, v14
	v_add_f32_e32 v15, -0.5, v15
	v_mul_f32_e32 v14, 0x7800000, v14
	v_cmp_gt_u32_e32 vcc, s3, v5
	v_bfe_i32 v13, v13, 0, 16
	v_cndmask_b32_e32 v5, v14, v15, vcc
	s_brev_b32 s2, 1
	v_and_or_b32 v5, v13, s2, v5
	v_cvt_f16_f32_e32 v5, v5
.LBB55_2513:
	s_mov_b64 s[2:3], 0
	s_mov_b64 s[10:11], -1
.LBB55_2514:
	s_andn2_b64 vcc, exec, s[2:3]
	s_mov_b64 s[2:3], 0
	s_cbranch_vccnz .LBB55_2525
; %bb.2515:
	v_mov_b32_e32 v5, 14
	v_cmp_gt_i16_sdwa s[2:3], v4, v5 src0_sel:BYTE_0 src1_sel:DWORD
	s_and_b64 vcc, exec, s[2:3]
	s_cbranch_vccz .LBB55_2518
; %bb.2516:
	v_mov_b32_e32 v5, 15
	v_cmp_eq_u16_sdwa s[0:1], v4, v5 src0_sel:BYTE_0 src1_sel:DWORD
	s_and_b64 vcc, exec, s[0:1]
	s_cbranch_vccz .LBB55_2521
; %bb.2517:
	global_load_ushort v5, v[0:1], off
	s_mov_b64 s[0:1], 0
	s_mov_b64 s[10:11], -1
	s_waitcnt vmcnt(0)
	v_lshlrev_b32_e32 v5, 16, v5
	v_cvt_f16_f32_e32 v5, v5
	s_branch .LBB55_2522
.LBB55_2518:
	s_mov_b64 s[14:15], -1
                                        ; implicit-def: $vgpr5
	s_branch .LBB55_2523
.LBB55_2519:
	s_or_saveexec_b64 s[10:11], s[10:11]
	v_mov_b32_e32 v5, s13
	s_xor_b64 exec, exec, s[10:11]
	s_cbranch_execz .LBB55_2500
.LBB55_2520:
	v_cmp_ne_u16_e32 vcc, 0, v13
	s_andn2_b64 s[2:3], s[2:3], exec
	s_and_b64 s[14:15], vcc, exec
	s_or_b64 s[2:3], s[2:3], s[14:15]
	v_mov_b32_e32 v5, v13
	s_or_b64 exec, exec, s[10:11]
	s_and_saveexec_b64 s[10:11], s[2:3]
	s_cbranch_execnz .LBB55_2501
	s_branch .LBB55_2502
.LBB55_2521:
	s_mov_b64 s[0:1], -1
                                        ; implicit-def: $vgpr5
.LBB55_2522:
	s_mov_b64 s[14:15], 0
.LBB55_2523:
	s_mov_b64 s[2:3], 0
	s_and_b64 vcc, exec, s[14:15]
	s_cbranch_vccz .LBB55_2525
; %bb.2524:
	v_mov_b32_e32 v5, 11
	v_cmp_ne_u16_sdwa s[0:1], v4, v5 src0_sel:BYTE_0 src1_sel:DWORD
	s_mov_b64 s[2:3], -1
                                        ; implicit-def: $vgpr5
.LBB55_2525:
	s_and_b64 vcc, exec, s[0:1]
	s_cbranch_vccnz .LBB55_2589
; %bb.2526:
	s_andn2_b64 vcc, exec, s[2:3]
	s_cbranch_vccnz .LBB55_2528
.LBB55_2527:
	global_load_ubyte v5, v[0:1], off
	v_mov_b32_e32 v13, 0x3c00
	s_mov_b64 s[10:11], -1
	s_waitcnt vmcnt(0)
	v_cmp_ne_u16_e32 vcc, 0, v5
	v_cndmask_b32_e32 v5, 0, v13, vcc
.LBB55_2528:
	s_mov_b64 s[0:1], 0
.LBB55_2529:
	s_and_b64 vcc, exec, s[0:1]
	s_cbranch_vccz .LBB55_2578
; %bb.2530:
	v_mov_b32_e32 v5, 5
	v_cmp_lt_i16_sdwa s[0:1], v4, v5 src0_sel:BYTE_0 src1_sel:DWORD
	s_and_b64 vcc, exec, s[0:1]
	s_cbranch_vccnz .LBB55_2535
; %bb.2531:
	v_mov_b32_e32 v5, 8
	v_cmp_lt_i16_sdwa s[0:1], v4, v5 src0_sel:BYTE_0 src1_sel:DWORD
	s_and_b64 vcc, exec, s[0:1]
	s_cbranch_vccnz .LBB55_2536
	;; [unrolled: 5-line block ×3, first 2 shown]
; %bb.2533:
	v_cmp_gt_i16_sdwa s[0:1], v4, v5 src0_sel:BYTE_0 src1_sel:DWORD
	s_and_b64 vcc, exec, s[0:1]
	s_cbranch_vccz .LBB55_2538
; %bb.2534:
	global_load_dwordx2 v[14:15], v[0:1], off
	s_mov_b64 s[0:1], 0
	s_waitcnt vmcnt(0)
	v_cvt_f32_f64_e32 v5, v[14:15]
	v_cvt_f16_f32_e32 v5, v5
	s_branch .LBB55_2539
.LBB55_2535:
	s_mov_b64 s[0:1], -1
                                        ; implicit-def: $vgpr5
	s_branch .LBB55_2557
.LBB55_2536:
	s_mov_b64 s[0:1], -1
                                        ; implicit-def: $vgpr5
	s_branch .LBB55_2545
.LBB55_2537:
	s_mov_b64 s[0:1], -1
                                        ; implicit-def: $vgpr5
	s_branch .LBB55_2542
.LBB55_2538:
	s_mov_b64 s[0:1], -1
                                        ; implicit-def: $vgpr5
.LBB55_2539:
	s_andn2_b64 vcc, exec, s[0:1]
	s_cbranch_vccnz .LBB55_2541
; %bb.2540:
	global_load_dword v5, v[0:1], off
	s_waitcnt vmcnt(0)
	v_cvt_f16_f32_e32 v5, v5
.LBB55_2541:
	s_mov_b64 s[0:1], 0
.LBB55_2542:
	s_andn2_b64 vcc, exec, s[0:1]
	s_cbranch_vccnz .LBB55_2544
; %bb.2543:
	global_load_dword v5, v[0:1], off
.LBB55_2544:
	s_mov_b64 s[0:1], 0
.LBB55_2545:
	s_andn2_b64 vcc, exec, s[0:1]
	s_cbranch_vccnz .LBB55_2556
; %bb.2546:
	s_waitcnt vmcnt(0)
	v_mov_b32_e32 v5, 6
	v_cmp_lt_i16_sdwa s[0:1], v4, v5 src0_sel:BYTE_0 src1_sel:DWORD
	s_and_b64 vcc, exec, s[0:1]
	s_cbranch_vccnz .LBB55_2549
; %bb.2547:
	v_cmp_gt_i16_sdwa s[0:1], v4, v5 src0_sel:BYTE_0 src1_sel:DWORD
	s_and_b64 vcc, exec, s[0:1]
	s_cbranch_vccz .LBB55_2550
; %bb.2548:
	global_load_dwordx2 v[14:15], v[0:1], off
	s_mov_b64 s[0:1], 0
	s_waitcnt vmcnt(0)
	v_cvt_f32_f64_e32 v5, v[14:15]
	v_cvt_f16_f32_e32 v5, v5
	s_branch .LBB55_2551
.LBB55_2549:
	s_mov_b64 s[0:1], -1
                                        ; implicit-def: $vgpr5
	s_branch .LBB55_2554
.LBB55_2550:
	s_mov_b64 s[0:1], -1
                                        ; implicit-def: $vgpr5
.LBB55_2551:
	s_andn2_b64 vcc, exec, s[0:1]
	s_cbranch_vccnz .LBB55_2553
; %bb.2552:
	global_load_dword v5, v[0:1], off
	s_waitcnt vmcnt(0)
	v_cvt_f16_f32_e32 v5, v5
.LBB55_2553:
	s_mov_b64 s[0:1], 0
.LBB55_2554:
	s_andn2_b64 vcc, exec, s[0:1]
	s_cbranch_vccnz .LBB55_2556
; %bb.2555:
	global_load_ushort v5, v[0:1], off
.LBB55_2556:
	s_mov_b64 s[0:1], 0
.LBB55_2557:
	s_andn2_b64 vcc, exec, s[0:1]
	s_cbranch_vccnz .LBB55_2577
; %bb.2558:
	s_waitcnt vmcnt(0)
	v_mov_b32_e32 v5, 2
	v_cmp_lt_i16_sdwa s[0:1], v4, v5 src0_sel:BYTE_0 src1_sel:DWORD
	s_and_b64 vcc, exec, s[0:1]
	s_cbranch_vccnz .LBB55_2562
; %bb.2559:
	v_mov_b32_e32 v5, 3
	v_cmp_lt_i16_sdwa s[0:1], v4, v5 src0_sel:BYTE_0 src1_sel:DWORD
	s_and_b64 vcc, exec, s[0:1]
	s_cbranch_vccnz .LBB55_2563
; %bb.2560:
	v_cmp_gt_i16_sdwa s[0:1], v4, v5 src0_sel:BYTE_0 src1_sel:DWORD
	s_and_b64 vcc, exec, s[0:1]
	s_cbranch_vccz .LBB55_2564
; %bb.2561:
	global_load_dwordx2 v[14:15], v[0:1], off
	s_mov_b64 s[0:1], 0
	s_waitcnt vmcnt(0)
	v_xor_b32_e32 v13, v14, v15
	v_ffbh_i32_e32 v5, v15
	v_ashrrev_i32_e32 v13, 31, v13
	v_add_u32_e32 v5, -1, v5
	v_add_u32_e32 v13, 32, v13
	v_min_u32_e32 v5, v5, v13
	v_lshlrev_b64 v[14:15], v5, v[14:15]
	v_min_u32_e32 v13, 1, v14
	v_or_b32_e32 v13, v15, v13
	v_cvt_f32_i32_e32 v13, v13
	v_sub_u32_e32 v5, 32, v5
	v_ldexp_f32 v5, v13, v5
	v_cvt_f16_f32_e32 v5, v5
	s_branch .LBB55_2565
.LBB55_2562:
	s_mov_b64 s[0:1], -1
                                        ; implicit-def: $vgpr5
	s_branch .LBB55_2571
.LBB55_2563:
	s_mov_b64 s[0:1], -1
                                        ; implicit-def: $vgpr5
	s_branch .LBB55_2568
.LBB55_2564:
	s_mov_b64 s[0:1], -1
                                        ; implicit-def: $vgpr5
.LBB55_2565:
	s_andn2_b64 vcc, exec, s[0:1]
	s_cbranch_vccnz .LBB55_2567
; %bb.2566:
	global_load_dword v5, v[0:1], off
	s_waitcnt vmcnt(0)
	v_cvt_f32_i32_e32 v5, v5
	v_cvt_f16_f32_e32 v5, v5
.LBB55_2567:
	s_mov_b64 s[0:1], 0
.LBB55_2568:
	s_andn2_b64 vcc, exec, s[0:1]
	s_cbranch_vccnz .LBB55_2570
; %bb.2569:
	global_load_ushort v5, v[0:1], off
	s_waitcnt vmcnt(0)
	v_cvt_f16_i16_e32 v5, v5
.LBB55_2570:
	s_mov_b64 s[0:1], 0
.LBB55_2571:
	s_andn2_b64 vcc, exec, s[0:1]
	s_cbranch_vccnz .LBB55_2577
; %bb.2572:
	v_mov_b32_e32 v5, 0
	v_cmp_gt_i16_sdwa s[0:1], v4, v5 src0_sel:BYTE_0 src1_sel:DWORD
	s_and_b64 vcc, exec, s[0:1]
	s_cbranch_vccz .LBB55_2574
; %bb.2573:
	global_load_sbyte v4, v[0:1], off
	s_mov_b64 s[0:1], 0
	s_waitcnt vmcnt(0)
	v_cvt_f16_i16_e32 v5, v4
	s_branch .LBB55_2575
.LBB55_2574:
	s_mov_b64 s[0:1], -1
                                        ; implicit-def: $vgpr5
.LBB55_2575:
	s_andn2_b64 vcc, exec, s[0:1]
	s_cbranch_vccnz .LBB55_2577
; %bb.2576:
	global_load_ubyte v0, v[0:1], off
	s_waitcnt vmcnt(0)
	v_cvt_f16_u16_e32 v5, v0
.LBB55_2577:
	s_mov_b64 s[10:11], -1
.LBB55_2578:
	s_andn2_b64 vcc, exec, s[10:11]
	s_cbranch_vccnz .LBB55_3032
; %bb.2579:
	s_waitcnt vmcnt(0)
	v_mul_f16_e32 v0, v6, v7
	v_cmp_lt_f16_e32 vcc, 0, v6
	v_mul_lo_u32 v3, s12, v3
	v_cndmask_b32_e32 v4, v0, v6, vcc
	v_ashrrev_i32_e32 v1, 31, v3
	v_mov_b32_e32 v6, s9
	v_add_co_u32_e32 v0, vcc, s8, v3
	v_addc_co_u32_e32 v1, vcc, v6, v1, vcc
	v_mov_b32_e32 v6, 11
	v_cmp_lt_i16_sdwa s[0:1], v2, v6 src0_sel:BYTE_0 src1_sel:DWORD
	s_and_b64 vcc, exec, s[0:1]
	s_cbranch_vccnz .LBB55_2586
; %bb.2580:
	v_mov_b32_e32 v6, 25
	v_cmp_gt_i16_sdwa s[0:1], v2, v6 src0_sel:BYTE_0 src1_sel:DWORD
	s_mov_b64 s[14:15], -1
	s_mov_b64 s[2:3], 0
	s_and_b64 vcc, exec, s[0:1]
	s_mov_b64 s[10:11], 0
	s_mov_b64 s[0:1], 0
	s_cbranch_vccz .LBB55_2618
; %bb.2581:
	v_mov_b32_e32 v6, 28
	v_cmp_gt_i16_sdwa s[0:1], v2, v6 src0_sel:BYTE_0 src1_sel:DWORD
	s_and_b64 vcc, exec, s[0:1]
	s_cbranch_vccz .LBB55_2587
; %bb.2582:
	v_mov_b32_e32 v6, 43
	v_cmp_gt_i16_sdwa s[0:1], v2, v6 src0_sel:BYTE_0 src1_sel:DWORD
	s_and_b64 vcc, exec, s[0:1]
	;; [unrolled: 5-line block ×3, first 2 shown]
	s_cbranch_vccz .LBB55_2590
; %bb.2584:
	v_mov_b32_e32 v6, 46
	v_cmp_eq_u16_sdwa s[10:11], v2, v6 src0_sel:BYTE_0 src1_sel:DWORD
	s_mov_b64 s[0:1], -1
	s_mov_b64 s[14:15], 0
	s_and_b64 vcc, exec, s[10:11]
	s_mov_b64 s[10:11], 0
	s_cbranch_vccz .LBB55_2591
; %bb.2585:
	v_cvt_f32_f16_e32 v6, v4
	s_movk_i32 s0, 0x7fff
	v_mov_b32_e32 v7, 0x7fc0
	v_cmp_o_f16_e32 vcc, v4, v4
	v_bfe_u32 v13, v6, 16, 1
	v_add3_u32 v6, v6, v13, s0
	v_lshrrev_b32_e32 v6, 16, v6
	v_cndmask_b32_e32 v6, v7, v6, vcc
	global_store_dword v[0:1], v6, off
	s_mov_b64 s[0:1], 0
	s_mov_b64 s[10:11], -1
	s_branch .LBB55_2591
.LBB55_2586:
	s_mov_b64 s[0:1], -1
	s_mov_b64 s[10:11], 0
	s_branch .LBB55_2662
.LBB55_2587:
	s_mov_b64 s[0:1], 0
	s_branch .LBB55_2601
.LBB55_2588:
	s_mov_b64 s[0:1], 0
	s_branch .LBB55_2597
.LBB55_2589:
	s_trap 2
	s_or_b64 s[18:19], s[18:19], exec
                                        ; implicit-def: $vgpr5
	s_cbranch_execz .LBB55_2527
	s_branch .LBB55_2528
.LBB55_2590:
	s_mov_b64 s[0:1], 0
.LBB55_2591:
	s_and_b64 vcc, exec, s[14:15]
	s_cbranch_vccz .LBB55_2596
; %bb.2592:
	v_mov_b32_e32 v6, 44
	v_cmp_eq_u16_sdwa s[14:15], v2, v6 src0_sel:BYTE_0 src1_sel:DWORD
	s_mov_b64 s[0:1], -1
	s_and_b64 vcc, exec, s[14:15]
	s_cbranch_vccz .LBB55_2596
; %bb.2593:
	v_cvt_f32_f16_e32 v6, v4
	s_movk_i32 s0, 0xff
	v_mov_b32_e32 v13, 0xff
	v_bfe_u32 v7, v6, 23, 8
	v_cmp_ne_u32_e32 vcc, s0, v7
	s_and_saveexec_b64 s[10:11], vcc
; %bb.2594:
	s_mov_b32 s0, 0x3fffff
	v_lshrrev_b32_e32 v13, 23, v6
	v_and_b32_e32 v14, 0x400000, v6
	v_and_or_b32 v6, v6, s0, v7
	v_cmp_ne_u32_e32 vcc, 0, v14
	v_cmp_ne_u32_e64 s[0:1], 0, v6
	s_and_b64 s[0:1], vcc, s[0:1]
	v_cndmask_b32_e64 v6, 0, 1, s[0:1]
	v_add_u32_e32 v13, v13, v6
; %bb.2595:
	s_or_b64 exec, exec, s[10:11]
	s_mov_b64 s[0:1], 0
	s_mov_b64 s[10:11], -1
	global_store_byte v[0:1], v13, off
.LBB55_2596:
	s_mov_b64 s[14:15], 0
.LBB55_2597:
	s_and_b64 vcc, exec, s[14:15]
	s_cbranch_vccz .LBB55_2600
; %bb.2598:
	v_mov_b32_e32 v6, 29
	v_cmp_eq_u16_sdwa s[14:15], v2, v6 src0_sel:BYTE_0 src1_sel:DWORD
	s_mov_b64 s[0:1], -1
	s_and_b64 vcc, exec, s[14:15]
	s_cbranch_vccz .LBB55_2600
; %bb.2599:
	v_cvt_f32_f16_e32 v6, v4
	v_mov_b32_e32 v7, 0
	s_mov_b64 s[0:1], 0
	s_mov_b64 s[10:11], -1
	v_cvt_u32_f32_e32 v6, v6
	s_mov_b64 s[14:15], 0
	global_store_dwordx2 v[0:1], v[6:7], off
	s_branch .LBB55_2601
.LBB55_2600:
	s_mov_b64 s[14:15], 0
.LBB55_2601:
	s_and_b64 vcc, exec, s[14:15]
	s_cbranch_vccz .LBB55_2617
; %bb.2602:
	v_mov_b32_e32 v6, 27
	v_cmp_lt_i16_sdwa s[14:15], v2, v6 src0_sel:BYTE_0 src1_sel:DWORD
	s_mov_b64 s[10:11], -1
	s_and_b64 vcc, exec, s[14:15]
	s_cbranch_vccnz .LBB55_2608
; %bb.2603:
	v_cmp_gt_i16_sdwa s[14:15], v2, v6 src0_sel:BYTE_0 src1_sel:DWORD
	s_and_b64 vcc, exec, s[14:15]
	s_cbranch_vccz .LBB55_2605
; %bb.2604:
	v_cvt_f32_f16_e32 v6, v4
	s_mov_b64 s[10:11], 0
	v_cvt_u32_f32_e32 v6, v6
	global_store_dword v[0:1], v6, off
.LBB55_2605:
	s_andn2_b64 vcc, exec, s[10:11]
	s_cbranch_vccnz .LBB55_2607
; %bb.2606:
	v_cvt_u16_f16_e32 v6, v4
	global_store_short v[0:1], v6, off
.LBB55_2607:
	s_mov_b64 s[10:11], 0
.LBB55_2608:
	s_andn2_b64 vcc, exec, s[10:11]
	s_cbranch_vccnz .LBB55_2616
; %bb.2609:
	v_cvt_f32_f16_e32 v6, v4
	s_mov_b32 s10, 0x43800000
	v_mov_b32_e32 v13, 0x80
	v_and_b32_e32 v7, 0x7fffffff, v6
	v_cmp_gt_u32_e32 vcc, s10, v7
	s_and_saveexec_b64 s[10:11], vcc
	s_cbranch_execz .LBB55_2615
; %bb.2610:
	s_mov_b32 s13, 0x3bffffff
	v_cmp_lt_u32_e32 vcc, s13, v7
	s_mov_b64 s[14:15], 0
                                        ; implicit-def: $vgpr7
	s_and_saveexec_b64 s[16:17], vcc
	s_xor_b64 s[16:17], exec, s[16:17]
	s_cbranch_execz .LBB55_2711
; %bb.2611:
	v_bfe_u32 v7, v6, 20, 1
	s_mov_b32 s13, 0x487ffff
	v_add3_u32 v7, v6, v7, s13
	s_mov_b64 s[14:15], exec
	v_lshrrev_b32_e32 v7, 20, v7
	s_or_saveexec_b64 s[16:17], s[16:17]
                                        ; implicit-def: $sgpr13
	s_xor_b64 exec, exec, s[16:17]
	s_cbranch_execnz .LBB55_2712
.LBB55_2612:
	s_or_b64 exec, exec, s[16:17]
	v_mov_b32_e32 v13, s13
	s_and_saveexec_b64 s[16:17], s[14:15]
.LBB55_2613:
	v_lshrrev_b32_e32 v6, 24, v6
	s_movk_i32 s13, 0x80
	v_and_or_b32 v13, v6, s13, v7
.LBB55_2614:
	s_or_b64 exec, exec, s[16:17]
.LBB55_2615:
	s_or_b64 exec, exec, s[10:11]
	global_store_byte v[0:1], v13, off
.LBB55_2616:
	s_mov_b64 s[10:11], -1
.LBB55_2617:
	s_mov_b64 s[14:15], 0
.LBB55_2618:
	s_and_b64 vcc, exec, s[14:15]
	s_cbranch_vccz .LBB55_2658
; %bb.2619:
	v_mov_b32_e32 v6, 22
	v_cmp_gt_i16_sdwa s[14:15], v2, v6 src0_sel:BYTE_0 src1_sel:DWORD
	s_mov_b64 s[2:3], -1
	s_and_b64 vcc, exec, s[14:15]
	s_cbranch_vccz .LBB55_2651
; %bb.2620:
	v_mov_b32_e32 v6, 24
	v_cmp_lt_i16_sdwa s[10:11], v2, v6 src0_sel:BYTE_0 src1_sel:DWORD
	s_and_b64 vcc, exec, s[10:11]
	s_cbranch_vccnz .LBB55_2640
; %bb.2621:
	v_cmp_gt_i16_sdwa s[10:11], v2, v6 src0_sel:BYTE_0 src1_sel:DWORD
	s_and_b64 vcc, exec, s[10:11]
	s_cbranch_vccz .LBB55_2629
; %bb.2622:
	v_cvt_f32_f16_e32 v6, v4
	s_mov_b32 s2, 0x47800000
	v_mov_b32_e32 v13, 0x80
	v_and_b32_e32 v7, 0x7fffffff, v6
	v_cmp_gt_u32_e32 vcc, s2, v7
	s_and_saveexec_b64 s[2:3], vcc
	s_cbranch_execz .LBB55_2628
; %bb.2623:
	s_mov_b32 s10, 0x37ffffff
	v_cmp_lt_u32_e32 vcc, s10, v7
	s_mov_b64 s[10:11], 0
                                        ; implicit-def: $vgpr7
	s_and_saveexec_b64 s[14:15], vcc
	s_xor_b64 s[14:15], exec, s[14:15]
	s_cbranch_execz .LBB55_2715
; %bb.2624:
	v_bfe_u32 v7, v6, 21, 1
	s_mov_b32 s13, 0x88fffff
	v_add3_u32 v7, v6, v7, s13
	s_mov_b64 s[10:11], exec
	v_lshrrev_b32_e32 v7, 21, v7
	s_or_saveexec_b64 s[14:15], s[14:15]
                                        ; implicit-def: $sgpr13
	s_xor_b64 exec, exec, s[14:15]
	s_cbranch_execnz .LBB55_2716
.LBB55_2625:
	s_or_b64 exec, exec, s[14:15]
	v_mov_b32_e32 v13, s13
	s_and_saveexec_b64 s[14:15], s[10:11]
.LBB55_2626:
	v_lshrrev_b32_e32 v6, 24, v6
	s_movk_i32 s10, 0x80
	v_and_or_b32 v13, v6, s10, v7
.LBB55_2627:
	s_or_b64 exec, exec, s[14:15]
.LBB55_2628:
	s_or_b64 exec, exec, s[2:3]
	s_mov_b64 s[2:3], 0
	global_store_byte v[0:1], v13, off
.LBB55_2629:
	s_and_b64 vcc, exec, s[2:3]
	s_cbranch_vccz .LBB55_2639
; %bb.2630:
	v_cvt_f32_f16_e32 v6, v4
	s_mov_b32 s2, 0x43f00000
                                        ; implicit-def: $vgpr7
	v_and_b32_e32 v13, 0x7fffffff, v6
	v_cmp_gt_u32_e32 vcc, s2, v13
	s_and_saveexec_b64 s[2:3], vcc
	s_xor_b64 s[2:3], exec, s[2:3]
	s_cbranch_execz .LBB55_2636
; %bb.2631:
	s_mov_b32 s10, 0x3c7fffff
	v_cmp_lt_u32_e32 vcc, s10, v13
                                        ; implicit-def: $vgpr7
	s_and_saveexec_b64 s[10:11], vcc
	s_xor_b64 s[10:11], exec, s[10:11]
; %bb.2632:
	v_bfe_u32 v7, v6, 20, 1
	s_mov_b32 s13, 0x407ffff
	v_add3_u32 v7, v6, v7, s13
	v_lshrrev_b32_e32 v13, 20, v7
	v_and_b32_e32 v7, 0xff00000, v7
	s_mov_b32 s13, 0x7f00000
	v_mov_b32_e32 v14, 0x7e
	v_cmp_ne_u32_e32 vcc, s13, v7
	v_cndmask_b32_e32 v7, v14, v13, vcc
; %bb.2633:
	s_andn2_saveexec_b64 s[10:11], s[10:11]
; %bb.2634:
	s_mov_b32 s13, 0x46800000
	v_add_f32_e64 v7, |v6|, s13
; %bb.2635:
	s_or_b64 exec, exec, s[10:11]
                                        ; implicit-def: $vgpr13
.LBB55_2636:
	s_andn2_saveexec_b64 s[2:3], s[2:3]
; %bb.2637:
	s_mov_b32 s10, 0x7f800000
	v_mov_b32_e32 v7, 0x7e
	v_mov_b32_e32 v14, 0x7f
	v_cmp_lt_u32_e32 vcc, s10, v13
	v_cndmask_b32_e32 v7, v7, v14, vcc
; %bb.2638:
	s_or_b64 exec, exec, s[2:3]
	v_lshrrev_b32_e32 v6, 24, v6
	s_movk_i32 s2, 0x80
	v_and_or_b32 v6, v6, s2, v7
	global_store_byte v[0:1], v6, off
.LBB55_2639:
	s_mov_b64 s[2:3], 0
.LBB55_2640:
	s_andn2_b64 vcc, exec, s[2:3]
	s_cbranch_vccnz .LBB55_2650
; %bb.2641:
	v_cvt_f32_f16_e32 v6, v4
	s_mov_b32 s2, 0x47800000
                                        ; implicit-def: $vgpr7
	v_and_b32_e32 v13, 0x7fffffff, v6
	v_cmp_gt_u32_e32 vcc, s2, v13
	s_and_saveexec_b64 s[2:3], vcc
	s_xor_b64 s[2:3], exec, s[2:3]
	s_cbranch_execz .LBB55_2647
; %bb.2642:
	s_mov_b32 s10, 0x387fffff
	v_cmp_lt_u32_e32 vcc, s10, v13
                                        ; implicit-def: $vgpr7
	s_and_saveexec_b64 s[10:11], vcc
	s_xor_b64 s[10:11], exec, s[10:11]
; %bb.2643:
	v_bfe_u32 v7, v6, 21, 1
	s_mov_b32 s13, 0x80fffff
	v_add3_u32 v7, v6, v7, s13
	v_lshrrev_b32_e32 v7, 21, v7
; %bb.2644:
	s_andn2_saveexec_b64 s[10:11], s[10:11]
; %bb.2645:
	s_mov_b32 s13, 0x43000000
	v_add_f32_e64 v7, |v6|, s13
; %bb.2646:
	s_or_b64 exec, exec, s[10:11]
                                        ; implicit-def: $vgpr13
.LBB55_2647:
	s_andn2_saveexec_b64 s[2:3], s[2:3]
; %bb.2648:
	s_mov_b32 s10, 0x7f800000
	v_mov_b32_e32 v7, 0x7c
	v_mov_b32_e32 v14, 0x7f
	v_cmp_lt_u32_e32 vcc, s10, v13
	v_cndmask_b32_e32 v7, v7, v14, vcc
; %bb.2649:
	s_or_b64 exec, exec, s[2:3]
	v_lshrrev_b32_e32 v6, 24, v6
	s_movk_i32 s2, 0x80
	v_and_or_b32 v6, v6, s2, v7
	global_store_byte v[0:1], v6, off
.LBB55_2650:
	s_mov_b64 s[2:3], 0
	s_mov_b64 s[10:11], -1
.LBB55_2651:
	s_andn2_b64 vcc, exec, s[2:3]
	s_mov_b64 s[2:3], 0
	s_cbranch_vccnz .LBB55_2658
; %bb.2652:
	v_mov_b32_e32 v6, 14
	v_cmp_gt_i16_sdwa s[2:3], v2, v6 src0_sel:BYTE_0 src1_sel:DWORD
	s_mov_b64 s[14:15], -1
	s_and_b64 vcc, exec, s[2:3]
	s_cbranch_vccz .LBB55_2656
; %bb.2653:
	v_mov_b32_e32 v6, 15
	v_cmp_eq_u16_sdwa s[2:3], v2, v6 src0_sel:BYTE_0 src1_sel:DWORD
	s_mov_b64 s[0:1], -1
	s_and_b64 vcc, exec, s[2:3]
	s_cbranch_vccz .LBB55_2655
; %bb.2654:
	v_cvt_f32_f16_e32 v6, v4
	s_movk_i32 s0, 0x7fff
	v_mov_b32_e32 v7, 0x7fc0
	v_cmp_o_f16_e32 vcc, v4, v4
	v_bfe_u32 v13, v6, 16, 1
	v_add3_u32 v6, v6, v13, s0
	v_lshrrev_b32_e32 v6, 16, v6
	v_cndmask_b32_e32 v6, v7, v6, vcc
	global_store_short v[0:1], v6, off
	s_mov_b64 s[0:1], 0
	s_mov_b64 s[10:11], -1
.LBB55_2655:
	s_mov_b64 s[14:15], 0
.LBB55_2656:
	s_mov_b64 s[2:3], 0
	s_and_b64 vcc, exec, s[14:15]
	s_cbranch_vccz .LBB55_2658
; %bb.2657:
	v_mov_b32_e32 v6, 11
	v_cmp_ne_u16_sdwa s[0:1], v2, v6 src0_sel:BYTE_0 src1_sel:DWORD
	s_mov_b64 s[2:3], -1
.LBB55_2658:
	s_and_b64 vcc, exec, s[0:1]
	s_cbranch_vccnz .LBB55_2714
; %bb.2659:
	s_andn2_b64 vcc, exec, s[2:3]
	s_cbranch_vccnz .LBB55_2661
.LBB55_2660:
	v_and_b32_e32 v6, 0x7fff, v4
	v_cmp_ne_u16_e32 vcc, 0, v6
	v_cndmask_b32_e64 v6, 0, 1, vcc
	s_mov_b64 s[10:11], -1
	global_store_byte v[0:1], v6, off
.LBB55_2661:
	s_mov_b64 s[0:1], 0
.LBB55_2662:
	s_and_b64 vcc, exec, s[0:1]
	s_cbranch_vccz .LBB55_2701
; %bb.2663:
	v_mov_b32_e32 v6, 5
	v_cmp_lt_i16_sdwa s[2:3], v2, v6 src0_sel:BYTE_0 src1_sel:DWORD
	s_mov_b64 s[0:1], -1
	s_and_b64 vcc, exec, s[2:3]
	s_cbranch_vccnz .LBB55_2684
; %bb.2664:
	v_mov_b32_e32 v6, 8
	v_cmp_lt_i16_sdwa s[2:3], v2, v6 src0_sel:BYTE_0 src1_sel:DWORD
	s_and_b64 vcc, exec, s[2:3]
	s_cbranch_vccnz .LBB55_2674
; %bb.2665:
	v_mov_b32_e32 v6, 9
	v_cmp_lt_i16_sdwa s[2:3], v2, v6 src0_sel:BYTE_0 src1_sel:DWORD
	s_and_b64 vcc, exec, s[2:3]
	s_cbranch_vccnz .LBB55_2671
; %bb.2666:
	v_cmp_gt_i16_sdwa s[2:3], v2, v6 src0_sel:BYTE_0 src1_sel:DWORD
	s_and_b64 vcc, exec, s[2:3]
	s_cbranch_vccz .LBB55_2668
; %bb.2667:
	v_cvt_f32_f16_e32 v6, v4
	v_mov_b32_e32 v16, 0
	v_mov_b32_e32 v17, v16
	s_mov_b64 s[0:1], 0
	v_cvt_f64_f32_e32 v[14:15], v6
	global_store_dwordx4 v[0:1], v[14:17], off
.LBB55_2668:
	s_andn2_b64 vcc, exec, s[0:1]
	s_cbranch_vccnz .LBB55_2670
; %bb.2669:
	v_cvt_f32_f16_e32 v6, v4
	v_mov_b32_e32 v7, 0
	global_store_dwordx2 v[0:1], v[6:7], off
.LBB55_2670:
	s_mov_b64 s[0:1], 0
.LBB55_2671:
	s_andn2_b64 vcc, exec, s[0:1]
	s_cbranch_vccnz .LBB55_2673
; %bb.2672:
	v_and_b32_e32 v6, 0xffff, v4
	global_store_dword v[0:1], v6, off
.LBB55_2673:
	s_mov_b64 s[0:1], 0
.LBB55_2674:
	s_andn2_b64 vcc, exec, s[0:1]
	s_cbranch_vccnz .LBB55_2683
; %bb.2675:
	v_mov_b32_e32 v6, 6
	v_cmp_lt_i16_sdwa s[2:3], v2, v6 src0_sel:BYTE_0 src1_sel:DWORD
	s_mov_b64 s[0:1], -1
	s_and_b64 vcc, exec, s[2:3]
	s_cbranch_vccnz .LBB55_2681
; %bb.2676:
	v_cmp_gt_i16_sdwa s[2:3], v2, v6 src0_sel:BYTE_0 src1_sel:DWORD
	s_and_b64 vcc, exec, s[2:3]
	s_cbranch_vccz .LBB55_2678
; %bb.2677:
	v_cvt_f32_f16_e32 v6, v4
	s_mov_b64 s[0:1], 0
	v_cvt_f64_f32_e32 v[6:7], v6
	global_store_dwordx2 v[0:1], v[6:7], off
.LBB55_2678:
	s_andn2_b64 vcc, exec, s[0:1]
	s_cbranch_vccnz .LBB55_2680
; %bb.2679:
	v_cvt_f32_f16_e32 v6, v4
	global_store_dword v[0:1], v6, off
.LBB55_2680:
	s_mov_b64 s[0:1], 0
.LBB55_2681:
	s_andn2_b64 vcc, exec, s[0:1]
	s_cbranch_vccnz .LBB55_2683
; %bb.2682:
	global_store_short v[0:1], v4, off
.LBB55_2683:
	s_mov_b64 s[0:1], 0
.LBB55_2684:
	s_andn2_b64 vcc, exec, s[0:1]
	s_cbranch_vccnz .LBB55_2700
; %bb.2685:
	v_mov_b32_e32 v6, 2
	v_cmp_lt_i16_sdwa s[2:3], v2, v6 src0_sel:BYTE_0 src1_sel:DWORD
	s_mov_b64 s[0:1], -1
	s_and_b64 vcc, exec, s[2:3]
	s_cbranch_vccnz .LBB55_2695
; %bb.2686:
	v_mov_b32_e32 v6, 3
	v_cmp_lt_i16_sdwa s[2:3], v2, v6 src0_sel:BYTE_0 src1_sel:DWORD
	s_and_b64 vcc, exec, s[2:3]
	s_cbranch_vccnz .LBB55_2692
; %bb.2687:
	v_cmp_gt_i16_sdwa s[2:3], v2, v6 src0_sel:BYTE_0 src1_sel:DWORD
	s_and_b64 vcc, exec, s[2:3]
	s_cbranch_vccz .LBB55_2689
; %bb.2688:
	v_cvt_f32_f16_e32 v6, v4
	s_mov_b64 s[0:1], 0
	v_cvt_i32_f32_e32 v6, v6
	v_ashrrev_i32_e32 v7, 31, v6
	global_store_dwordx2 v[0:1], v[6:7], off
.LBB55_2689:
	s_andn2_b64 vcc, exec, s[0:1]
	s_cbranch_vccnz .LBB55_2691
; %bb.2690:
	v_cvt_f32_f16_e32 v6, v4
	v_cvt_i32_f32_e32 v6, v6
	global_store_dword v[0:1], v6, off
.LBB55_2691:
	s_mov_b64 s[0:1], 0
.LBB55_2692:
	s_andn2_b64 vcc, exec, s[0:1]
	s_cbranch_vccnz .LBB55_2694
; %bb.2693:
	v_cvt_i16_f16_e32 v6, v4
	global_store_short v[0:1], v6, off
.LBB55_2694:
	s_mov_b64 s[0:1], 0
.LBB55_2695:
	s_andn2_b64 vcc, exec, s[0:1]
	s_cbranch_vccnz .LBB55_2700
; %bb.2696:
	v_mov_b32_e32 v6, 0
	v_cmp_gt_i16_sdwa s[2:3], v2, v6 src0_sel:BYTE_0 src1_sel:DWORD
	s_mov_b64 s[0:1], -1
	s_and_b64 vcc, exec, s[2:3]
	s_cbranch_vccz .LBB55_2698
; %bb.2697:
	v_cvt_i16_f16_e32 v6, v4
	global_store_byte v[0:1], v6, off
	s_mov_b64 s[0:1], 0
.LBB55_2698:
	s_andn2_b64 vcc, exec, s[0:1]
	s_cbranch_vccnz .LBB55_2700
; %bb.2699:
	v_cvt_f32_f16_e32 v4, v4
	v_cvt_i32_f32_e32 v4, v4
	global_store_byte v[0:1], v4, off
.LBB55_2700:
	s_mov_b64 s[10:11], -1
.LBB55_2701:
	s_andn2_b64 vcc, exec, s[10:11]
	s_cbranch_vccnz .LBB55_3032
; %bb.2702:
	s_lshl_b32 s16, s12, 7
	v_mul_f16_e32 v0, v8, v9
	v_cmp_lt_f16_e32 vcc, 0, v8
	v_add_u32_e32 v3, s16, v3
	v_cndmask_b32_e32 v4, v0, v8, vcc
	v_ashrrev_i32_e32 v1, 31, v3
	v_mov_b32_e32 v6, s9
	v_add_co_u32_e32 v0, vcc, s8, v3
	v_addc_co_u32_e32 v1, vcc, v6, v1, vcc
	v_mov_b32_e32 v6, 11
	v_cmp_lt_i16_sdwa s[0:1], v2, v6 src0_sel:BYTE_0 src1_sel:DWORD
	s_and_b64 vcc, exec, s[0:1]
	s_cbranch_vccnz .LBB55_2709
; %bb.2703:
	v_mov_b32_e32 v6, 25
	v_cmp_gt_i16_sdwa s[0:1], v2, v6 src0_sel:BYTE_0 src1_sel:DWORD
	s_mov_b64 s[12:13], -1
	s_mov_b64 s[2:3], 0
	s_and_b64 vcc, exec, s[0:1]
	s_mov_b64 s[10:11], 0
	s_mov_b64 s[0:1], 0
	s_cbranch_vccz .LBB55_2745
; %bb.2704:
	v_mov_b32_e32 v6, 28
	v_cmp_gt_i16_sdwa s[0:1], v2, v6 src0_sel:BYTE_0 src1_sel:DWORD
	s_and_b64 vcc, exec, s[0:1]
	s_cbranch_vccz .LBB55_2710
; %bb.2705:
	v_mov_b32_e32 v6, 43
	v_cmp_gt_i16_sdwa s[0:1], v2, v6 src0_sel:BYTE_0 src1_sel:DWORD
	s_and_b64 vcc, exec, s[0:1]
	;; [unrolled: 5-line block ×3, first 2 shown]
	s_cbranch_vccz .LBB55_2717
; %bb.2707:
	v_mov_b32_e32 v6, 46
	v_cmp_eq_u16_sdwa s[10:11], v2, v6 src0_sel:BYTE_0 src1_sel:DWORD
	s_mov_b64 s[0:1], -1
	s_mov_b64 s[12:13], 0
	s_and_b64 vcc, exec, s[10:11]
	s_mov_b64 s[10:11], 0
	s_cbranch_vccz .LBB55_2718
; %bb.2708:
	v_cvt_f32_f16_e32 v6, v4
	s_movk_i32 s0, 0x7fff
	v_mov_b32_e32 v7, 0x7fc0
	v_cmp_o_f16_e32 vcc, v4, v4
	v_bfe_u32 v8, v6, 16, 1
	v_add3_u32 v6, v6, v8, s0
	v_lshrrev_b32_e32 v6, 16, v6
	v_cndmask_b32_e32 v6, v7, v6, vcc
	global_store_dword v[0:1], v6, off
	s_mov_b64 s[0:1], 0
	s_mov_b64 s[10:11], -1
	s_branch .LBB55_2718
.LBB55_2709:
	s_mov_b64 s[0:1], -1
	s_mov_b64 s[10:11], 0
	s_branch .LBB55_2789
.LBB55_2710:
	s_mov_b64 s[0:1], 0
	s_branch .LBB55_2728
.LBB55_2711:
	s_or_saveexec_b64 s[16:17], s[16:17]
                                        ; implicit-def: $sgpr13
	s_xor_b64 exec, exec, s[16:17]
	s_cbranch_execz .LBB55_2612
.LBB55_2712:
	s_mov_b32 s13, 0x46000000
	v_add_f32_e64 v7, |v6|, s13
	v_and_b32_e32 v7, 0xff, v7
	v_cmp_ne_u32_e32 vcc, 0, v7
	s_andn2_b64 s[14:15], s[14:15], exec
	s_and_b64 s[20:21], vcc, exec
	s_mov_b32 s13, 0
	s_or_b64 s[14:15], s[14:15], s[20:21]
	s_or_b64 exec, exec, s[16:17]
	v_mov_b32_e32 v13, s13
	s_and_saveexec_b64 s[16:17], s[14:15]
	s_cbranch_execnz .LBB55_2613
	s_branch .LBB55_2614
.LBB55_2713:
	s_mov_b64 s[0:1], 0
	s_branch .LBB55_2724
.LBB55_2714:
	s_trap 2
	s_or_b64 s[18:19], s[18:19], exec
	s_cbranch_execz .LBB55_2660
	s_branch .LBB55_2661
.LBB55_2715:
	s_or_saveexec_b64 s[14:15], s[14:15]
                                        ; implicit-def: $sgpr13
	s_xor_b64 exec, exec, s[14:15]
	s_cbranch_execz .LBB55_2625
.LBB55_2716:
	s_mov_b32 s13, 0x42800000
	v_add_f32_e64 v7, |v6|, s13
	v_and_b32_e32 v7, 0xff, v7
	v_cmp_ne_u32_e32 vcc, 0, v7
	s_andn2_b64 s[10:11], s[10:11], exec
	s_and_b64 s[16:17], vcc, exec
	s_mov_b32 s13, 0
	s_or_b64 s[10:11], s[10:11], s[16:17]
	s_or_b64 exec, exec, s[14:15]
	v_mov_b32_e32 v13, s13
	s_and_saveexec_b64 s[14:15], s[10:11]
	s_cbranch_execnz .LBB55_2626
	s_branch .LBB55_2627
.LBB55_2717:
	s_mov_b64 s[0:1], 0
.LBB55_2718:
	s_and_b64 vcc, exec, s[12:13]
	s_cbranch_vccz .LBB55_2723
; %bb.2719:
	v_mov_b32_e32 v6, 44
	v_cmp_eq_u16_sdwa s[12:13], v2, v6 src0_sel:BYTE_0 src1_sel:DWORD
	s_mov_b64 s[0:1], -1
	s_and_b64 vcc, exec, s[12:13]
	s_cbranch_vccz .LBB55_2723
; %bb.2720:
	v_cvt_f32_f16_e32 v6, v4
	s_movk_i32 s0, 0xff
	v_mov_b32_e32 v8, 0xff
	v_bfe_u32 v7, v6, 23, 8
	v_cmp_ne_u32_e32 vcc, s0, v7
	s_and_saveexec_b64 s[10:11], vcc
; %bb.2721:
	s_mov_b32 s0, 0x3fffff
	v_lshrrev_b32_e32 v8, 23, v6
	v_and_b32_e32 v9, 0x400000, v6
	v_and_or_b32 v6, v6, s0, v7
	v_cmp_ne_u32_e32 vcc, 0, v9
	v_cmp_ne_u32_e64 s[0:1], 0, v6
	s_and_b64 s[0:1], vcc, s[0:1]
	v_cndmask_b32_e64 v6, 0, 1, s[0:1]
	v_add_u32_e32 v8, v8, v6
; %bb.2722:
	s_or_b64 exec, exec, s[10:11]
	s_mov_b64 s[0:1], 0
	s_mov_b64 s[10:11], -1
	global_store_byte v[0:1], v8, off
.LBB55_2723:
	s_mov_b64 s[12:13], 0
.LBB55_2724:
	s_and_b64 vcc, exec, s[12:13]
	s_cbranch_vccz .LBB55_2727
; %bb.2725:
	v_mov_b32_e32 v6, 29
	v_cmp_eq_u16_sdwa s[12:13], v2, v6 src0_sel:BYTE_0 src1_sel:DWORD
	s_mov_b64 s[0:1], -1
	s_and_b64 vcc, exec, s[12:13]
	s_cbranch_vccz .LBB55_2727
; %bb.2726:
	v_cvt_f32_f16_e32 v6, v4
	v_mov_b32_e32 v7, 0
	s_mov_b64 s[0:1], 0
	s_mov_b64 s[10:11], -1
	v_cvt_u32_f32_e32 v6, v6
	s_mov_b64 s[12:13], 0
	global_store_dwordx2 v[0:1], v[6:7], off
	s_branch .LBB55_2728
.LBB55_2727:
	s_mov_b64 s[12:13], 0
.LBB55_2728:
	s_and_b64 vcc, exec, s[12:13]
	s_cbranch_vccz .LBB55_2744
; %bb.2729:
	v_mov_b32_e32 v6, 27
	v_cmp_lt_i16_sdwa s[12:13], v2, v6 src0_sel:BYTE_0 src1_sel:DWORD
	s_mov_b64 s[10:11], -1
	s_and_b64 vcc, exec, s[12:13]
	s_cbranch_vccnz .LBB55_2735
; %bb.2730:
	v_cmp_gt_i16_sdwa s[12:13], v2, v6 src0_sel:BYTE_0 src1_sel:DWORD
	s_and_b64 vcc, exec, s[12:13]
	s_cbranch_vccz .LBB55_2732
; %bb.2731:
	v_cvt_f32_f16_e32 v6, v4
	s_mov_b64 s[10:11], 0
	v_cvt_u32_f32_e32 v6, v6
	global_store_dword v[0:1], v6, off
.LBB55_2732:
	s_andn2_b64 vcc, exec, s[10:11]
	s_cbranch_vccnz .LBB55_2734
; %bb.2733:
	v_cvt_u16_f16_e32 v6, v4
	global_store_short v[0:1], v6, off
.LBB55_2734:
	s_mov_b64 s[10:11], 0
.LBB55_2735:
	s_andn2_b64 vcc, exec, s[10:11]
	s_cbranch_vccnz .LBB55_2743
; %bb.2736:
	v_cvt_f32_f16_e32 v6, v4
	s_mov_b32 s10, 0x43800000
	v_mov_b32_e32 v8, 0x80
	v_and_b32_e32 v7, 0x7fffffff, v6
	v_cmp_gt_u32_e32 vcc, s10, v7
	s_and_saveexec_b64 s[10:11], vcc
	s_cbranch_execz .LBB55_2742
; %bb.2737:
	s_mov_b32 s12, 0x3bffffff
	v_cmp_lt_u32_e32 vcc, s12, v7
	s_mov_b64 s[12:13], 0
                                        ; implicit-def: $vgpr7
	s_and_saveexec_b64 s[14:15], vcc
	s_xor_b64 s[14:15], exec, s[14:15]
	s_cbranch_execz .LBB55_2838
; %bb.2738:
	v_bfe_u32 v7, v6, 20, 1
	s_mov_b32 s17, 0x487ffff
	v_add3_u32 v7, v6, v7, s17
	s_mov_b64 s[12:13], exec
	v_lshrrev_b32_e32 v7, 20, v7
	s_or_saveexec_b64 s[14:15], s[14:15]
                                        ; implicit-def: $sgpr17
	s_xor_b64 exec, exec, s[14:15]
	s_cbranch_execnz .LBB55_2839
.LBB55_2739:
	s_or_b64 exec, exec, s[14:15]
	v_mov_b32_e32 v8, s17
	s_and_saveexec_b64 s[14:15], s[12:13]
.LBB55_2740:
	v_lshrrev_b32_e32 v6, 24, v6
	s_movk_i32 s12, 0x80
	v_and_or_b32 v8, v6, s12, v7
.LBB55_2741:
	s_or_b64 exec, exec, s[14:15]
.LBB55_2742:
	s_or_b64 exec, exec, s[10:11]
	global_store_byte v[0:1], v8, off
.LBB55_2743:
	s_mov_b64 s[10:11], -1
.LBB55_2744:
	s_mov_b64 s[12:13], 0
.LBB55_2745:
	s_and_b64 vcc, exec, s[12:13]
	s_cbranch_vccz .LBB55_2785
; %bb.2746:
	v_mov_b32_e32 v6, 22
	v_cmp_gt_i16_sdwa s[12:13], v2, v6 src0_sel:BYTE_0 src1_sel:DWORD
	s_mov_b64 s[2:3], -1
	s_and_b64 vcc, exec, s[12:13]
	s_cbranch_vccz .LBB55_2778
; %bb.2747:
	v_mov_b32_e32 v6, 24
	v_cmp_lt_i16_sdwa s[10:11], v2, v6 src0_sel:BYTE_0 src1_sel:DWORD
	s_and_b64 vcc, exec, s[10:11]
	s_cbranch_vccnz .LBB55_2767
; %bb.2748:
	v_cmp_gt_i16_sdwa s[10:11], v2, v6 src0_sel:BYTE_0 src1_sel:DWORD
	s_and_b64 vcc, exec, s[10:11]
	s_cbranch_vccz .LBB55_2756
; %bb.2749:
	v_cvt_f32_f16_e32 v6, v4
	s_mov_b32 s2, 0x47800000
	v_mov_b32_e32 v8, 0x80
	v_and_b32_e32 v7, 0x7fffffff, v6
	v_cmp_gt_u32_e32 vcc, s2, v7
	s_and_saveexec_b64 s[2:3], vcc
	s_cbranch_execz .LBB55_2755
; %bb.2750:
	s_mov_b32 s10, 0x37ffffff
	v_cmp_lt_u32_e32 vcc, s10, v7
	s_mov_b64 s[10:11], 0
                                        ; implicit-def: $vgpr7
	s_and_saveexec_b64 s[12:13], vcc
	s_xor_b64 s[12:13], exec, s[12:13]
	s_cbranch_execz .LBB55_2842
; %bb.2751:
	v_bfe_u32 v7, v6, 21, 1
	s_mov_b32 s14, 0x88fffff
	v_add3_u32 v7, v6, v7, s14
	s_mov_b64 s[10:11], exec
	v_lshrrev_b32_e32 v7, 21, v7
	s_or_saveexec_b64 s[12:13], s[12:13]
                                        ; implicit-def: $sgpr14
	s_xor_b64 exec, exec, s[12:13]
	s_cbranch_execnz .LBB55_2843
.LBB55_2752:
	s_or_b64 exec, exec, s[12:13]
	v_mov_b32_e32 v8, s14
	s_and_saveexec_b64 s[12:13], s[10:11]
.LBB55_2753:
	v_lshrrev_b32_e32 v6, 24, v6
	s_movk_i32 s10, 0x80
	v_and_or_b32 v8, v6, s10, v7
.LBB55_2754:
	s_or_b64 exec, exec, s[12:13]
.LBB55_2755:
	s_or_b64 exec, exec, s[2:3]
	s_mov_b64 s[2:3], 0
	global_store_byte v[0:1], v8, off
.LBB55_2756:
	s_and_b64 vcc, exec, s[2:3]
	s_cbranch_vccz .LBB55_2766
; %bb.2757:
	v_cvt_f32_f16_e32 v6, v4
	s_mov_b32 s2, 0x43f00000
                                        ; implicit-def: $vgpr7
	v_and_b32_e32 v8, 0x7fffffff, v6
	v_cmp_gt_u32_e32 vcc, s2, v8
	s_and_saveexec_b64 s[2:3], vcc
	s_xor_b64 s[2:3], exec, s[2:3]
	s_cbranch_execz .LBB55_2763
; %bb.2758:
	s_mov_b32 s10, 0x3c7fffff
	v_cmp_lt_u32_e32 vcc, s10, v8
                                        ; implicit-def: $vgpr7
	s_and_saveexec_b64 s[10:11], vcc
	s_xor_b64 s[10:11], exec, s[10:11]
; %bb.2759:
	v_bfe_u32 v7, v6, 20, 1
	s_mov_b32 s12, 0x407ffff
	v_add3_u32 v7, v6, v7, s12
	v_lshrrev_b32_e32 v8, 20, v7
	v_and_b32_e32 v7, 0xff00000, v7
	s_mov_b32 s12, 0x7f00000
	v_mov_b32_e32 v9, 0x7e
	v_cmp_ne_u32_e32 vcc, s12, v7
	v_cndmask_b32_e32 v7, v9, v8, vcc
; %bb.2760:
	s_andn2_saveexec_b64 s[10:11], s[10:11]
; %bb.2761:
	s_mov_b32 s12, 0x46800000
	v_add_f32_e64 v7, |v6|, s12
; %bb.2762:
	s_or_b64 exec, exec, s[10:11]
                                        ; implicit-def: $vgpr8
.LBB55_2763:
	s_andn2_saveexec_b64 s[2:3], s[2:3]
; %bb.2764:
	s_mov_b32 s10, 0x7f800000
	v_mov_b32_e32 v7, 0x7e
	v_mov_b32_e32 v9, 0x7f
	v_cmp_lt_u32_e32 vcc, s10, v8
	v_cndmask_b32_e32 v7, v7, v9, vcc
; %bb.2765:
	s_or_b64 exec, exec, s[2:3]
	v_lshrrev_b32_e32 v6, 24, v6
	s_movk_i32 s2, 0x80
	v_and_or_b32 v6, v6, s2, v7
	global_store_byte v[0:1], v6, off
.LBB55_2766:
	s_mov_b64 s[2:3], 0
.LBB55_2767:
	s_andn2_b64 vcc, exec, s[2:3]
	s_cbranch_vccnz .LBB55_2777
; %bb.2768:
	v_cvt_f32_f16_e32 v6, v4
	s_mov_b32 s2, 0x47800000
                                        ; implicit-def: $vgpr7
	v_and_b32_e32 v8, 0x7fffffff, v6
	v_cmp_gt_u32_e32 vcc, s2, v8
	s_and_saveexec_b64 s[2:3], vcc
	s_xor_b64 s[2:3], exec, s[2:3]
	s_cbranch_execz .LBB55_2774
; %bb.2769:
	s_mov_b32 s10, 0x387fffff
	v_cmp_lt_u32_e32 vcc, s10, v8
                                        ; implicit-def: $vgpr7
	s_and_saveexec_b64 s[10:11], vcc
	s_xor_b64 s[10:11], exec, s[10:11]
; %bb.2770:
	v_bfe_u32 v7, v6, 21, 1
	s_mov_b32 s12, 0x80fffff
	v_add3_u32 v7, v6, v7, s12
	v_lshrrev_b32_e32 v7, 21, v7
; %bb.2771:
	s_andn2_saveexec_b64 s[10:11], s[10:11]
; %bb.2772:
	s_mov_b32 s12, 0x43000000
	v_add_f32_e64 v7, |v6|, s12
; %bb.2773:
	s_or_b64 exec, exec, s[10:11]
                                        ; implicit-def: $vgpr8
.LBB55_2774:
	s_andn2_saveexec_b64 s[2:3], s[2:3]
; %bb.2775:
	s_mov_b32 s10, 0x7f800000
	v_mov_b32_e32 v7, 0x7c
	v_mov_b32_e32 v9, 0x7f
	v_cmp_lt_u32_e32 vcc, s10, v8
	v_cndmask_b32_e32 v7, v7, v9, vcc
; %bb.2776:
	s_or_b64 exec, exec, s[2:3]
	v_lshrrev_b32_e32 v6, 24, v6
	s_movk_i32 s2, 0x80
	v_and_or_b32 v6, v6, s2, v7
	global_store_byte v[0:1], v6, off
.LBB55_2777:
	s_mov_b64 s[2:3], 0
	s_mov_b64 s[10:11], -1
.LBB55_2778:
	s_andn2_b64 vcc, exec, s[2:3]
	s_mov_b64 s[2:3], 0
	s_cbranch_vccnz .LBB55_2785
; %bb.2779:
	v_mov_b32_e32 v6, 14
	v_cmp_gt_i16_sdwa s[2:3], v2, v6 src0_sel:BYTE_0 src1_sel:DWORD
	s_mov_b64 s[12:13], -1
	s_and_b64 vcc, exec, s[2:3]
	s_cbranch_vccz .LBB55_2783
; %bb.2780:
	v_mov_b32_e32 v6, 15
	v_cmp_eq_u16_sdwa s[2:3], v2, v6 src0_sel:BYTE_0 src1_sel:DWORD
	s_mov_b64 s[0:1], -1
	s_and_b64 vcc, exec, s[2:3]
	s_cbranch_vccz .LBB55_2782
; %bb.2781:
	v_cvt_f32_f16_e32 v6, v4
	s_movk_i32 s0, 0x7fff
	v_mov_b32_e32 v7, 0x7fc0
	v_cmp_o_f16_e32 vcc, v4, v4
	v_bfe_u32 v8, v6, 16, 1
	v_add3_u32 v6, v6, v8, s0
	v_lshrrev_b32_e32 v6, 16, v6
	v_cndmask_b32_e32 v6, v7, v6, vcc
	global_store_short v[0:1], v6, off
	s_mov_b64 s[0:1], 0
	s_mov_b64 s[10:11], -1
.LBB55_2782:
	s_mov_b64 s[12:13], 0
.LBB55_2783:
	s_mov_b64 s[2:3], 0
	s_and_b64 vcc, exec, s[12:13]
	s_cbranch_vccz .LBB55_2785
; %bb.2784:
	v_mov_b32_e32 v6, 11
	v_cmp_ne_u16_sdwa s[0:1], v2, v6 src0_sel:BYTE_0 src1_sel:DWORD
	s_mov_b64 s[2:3], -1
.LBB55_2785:
	s_and_b64 vcc, exec, s[0:1]
	s_cbranch_vccnz .LBB55_2841
; %bb.2786:
	s_andn2_b64 vcc, exec, s[2:3]
	s_cbranch_vccnz .LBB55_2788
.LBB55_2787:
	v_and_b32_e32 v6, 0x7fff, v4
	v_cmp_ne_u16_e32 vcc, 0, v6
	v_cndmask_b32_e64 v6, 0, 1, vcc
	s_mov_b64 s[10:11], -1
	global_store_byte v[0:1], v6, off
.LBB55_2788:
	s_mov_b64 s[0:1], 0
.LBB55_2789:
	s_and_b64 vcc, exec, s[0:1]
	s_cbranch_vccz .LBB55_2828
; %bb.2790:
	v_mov_b32_e32 v6, 5
	v_cmp_lt_i16_sdwa s[2:3], v2, v6 src0_sel:BYTE_0 src1_sel:DWORD
	s_mov_b64 s[0:1], -1
	s_and_b64 vcc, exec, s[2:3]
	s_cbranch_vccnz .LBB55_2811
; %bb.2791:
	v_mov_b32_e32 v6, 8
	v_cmp_lt_i16_sdwa s[2:3], v2, v6 src0_sel:BYTE_0 src1_sel:DWORD
	s_and_b64 vcc, exec, s[2:3]
	s_cbranch_vccnz .LBB55_2801
; %bb.2792:
	v_mov_b32_e32 v6, 9
	v_cmp_lt_i16_sdwa s[2:3], v2, v6 src0_sel:BYTE_0 src1_sel:DWORD
	s_and_b64 vcc, exec, s[2:3]
	s_cbranch_vccnz .LBB55_2798
; %bb.2793:
	v_cmp_gt_i16_sdwa s[2:3], v2, v6 src0_sel:BYTE_0 src1_sel:DWORD
	s_and_b64 vcc, exec, s[2:3]
	s_cbranch_vccz .LBB55_2795
; %bb.2794:
	v_cvt_f32_f16_e32 v6, v4
	v_mov_b32_e32 v8, 0
	v_mov_b32_e32 v9, v8
	s_mov_b64 s[0:1], 0
	v_cvt_f64_f32_e32 v[6:7], v6
	global_store_dwordx4 v[0:1], v[6:9], off
.LBB55_2795:
	s_andn2_b64 vcc, exec, s[0:1]
	s_cbranch_vccnz .LBB55_2797
; %bb.2796:
	v_cvt_f32_f16_e32 v6, v4
	v_mov_b32_e32 v7, 0
	global_store_dwordx2 v[0:1], v[6:7], off
.LBB55_2797:
	s_mov_b64 s[0:1], 0
.LBB55_2798:
	s_andn2_b64 vcc, exec, s[0:1]
	s_cbranch_vccnz .LBB55_2800
; %bb.2799:
	v_and_b32_e32 v6, 0xffff, v4
	global_store_dword v[0:1], v6, off
.LBB55_2800:
	s_mov_b64 s[0:1], 0
.LBB55_2801:
	s_andn2_b64 vcc, exec, s[0:1]
	s_cbranch_vccnz .LBB55_2810
; %bb.2802:
	v_mov_b32_e32 v6, 6
	v_cmp_lt_i16_sdwa s[2:3], v2, v6 src0_sel:BYTE_0 src1_sel:DWORD
	s_mov_b64 s[0:1], -1
	s_and_b64 vcc, exec, s[2:3]
	s_cbranch_vccnz .LBB55_2808
; %bb.2803:
	v_cmp_gt_i16_sdwa s[2:3], v2, v6 src0_sel:BYTE_0 src1_sel:DWORD
	s_and_b64 vcc, exec, s[2:3]
	s_cbranch_vccz .LBB55_2805
; %bb.2804:
	v_cvt_f32_f16_e32 v6, v4
	s_mov_b64 s[0:1], 0
	v_cvt_f64_f32_e32 v[6:7], v6
	global_store_dwordx2 v[0:1], v[6:7], off
.LBB55_2805:
	s_andn2_b64 vcc, exec, s[0:1]
	s_cbranch_vccnz .LBB55_2807
; %bb.2806:
	v_cvt_f32_f16_e32 v6, v4
	global_store_dword v[0:1], v6, off
.LBB55_2807:
	s_mov_b64 s[0:1], 0
.LBB55_2808:
	s_andn2_b64 vcc, exec, s[0:1]
	s_cbranch_vccnz .LBB55_2810
; %bb.2809:
	global_store_short v[0:1], v4, off
.LBB55_2810:
	s_mov_b64 s[0:1], 0
.LBB55_2811:
	s_andn2_b64 vcc, exec, s[0:1]
	s_cbranch_vccnz .LBB55_2827
; %bb.2812:
	v_mov_b32_e32 v6, 2
	v_cmp_lt_i16_sdwa s[2:3], v2, v6 src0_sel:BYTE_0 src1_sel:DWORD
	s_mov_b64 s[0:1], -1
	s_and_b64 vcc, exec, s[2:3]
	s_cbranch_vccnz .LBB55_2822
; %bb.2813:
	v_mov_b32_e32 v6, 3
	v_cmp_lt_i16_sdwa s[2:3], v2, v6 src0_sel:BYTE_0 src1_sel:DWORD
	s_and_b64 vcc, exec, s[2:3]
	s_cbranch_vccnz .LBB55_2819
; %bb.2814:
	v_cmp_gt_i16_sdwa s[2:3], v2, v6 src0_sel:BYTE_0 src1_sel:DWORD
	s_and_b64 vcc, exec, s[2:3]
	s_cbranch_vccz .LBB55_2816
; %bb.2815:
	v_cvt_f32_f16_e32 v6, v4
	s_mov_b64 s[0:1], 0
	v_cvt_i32_f32_e32 v6, v6
	v_ashrrev_i32_e32 v7, 31, v6
	global_store_dwordx2 v[0:1], v[6:7], off
.LBB55_2816:
	s_andn2_b64 vcc, exec, s[0:1]
	s_cbranch_vccnz .LBB55_2818
; %bb.2817:
	v_cvt_f32_f16_e32 v6, v4
	v_cvt_i32_f32_e32 v6, v6
	global_store_dword v[0:1], v6, off
.LBB55_2818:
	s_mov_b64 s[0:1], 0
.LBB55_2819:
	s_andn2_b64 vcc, exec, s[0:1]
	s_cbranch_vccnz .LBB55_2821
; %bb.2820:
	v_cvt_i16_f16_e32 v6, v4
	global_store_short v[0:1], v6, off
.LBB55_2821:
	s_mov_b64 s[0:1], 0
.LBB55_2822:
	s_andn2_b64 vcc, exec, s[0:1]
	s_cbranch_vccnz .LBB55_2827
; %bb.2823:
	v_mov_b32_e32 v6, 0
	v_cmp_gt_i16_sdwa s[2:3], v2, v6 src0_sel:BYTE_0 src1_sel:DWORD
	s_mov_b64 s[0:1], -1
	s_and_b64 vcc, exec, s[2:3]
	s_cbranch_vccz .LBB55_2825
; %bb.2824:
	v_cvt_i16_f16_e32 v6, v4
	global_store_byte v[0:1], v6, off
	s_mov_b64 s[0:1], 0
.LBB55_2825:
	s_andn2_b64 vcc, exec, s[0:1]
	s_cbranch_vccnz .LBB55_2827
; %bb.2826:
	v_cvt_f32_f16_e32 v4, v4
	v_cvt_i32_f32_e32 v4, v4
	global_store_byte v[0:1], v4, off
.LBB55_2827:
	s_mov_b64 s[10:11], -1
.LBB55_2828:
	s_andn2_b64 vcc, exec, s[10:11]
	s_cbranch_vccnz .LBB55_3032
; %bb.2829:
	v_mul_f16_e32 v0, v10, v11
	v_cmp_lt_f16_e32 vcc, 0, v10
	v_add_u32_e32 v3, s16, v3
	v_cndmask_b32_e32 v4, v0, v10, vcc
	v_ashrrev_i32_e32 v1, 31, v3
	v_mov_b32_e32 v6, s9
	v_add_co_u32_e32 v0, vcc, s8, v3
	v_addc_co_u32_e32 v1, vcc, v6, v1, vcc
	v_mov_b32_e32 v6, 11
	v_cmp_lt_i16_sdwa s[0:1], v2, v6 src0_sel:BYTE_0 src1_sel:DWORD
	s_and_b64 vcc, exec, s[0:1]
	s_cbranch_vccnz .LBB55_2836
; %bb.2830:
	v_mov_b32_e32 v6, 25
	v_cmp_gt_i16_sdwa s[0:1], v2, v6 src0_sel:BYTE_0 src1_sel:DWORD
	s_mov_b64 s[12:13], -1
	s_mov_b64 s[2:3], 0
	s_and_b64 vcc, exec, s[0:1]
	s_mov_b64 s[10:11], 0
	s_mov_b64 s[0:1], 0
	s_cbranch_vccz .LBB55_2872
; %bb.2831:
	v_mov_b32_e32 v6, 28
	v_cmp_gt_i16_sdwa s[0:1], v2, v6 src0_sel:BYTE_0 src1_sel:DWORD
	s_and_b64 vcc, exec, s[0:1]
	s_cbranch_vccz .LBB55_2837
; %bb.2832:
	v_mov_b32_e32 v6, 43
	v_cmp_gt_i16_sdwa s[0:1], v2, v6 src0_sel:BYTE_0 src1_sel:DWORD
	s_and_b64 vcc, exec, s[0:1]
	;; [unrolled: 5-line block ×3, first 2 shown]
	s_cbranch_vccz .LBB55_2844
; %bb.2834:
	v_mov_b32_e32 v6, 46
	v_cmp_eq_u16_sdwa s[10:11], v2, v6 src0_sel:BYTE_0 src1_sel:DWORD
	s_mov_b64 s[0:1], -1
	s_mov_b64 s[12:13], 0
	s_and_b64 vcc, exec, s[10:11]
	s_mov_b64 s[10:11], 0
	s_cbranch_vccz .LBB55_2845
; %bb.2835:
	v_cvt_f32_f16_e32 v6, v4
	s_movk_i32 s0, 0x7fff
	v_mov_b32_e32 v7, 0x7fc0
	v_cmp_o_f16_e32 vcc, v4, v4
	v_bfe_u32 v8, v6, 16, 1
	v_add3_u32 v6, v6, v8, s0
	v_lshrrev_b32_e32 v6, 16, v6
	v_cndmask_b32_e32 v6, v7, v6, vcc
	global_store_dword v[0:1], v6, off
	s_mov_b64 s[0:1], 0
	s_mov_b64 s[10:11], -1
	s_branch .LBB55_2845
.LBB55_2836:
	s_mov_b64 s[0:1], -1
	s_mov_b64 s[10:11], 0
	s_branch .LBB55_2916
.LBB55_2837:
	s_mov_b64 s[0:1], 0
	s_branch .LBB55_2855
.LBB55_2838:
	s_or_saveexec_b64 s[14:15], s[14:15]
                                        ; implicit-def: $sgpr17
	s_xor_b64 exec, exec, s[14:15]
	s_cbranch_execz .LBB55_2739
.LBB55_2839:
	s_mov_b32 s17, 0x46000000
	v_add_f32_e64 v7, |v6|, s17
	v_and_b32_e32 v7, 0xff, v7
	v_cmp_ne_u32_e32 vcc, 0, v7
	s_andn2_b64 s[12:13], s[12:13], exec
	s_and_b64 s[20:21], vcc, exec
	s_mov_b32 s17, 0
	s_or_b64 s[12:13], s[12:13], s[20:21]
	s_or_b64 exec, exec, s[14:15]
	v_mov_b32_e32 v8, s17
	s_and_saveexec_b64 s[14:15], s[12:13]
	s_cbranch_execnz .LBB55_2740
	s_branch .LBB55_2741
.LBB55_2840:
	s_mov_b64 s[0:1], 0
	s_branch .LBB55_2851
.LBB55_2841:
	s_trap 2
	s_or_b64 s[18:19], s[18:19], exec
	s_cbranch_execz .LBB55_2787
	s_branch .LBB55_2788
.LBB55_2842:
	s_or_saveexec_b64 s[12:13], s[12:13]
                                        ; implicit-def: $sgpr14
	s_xor_b64 exec, exec, s[12:13]
	s_cbranch_execz .LBB55_2752
.LBB55_2843:
	s_mov_b32 s14, 0x42800000
	v_add_f32_e64 v7, |v6|, s14
	v_and_b32_e32 v7, 0xff, v7
	v_cmp_ne_u32_e32 vcc, 0, v7
	s_andn2_b64 s[10:11], s[10:11], exec
	s_and_b64 s[20:21], vcc, exec
	s_mov_b32 s14, 0
	s_or_b64 s[10:11], s[10:11], s[20:21]
	s_or_b64 exec, exec, s[12:13]
	v_mov_b32_e32 v8, s14
	s_and_saveexec_b64 s[12:13], s[10:11]
	s_cbranch_execnz .LBB55_2753
	s_branch .LBB55_2754
.LBB55_2844:
	s_mov_b64 s[0:1], 0
.LBB55_2845:
	s_and_b64 vcc, exec, s[12:13]
	s_cbranch_vccz .LBB55_2850
; %bb.2846:
	v_mov_b32_e32 v6, 44
	v_cmp_eq_u16_sdwa s[12:13], v2, v6 src0_sel:BYTE_0 src1_sel:DWORD
	s_mov_b64 s[0:1], -1
	s_and_b64 vcc, exec, s[12:13]
	s_cbranch_vccz .LBB55_2850
; %bb.2847:
	v_cvt_f32_f16_e32 v6, v4
	s_movk_i32 s0, 0xff
	v_mov_b32_e32 v8, 0xff
	v_bfe_u32 v7, v6, 23, 8
	v_cmp_ne_u32_e32 vcc, s0, v7
	s_and_saveexec_b64 s[10:11], vcc
; %bb.2848:
	s_mov_b32 s0, 0x3fffff
	v_lshrrev_b32_e32 v8, 23, v6
	v_and_b32_e32 v9, 0x400000, v6
	v_and_or_b32 v6, v6, s0, v7
	v_cmp_ne_u32_e32 vcc, 0, v9
	v_cmp_ne_u32_e64 s[0:1], 0, v6
	s_and_b64 s[0:1], vcc, s[0:1]
	v_cndmask_b32_e64 v6, 0, 1, s[0:1]
	v_add_u32_e32 v8, v8, v6
; %bb.2849:
	s_or_b64 exec, exec, s[10:11]
	s_mov_b64 s[0:1], 0
	s_mov_b64 s[10:11], -1
	global_store_byte v[0:1], v8, off
.LBB55_2850:
	s_mov_b64 s[12:13], 0
.LBB55_2851:
	s_and_b64 vcc, exec, s[12:13]
	s_cbranch_vccz .LBB55_2854
; %bb.2852:
	v_mov_b32_e32 v6, 29
	v_cmp_eq_u16_sdwa s[12:13], v2, v6 src0_sel:BYTE_0 src1_sel:DWORD
	s_mov_b64 s[0:1], -1
	s_and_b64 vcc, exec, s[12:13]
	s_cbranch_vccz .LBB55_2854
; %bb.2853:
	v_cvt_f32_f16_e32 v6, v4
	v_mov_b32_e32 v7, 0
	s_mov_b64 s[0:1], 0
	s_mov_b64 s[10:11], -1
	v_cvt_u32_f32_e32 v6, v6
	s_mov_b64 s[12:13], 0
	global_store_dwordx2 v[0:1], v[6:7], off
	s_branch .LBB55_2855
.LBB55_2854:
	s_mov_b64 s[12:13], 0
.LBB55_2855:
	s_and_b64 vcc, exec, s[12:13]
	s_cbranch_vccz .LBB55_2871
; %bb.2856:
	v_mov_b32_e32 v6, 27
	v_cmp_lt_i16_sdwa s[12:13], v2, v6 src0_sel:BYTE_0 src1_sel:DWORD
	s_mov_b64 s[10:11], -1
	s_and_b64 vcc, exec, s[12:13]
	s_cbranch_vccnz .LBB55_2862
; %bb.2857:
	v_cmp_gt_i16_sdwa s[12:13], v2, v6 src0_sel:BYTE_0 src1_sel:DWORD
	s_and_b64 vcc, exec, s[12:13]
	s_cbranch_vccz .LBB55_2859
; %bb.2858:
	v_cvt_f32_f16_e32 v6, v4
	s_mov_b64 s[10:11], 0
	v_cvt_u32_f32_e32 v6, v6
	global_store_dword v[0:1], v6, off
.LBB55_2859:
	s_andn2_b64 vcc, exec, s[10:11]
	s_cbranch_vccnz .LBB55_2861
; %bb.2860:
	v_cvt_u16_f16_e32 v6, v4
	global_store_short v[0:1], v6, off
.LBB55_2861:
	s_mov_b64 s[10:11], 0
.LBB55_2862:
	s_andn2_b64 vcc, exec, s[10:11]
	s_cbranch_vccnz .LBB55_2870
; %bb.2863:
	v_cvt_f32_f16_e32 v6, v4
	s_mov_b32 s10, 0x43800000
	v_mov_b32_e32 v8, 0x80
	v_and_b32_e32 v7, 0x7fffffff, v6
	v_cmp_gt_u32_e32 vcc, s10, v7
	s_and_saveexec_b64 s[10:11], vcc
	s_cbranch_execz .LBB55_2869
; %bb.2864:
	s_mov_b32 s12, 0x3bffffff
	v_cmp_lt_u32_e32 vcc, s12, v7
	s_mov_b64 s[12:13], 0
                                        ; implicit-def: $vgpr7
	s_and_saveexec_b64 s[14:15], vcc
	s_xor_b64 s[14:15], exec, s[14:15]
	s_cbranch_execz .LBB55_3078
; %bb.2865:
	v_bfe_u32 v7, v6, 20, 1
	s_mov_b32 s17, 0x487ffff
	v_add3_u32 v7, v6, v7, s17
	s_mov_b64 s[12:13], exec
	v_lshrrev_b32_e32 v7, 20, v7
	s_or_saveexec_b64 s[14:15], s[14:15]
                                        ; implicit-def: $sgpr17
	s_xor_b64 exec, exec, s[14:15]
	s_cbranch_execnz .LBB55_3079
.LBB55_2866:
	s_or_b64 exec, exec, s[14:15]
	v_mov_b32_e32 v8, s17
	s_and_saveexec_b64 s[14:15], s[12:13]
.LBB55_2867:
	v_lshrrev_b32_e32 v6, 24, v6
	s_movk_i32 s12, 0x80
	v_and_or_b32 v8, v6, s12, v7
.LBB55_2868:
	s_or_b64 exec, exec, s[14:15]
.LBB55_2869:
	s_or_b64 exec, exec, s[10:11]
	global_store_byte v[0:1], v8, off
.LBB55_2870:
	s_mov_b64 s[10:11], -1
.LBB55_2871:
	s_mov_b64 s[12:13], 0
.LBB55_2872:
	s_and_b64 vcc, exec, s[12:13]
	s_cbranch_vccz .LBB55_2912
; %bb.2873:
	v_mov_b32_e32 v6, 22
	v_cmp_gt_i16_sdwa s[12:13], v2, v6 src0_sel:BYTE_0 src1_sel:DWORD
	s_mov_b64 s[2:3], -1
	s_and_b64 vcc, exec, s[12:13]
	s_cbranch_vccz .LBB55_2905
; %bb.2874:
	v_mov_b32_e32 v6, 24
	v_cmp_lt_i16_sdwa s[10:11], v2, v6 src0_sel:BYTE_0 src1_sel:DWORD
	s_and_b64 vcc, exec, s[10:11]
	s_cbranch_vccnz .LBB55_2894
; %bb.2875:
	v_cmp_gt_i16_sdwa s[10:11], v2, v6 src0_sel:BYTE_0 src1_sel:DWORD
	s_and_b64 vcc, exec, s[10:11]
	s_cbranch_vccz .LBB55_2883
; %bb.2876:
	v_cvt_f32_f16_e32 v6, v4
	s_mov_b32 s2, 0x47800000
	v_mov_b32_e32 v8, 0x80
	v_and_b32_e32 v7, 0x7fffffff, v6
	v_cmp_gt_u32_e32 vcc, s2, v7
	s_and_saveexec_b64 s[2:3], vcc
	s_cbranch_execz .LBB55_2882
; %bb.2877:
	s_mov_b32 s10, 0x37ffffff
	v_cmp_lt_u32_e32 vcc, s10, v7
	s_mov_b64 s[10:11], 0
                                        ; implicit-def: $vgpr7
	s_and_saveexec_b64 s[12:13], vcc
	s_xor_b64 s[12:13], exec, s[12:13]
	s_cbranch_execz .LBB55_3081
; %bb.2878:
	v_bfe_u32 v7, v6, 21, 1
	s_mov_b32 s14, 0x88fffff
	v_add3_u32 v7, v6, v7, s14
	s_mov_b64 s[10:11], exec
	v_lshrrev_b32_e32 v7, 21, v7
	s_or_saveexec_b64 s[12:13], s[12:13]
                                        ; implicit-def: $sgpr14
	s_xor_b64 exec, exec, s[12:13]
	s_cbranch_execnz .LBB55_3082
.LBB55_2879:
	s_or_b64 exec, exec, s[12:13]
	v_mov_b32_e32 v8, s14
	s_and_saveexec_b64 s[12:13], s[10:11]
.LBB55_2880:
	v_lshrrev_b32_e32 v6, 24, v6
	s_movk_i32 s10, 0x80
	v_and_or_b32 v8, v6, s10, v7
.LBB55_2881:
	s_or_b64 exec, exec, s[12:13]
.LBB55_2882:
	s_or_b64 exec, exec, s[2:3]
	s_mov_b64 s[2:3], 0
	global_store_byte v[0:1], v8, off
.LBB55_2883:
	s_and_b64 vcc, exec, s[2:3]
	s_cbranch_vccz .LBB55_2893
; %bb.2884:
	v_cvt_f32_f16_e32 v6, v4
	s_mov_b32 s2, 0x43f00000
                                        ; implicit-def: $vgpr7
	v_and_b32_e32 v8, 0x7fffffff, v6
	v_cmp_gt_u32_e32 vcc, s2, v8
	s_and_saveexec_b64 s[2:3], vcc
	s_xor_b64 s[2:3], exec, s[2:3]
	s_cbranch_execz .LBB55_2890
; %bb.2885:
	s_mov_b32 s10, 0x3c7fffff
	v_cmp_lt_u32_e32 vcc, s10, v8
                                        ; implicit-def: $vgpr7
	s_and_saveexec_b64 s[10:11], vcc
	s_xor_b64 s[10:11], exec, s[10:11]
; %bb.2886:
	v_bfe_u32 v7, v6, 20, 1
	s_mov_b32 s12, 0x407ffff
	v_add3_u32 v7, v6, v7, s12
	v_lshrrev_b32_e32 v8, 20, v7
	v_and_b32_e32 v7, 0xff00000, v7
	s_mov_b32 s12, 0x7f00000
	v_mov_b32_e32 v9, 0x7e
	v_cmp_ne_u32_e32 vcc, s12, v7
	v_cndmask_b32_e32 v7, v9, v8, vcc
; %bb.2887:
	s_andn2_saveexec_b64 s[10:11], s[10:11]
; %bb.2888:
	s_mov_b32 s12, 0x46800000
	v_add_f32_e64 v7, |v6|, s12
; %bb.2889:
	s_or_b64 exec, exec, s[10:11]
                                        ; implicit-def: $vgpr8
.LBB55_2890:
	s_andn2_saveexec_b64 s[2:3], s[2:3]
; %bb.2891:
	s_mov_b32 s10, 0x7f800000
	v_mov_b32_e32 v7, 0x7e
	v_mov_b32_e32 v9, 0x7f
	v_cmp_lt_u32_e32 vcc, s10, v8
	v_cndmask_b32_e32 v7, v7, v9, vcc
; %bb.2892:
	s_or_b64 exec, exec, s[2:3]
	v_lshrrev_b32_e32 v6, 24, v6
	s_movk_i32 s2, 0x80
	v_and_or_b32 v6, v6, s2, v7
	global_store_byte v[0:1], v6, off
.LBB55_2893:
	s_mov_b64 s[2:3], 0
.LBB55_2894:
	s_andn2_b64 vcc, exec, s[2:3]
	s_cbranch_vccnz .LBB55_2904
; %bb.2895:
	v_cvt_f32_f16_e32 v6, v4
	s_mov_b32 s2, 0x47800000
                                        ; implicit-def: $vgpr7
	v_and_b32_e32 v8, 0x7fffffff, v6
	v_cmp_gt_u32_e32 vcc, s2, v8
	s_and_saveexec_b64 s[2:3], vcc
	s_xor_b64 s[2:3], exec, s[2:3]
	s_cbranch_execz .LBB55_2901
; %bb.2896:
	s_mov_b32 s10, 0x387fffff
	v_cmp_lt_u32_e32 vcc, s10, v8
                                        ; implicit-def: $vgpr7
	s_and_saveexec_b64 s[10:11], vcc
	s_xor_b64 s[10:11], exec, s[10:11]
; %bb.2897:
	v_bfe_u32 v7, v6, 21, 1
	s_mov_b32 s12, 0x80fffff
	v_add3_u32 v7, v6, v7, s12
	v_lshrrev_b32_e32 v7, 21, v7
; %bb.2898:
	s_andn2_saveexec_b64 s[10:11], s[10:11]
; %bb.2899:
	s_mov_b32 s12, 0x43000000
	v_add_f32_e64 v7, |v6|, s12
; %bb.2900:
	s_or_b64 exec, exec, s[10:11]
                                        ; implicit-def: $vgpr8
.LBB55_2901:
	s_andn2_saveexec_b64 s[2:3], s[2:3]
; %bb.2902:
	s_mov_b32 s10, 0x7f800000
	v_mov_b32_e32 v7, 0x7c
	v_mov_b32_e32 v9, 0x7f
	v_cmp_lt_u32_e32 vcc, s10, v8
	v_cndmask_b32_e32 v7, v7, v9, vcc
; %bb.2903:
	s_or_b64 exec, exec, s[2:3]
	v_lshrrev_b32_e32 v6, 24, v6
	s_movk_i32 s2, 0x80
	v_and_or_b32 v6, v6, s2, v7
	global_store_byte v[0:1], v6, off
.LBB55_2904:
	s_mov_b64 s[2:3], 0
	s_mov_b64 s[10:11], -1
.LBB55_2905:
	s_andn2_b64 vcc, exec, s[2:3]
	s_mov_b64 s[2:3], 0
	s_cbranch_vccnz .LBB55_2912
; %bb.2906:
	v_mov_b32_e32 v6, 14
	v_cmp_gt_i16_sdwa s[2:3], v2, v6 src0_sel:BYTE_0 src1_sel:DWORD
	s_mov_b64 s[12:13], -1
	s_and_b64 vcc, exec, s[2:3]
	s_cbranch_vccz .LBB55_2910
; %bb.2907:
	v_mov_b32_e32 v6, 15
	v_cmp_eq_u16_sdwa s[2:3], v2, v6 src0_sel:BYTE_0 src1_sel:DWORD
	s_mov_b64 s[0:1], -1
	s_and_b64 vcc, exec, s[2:3]
	s_cbranch_vccz .LBB55_2909
; %bb.2908:
	v_cvt_f32_f16_e32 v6, v4
	s_movk_i32 s0, 0x7fff
	v_mov_b32_e32 v7, 0x7fc0
	v_cmp_o_f16_e32 vcc, v4, v4
	v_bfe_u32 v8, v6, 16, 1
	v_add3_u32 v6, v6, v8, s0
	v_lshrrev_b32_e32 v6, 16, v6
	v_cndmask_b32_e32 v6, v7, v6, vcc
	global_store_short v[0:1], v6, off
	s_mov_b64 s[0:1], 0
	s_mov_b64 s[10:11], -1
.LBB55_2909:
	s_mov_b64 s[12:13], 0
.LBB55_2910:
	s_mov_b64 s[2:3], 0
	s_and_b64 vcc, exec, s[12:13]
	s_cbranch_vccz .LBB55_2912
; %bb.2911:
	v_mov_b32_e32 v6, 11
	v_cmp_ne_u16_sdwa s[0:1], v2, v6 src0_sel:BYTE_0 src1_sel:DWORD
	s_mov_b64 s[2:3], -1
.LBB55_2912:
	s_and_b64 vcc, exec, s[0:1]
	s_cbranch_vccnz .LBB55_3080
; %bb.2913:
	s_andn2_b64 vcc, exec, s[2:3]
	s_cbranch_vccnz .LBB55_2915
.LBB55_2914:
	v_and_b32_e32 v6, 0x7fff, v4
	v_cmp_ne_u16_e32 vcc, 0, v6
	v_cndmask_b32_e64 v6, 0, 1, vcc
	s_mov_b64 s[10:11], -1
	global_store_byte v[0:1], v6, off
.LBB55_2915:
	s_mov_b64 s[0:1], 0
.LBB55_2916:
	s_and_b64 vcc, exec, s[0:1]
	s_cbranch_vccz .LBB55_2955
; %bb.2917:
	v_mov_b32_e32 v6, 5
	v_cmp_lt_i16_sdwa s[2:3], v2, v6 src0_sel:BYTE_0 src1_sel:DWORD
	s_mov_b64 s[0:1], -1
	s_and_b64 vcc, exec, s[2:3]
	s_cbranch_vccnz .LBB55_2938
; %bb.2918:
	v_mov_b32_e32 v6, 8
	v_cmp_lt_i16_sdwa s[2:3], v2, v6 src0_sel:BYTE_0 src1_sel:DWORD
	s_and_b64 vcc, exec, s[2:3]
	s_cbranch_vccnz .LBB55_2928
; %bb.2919:
	v_mov_b32_e32 v6, 9
	v_cmp_lt_i16_sdwa s[2:3], v2, v6 src0_sel:BYTE_0 src1_sel:DWORD
	s_and_b64 vcc, exec, s[2:3]
	s_cbranch_vccnz .LBB55_2925
; %bb.2920:
	v_cmp_gt_i16_sdwa s[2:3], v2, v6 src0_sel:BYTE_0 src1_sel:DWORD
	s_and_b64 vcc, exec, s[2:3]
	s_cbranch_vccz .LBB55_2922
; %bb.2921:
	v_cvt_f32_f16_e32 v6, v4
	v_mov_b32_e32 v8, 0
	v_mov_b32_e32 v9, v8
	s_mov_b64 s[0:1], 0
	v_cvt_f64_f32_e32 v[6:7], v6
	global_store_dwordx4 v[0:1], v[6:9], off
.LBB55_2922:
	s_andn2_b64 vcc, exec, s[0:1]
	s_cbranch_vccnz .LBB55_2924
; %bb.2923:
	v_cvt_f32_f16_e32 v6, v4
	v_mov_b32_e32 v7, 0
	global_store_dwordx2 v[0:1], v[6:7], off
.LBB55_2924:
	s_mov_b64 s[0:1], 0
.LBB55_2925:
	s_andn2_b64 vcc, exec, s[0:1]
	s_cbranch_vccnz .LBB55_2927
; %bb.2926:
	v_and_b32_e32 v6, 0xffff, v4
	global_store_dword v[0:1], v6, off
.LBB55_2927:
	s_mov_b64 s[0:1], 0
.LBB55_2928:
	s_andn2_b64 vcc, exec, s[0:1]
	s_cbranch_vccnz .LBB55_2937
; %bb.2929:
	v_mov_b32_e32 v6, 6
	v_cmp_lt_i16_sdwa s[2:3], v2, v6 src0_sel:BYTE_0 src1_sel:DWORD
	s_mov_b64 s[0:1], -1
	s_and_b64 vcc, exec, s[2:3]
	s_cbranch_vccnz .LBB55_2935
; %bb.2930:
	v_cmp_gt_i16_sdwa s[2:3], v2, v6 src0_sel:BYTE_0 src1_sel:DWORD
	s_and_b64 vcc, exec, s[2:3]
	s_cbranch_vccz .LBB55_2932
; %bb.2931:
	v_cvt_f32_f16_e32 v6, v4
	s_mov_b64 s[0:1], 0
	v_cvt_f64_f32_e32 v[6:7], v6
	global_store_dwordx2 v[0:1], v[6:7], off
.LBB55_2932:
	s_andn2_b64 vcc, exec, s[0:1]
	s_cbranch_vccnz .LBB55_2934
; %bb.2933:
	v_cvt_f32_f16_e32 v6, v4
	global_store_dword v[0:1], v6, off
.LBB55_2934:
	s_mov_b64 s[0:1], 0
.LBB55_2935:
	s_andn2_b64 vcc, exec, s[0:1]
	s_cbranch_vccnz .LBB55_2937
; %bb.2936:
	global_store_short v[0:1], v4, off
.LBB55_2937:
	s_mov_b64 s[0:1], 0
.LBB55_2938:
	s_andn2_b64 vcc, exec, s[0:1]
	s_cbranch_vccnz .LBB55_2954
; %bb.2939:
	v_mov_b32_e32 v6, 2
	v_cmp_lt_i16_sdwa s[2:3], v2, v6 src0_sel:BYTE_0 src1_sel:DWORD
	s_mov_b64 s[0:1], -1
	s_and_b64 vcc, exec, s[2:3]
	s_cbranch_vccnz .LBB55_2949
; %bb.2940:
	v_mov_b32_e32 v6, 3
	v_cmp_lt_i16_sdwa s[2:3], v2, v6 src0_sel:BYTE_0 src1_sel:DWORD
	s_and_b64 vcc, exec, s[2:3]
	s_cbranch_vccnz .LBB55_2946
; %bb.2941:
	v_cmp_gt_i16_sdwa s[2:3], v2, v6 src0_sel:BYTE_0 src1_sel:DWORD
	s_and_b64 vcc, exec, s[2:3]
	s_cbranch_vccz .LBB55_2943
; %bb.2942:
	v_cvt_f32_f16_e32 v6, v4
	s_mov_b64 s[0:1], 0
	v_cvt_i32_f32_e32 v6, v6
	v_ashrrev_i32_e32 v7, 31, v6
	global_store_dwordx2 v[0:1], v[6:7], off
.LBB55_2943:
	s_andn2_b64 vcc, exec, s[0:1]
	s_cbranch_vccnz .LBB55_2945
; %bb.2944:
	v_cvt_f32_f16_e32 v6, v4
	v_cvt_i32_f32_e32 v6, v6
	global_store_dword v[0:1], v6, off
.LBB55_2945:
	s_mov_b64 s[0:1], 0
.LBB55_2946:
	s_andn2_b64 vcc, exec, s[0:1]
	s_cbranch_vccnz .LBB55_2948
; %bb.2947:
	v_cvt_i16_f16_e32 v6, v4
	global_store_short v[0:1], v6, off
.LBB55_2948:
	s_mov_b64 s[0:1], 0
.LBB55_2949:
	s_andn2_b64 vcc, exec, s[0:1]
	s_cbranch_vccnz .LBB55_2954
; %bb.2950:
	v_mov_b32_e32 v6, 0
	v_cmp_gt_i16_sdwa s[2:3], v2, v6 src0_sel:BYTE_0 src1_sel:DWORD
	s_mov_b64 s[0:1], -1
	s_and_b64 vcc, exec, s[2:3]
	s_cbranch_vccz .LBB55_2952
; %bb.2951:
	v_cvt_i16_f16_e32 v6, v4
	global_store_byte v[0:1], v6, off
	s_mov_b64 s[0:1], 0
.LBB55_2952:
	s_andn2_b64 vcc, exec, s[0:1]
	s_cbranch_vccnz .LBB55_2954
; %bb.2953:
	v_cvt_f32_f16_e32 v4, v4
	v_cvt_i32_f32_e32 v4, v4
	global_store_byte v[0:1], v4, off
.LBB55_2954:
	s_mov_b64 s[10:11], -1
.LBB55_2955:
	s_andn2_b64 vcc, exec, s[10:11]
	s_cbranch_vccnz .LBB55_3032
; %bb.2956:
	v_mul_f16_e32 v0, v12, v5
	v_cmp_lt_f16_e32 vcc, 0, v12
	v_cndmask_b32_e32 v6, v0, v12, vcc
	v_add_u32_e32 v0, s16, v3
	v_ashrrev_i32_e32 v1, 31, v0
	v_mov_b32_e32 v3, s9
	v_add_co_u32_e32 v0, vcc, s8, v0
	v_addc_co_u32_e32 v1, vcc, v3, v1, vcc
	v_and_b32_e32 v7, 0xff, v2
	v_cmp_gt_i16_e32 vcc, 11, v7
	s_cbranch_vccnz .LBB55_3077
; %bb.2957:
	v_cmp_lt_i16_e32 vcc, 25, v7
	s_mov_b64 s[8:9], -1
	s_mov_b64 s[2:3], 0
	s_mov_b64 s[0:1], 0
	s_cbranch_vccz .LBB55_2990
; %bb.2958:
	v_cmp_lt_i16_e32 vcc, 28, v7
	s_cbranch_vccz .LBB55_2974
; %bb.2959:
	v_cmp_lt_i16_e32 vcc, 43, v7
	;; [unrolled: 3-line block ×3, first 2 shown]
	s_cbranch_vccz .LBB55_2964
; %bb.2961:
	v_cmp_eq_u16_e32 vcc, 46, v7
	s_mov_b64 s[0:1], -1
	s_cbranch_vccz .LBB55_2963
; %bb.2962:
	v_cvt_f32_f16_e32 v2, v6
	s_movk_i32 s0, 0x7fff
	v_mov_b32_e32 v3, 0x7fc0
	v_cmp_o_f16_e32 vcc, v6, v6
	v_bfe_u32 v4, v2, 16, 1
	v_add3_u32 v2, v2, v4, s0
	v_lshrrev_b32_e32 v2, 16, v2
	v_cndmask_b32_e32 v2, v3, v2, vcc
	global_store_dword v[0:1], v2, off
	s_mov_b64 s[0:1], 0
.LBB55_2963:
	s_mov_b64 s[8:9], 0
.LBB55_2964:
	s_and_b64 vcc, exec, s[8:9]
	s_cbranch_vccz .LBB55_2969
; %bb.2965:
	v_cmp_eq_u16_e32 vcc, 44, v7
	s_mov_b64 s[0:1], -1
	s_cbranch_vccz .LBB55_2969
; %bb.2966:
	v_cvt_f32_f16_e32 v2, v6
	s_movk_i32 s0, 0xff
	v_mov_b32_e32 v4, 0xff
	v_bfe_u32 v3, v2, 23, 8
	v_cmp_ne_u32_e32 vcc, s0, v3
	s_and_saveexec_b64 s[8:9], vcc
; %bb.2967:
	s_mov_b32 s0, 0x3fffff
	v_lshrrev_b32_e32 v4, 23, v2
	v_and_b32_e32 v5, 0x400000, v2
	v_and_or_b32 v2, v2, s0, v3
	v_cmp_ne_u32_e32 vcc, 0, v5
	v_cmp_ne_u32_e64 s[0:1], 0, v2
	s_and_b64 s[0:1], vcc, s[0:1]
	v_cndmask_b32_e64 v2, 0, 1, s[0:1]
	v_add_u32_e32 v4, v4, v2
; %bb.2968:
	s_or_b64 exec, exec, s[8:9]
	s_mov_b64 s[0:1], 0
	global_store_byte v[0:1], v4, off
.LBB55_2969:
	s_mov_b64 s[8:9], 0
.LBB55_2970:
	s_and_b64 vcc, exec, s[8:9]
	s_cbranch_vccz .LBB55_2973
; %bb.2971:
	v_cmp_eq_u16_e32 vcc, 29, v7
	s_mov_b64 s[0:1], -1
	s_cbranch_vccz .LBB55_2973
; %bb.2972:
	v_cvt_f32_f16_e32 v2, v6
	v_mov_b32_e32 v3, 0
	s_mov_b64 s[0:1], 0
	v_cvt_u32_f32_e32 v2, v2
	global_store_dwordx2 v[0:1], v[2:3], off
.LBB55_2973:
	s_mov_b64 s[8:9], 0
.LBB55_2974:
	s_and_b64 vcc, exec, s[8:9]
	s_cbranch_vccz .LBB55_2989
; %bb.2975:
	v_cmp_gt_i16_e32 vcc, 27, v7
	s_mov_b64 s[8:9], -1
	s_cbranch_vccnz .LBB55_2981
; %bb.2976:
	v_cmp_lt_i16_e32 vcc, 27, v7
	s_cbranch_vccz .LBB55_2978
; %bb.2977:
	v_cvt_f32_f16_e32 v2, v6
	s_mov_b64 s[8:9], 0
	v_cvt_u32_f32_e32 v2, v2
	global_store_dword v[0:1], v2, off
.LBB55_2978:
	s_andn2_b64 vcc, exec, s[8:9]
	s_cbranch_vccnz .LBB55_2980
; %bb.2979:
	v_cvt_u16_f16_e32 v2, v6
	global_store_short v[0:1], v2, off
.LBB55_2980:
	s_mov_b64 s[8:9], 0
.LBB55_2981:
	s_andn2_b64 vcc, exec, s[8:9]
	s_cbranch_vccnz .LBB55_2989
; %bb.2982:
	v_cvt_f32_f16_e32 v2, v6
	s_mov_b32 s8, 0x43800000
	v_mov_b32_e32 v4, 0x80
	v_and_b32_e32 v3, 0x7fffffff, v2
	v_cmp_gt_u32_e32 vcc, s8, v3
	s_and_saveexec_b64 s[8:9], vcc
	s_cbranch_execz .LBB55_2988
; %bb.2983:
	s_mov_b32 s10, 0x3bffffff
	v_cmp_lt_u32_e32 vcc, s10, v3
	s_mov_b64 s[10:11], 0
                                        ; implicit-def: $vgpr3
	s_and_saveexec_b64 s[12:13], vcc
	s_xor_b64 s[12:13], exec, s[12:13]
	s_cbranch_execz .LBB55_3083
; %bb.2984:
	v_bfe_u32 v3, v2, 20, 1
	s_mov_b32 s14, 0x487ffff
	v_add3_u32 v3, v2, v3, s14
	s_mov_b64 s[10:11], exec
	v_lshrrev_b32_e32 v3, 20, v3
	s_or_saveexec_b64 s[12:13], s[12:13]
                                        ; implicit-def: $sgpr14
	s_xor_b64 exec, exec, s[12:13]
	s_cbranch_execnz .LBB55_3084
.LBB55_2985:
	s_or_b64 exec, exec, s[12:13]
	v_mov_b32_e32 v4, s14
	s_and_saveexec_b64 s[12:13], s[10:11]
.LBB55_2986:
	v_lshrrev_b32_e32 v2, 24, v2
	s_movk_i32 s10, 0x80
	v_and_or_b32 v4, v2, s10, v3
.LBB55_2987:
	s_or_b64 exec, exec, s[12:13]
.LBB55_2988:
	s_or_b64 exec, exec, s[8:9]
	global_store_byte v[0:1], v4, off
.LBB55_2989:
	s_mov_b64 s[8:9], 0
.LBB55_2990:
	s_and_b64 vcc, exec, s[8:9]
	s_cbranch_vccz .LBB55_3030
; %bb.2991:
	v_cmp_lt_i16_e32 vcc, 22, v7
	s_mov_b64 s[2:3], -1
	s_cbranch_vccz .LBB55_3023
; %bb.2992:
	v_cmp_gt_i16_e32 vcc, 24, v7
	s_cbranch_vccnz .LBB55_3012
; %bb.2993:
	v_cmp_lt_i16_e32 vcc, 24, v7
	s_cbranch_vccz .LBB55_3001
; %bb.2994:
	v_cvt_f32_f16_e32 v2, v6
	s_mov_b32 s2, 0x47800000
	v_mov_b32_e32 v4, 0x80
	v_and_b32_e32 v3, 0x7fffffff, v2
	v_cmp_gt_u32_e32 vcc, s2, v3
	s_and_saveexec_b64 s[2:3], vcc
	s_cbranch_execz .LBB55_3000
; %bb.2995:
	s_mov_b32 s8, 0x37ffffff
	v_cmp_lt_u32_e32 vcc, s8, v3
	s_mov_b64 s[8:9], 0
                                        ; implicit-def: $vgpr3
	s_and_saveexec_b64 s[10:11], vcc
	s_xor_b64 s[10:11], exec, s[10:11]
	s_cbranch_execz .LBB55_3086
; %bb.2996:
	v_bfe_u32 v3, v2, 21, 1
	s_mov_b32 s12, 0x88fffff
	v_add3_u32 v3, v2, v3, s12
	s_mov_b64 s[8:9], exec
	v_lshrrev_b32_e32 v3, 21, v3
	s_or_saveexec_b64 s[10:11], s[10:11]
                                        ; implicit-def: $sgpr12
	s_xor_b64 exec, exec, s[10:11]
	s_cbranch_execnz .LBB55_3087
.LBB55_2997:
	s_or_b64 exec, exec, s[10:11]
	v_mov_b32_e32 v4, s12
	s_and_saveexec_b64 s[10:11], s[8:9]
.LBB55_2998:
	v_lshrrev_b32_e32 v2, 24, v2
	s_movk_i32 s8, 0x80
	v_and_or_b32 v4, v2, s8, v3
.LBB55_2999:
	s_or_b64 exec, exec, s[10:11]
.LBB55_3000:
	s_or_b64 exec, exec, s[2:3]
	s_mov_b64 s[2:3], 0
	global_store_byte v[0:1], v4, off
.LBB55_3001:
	s_and_b64 vcc, exec, s[2:3]
	s_cbranch_vccz .LBB55_3011
; %bb.3002:
	v_cvt_f32_f16_e32 v2, v6
	s_mov_b32 s2, 0x43f00000
                                        ; implicit-def: $vgpr3
	v_and_b32_e32 v4, 0x7fffffff, v2
	v_cmp_gt_u32_e32 vcc, s2, v4
	s_and_saveexec_b64 s[2:3], vcc
	s_xor_b64 s[2:3], exec, s[2:3]
	s_cbranch_execz .LBB55_3008
; %bb.3003:
	s_mov_b32 s8, 0x3c7fffff
	v_cmp_lt_u32_e32 vcc, s8, v4
                                        ; implicit-def: $vgpr3
	s_and_saveexec_b64 s[8:9], vcc
	s_xor_b64 s[8:9], exec, s[8:9]
; %bb.3004:
	v_bfe_u32 v3, v2, 20, 1
	s_mov_b32 s10, 0x407ffff
	v_add3_u32 v3, v2, v3, s10
	v_lshrrev_b32_e32 v4, 20, v3
	v_and_b32_e32 v3, 0xff00000, v3
	s_mov_b32 s10, 0x7f00000
	v_mov_b32_e32 v5, 0x7e
	v_cmp_ne_u32_e32 vcc, s10, v3
	v_cndmask_b32_e32 v3, v5, v4, vcc
; %bb.3005:
	s_andn2_saveexec_b64 s[8:9], s[8:9]
; %bb.3006:
	s_mov_b32 s10, 0x46800000
	v_add_f32_e64 v3, |v2|, s10
; %bb.3007:
	s_or_b64 exec, exec, s[8:9]
                                        ; implicit-def: $vgpr4
.LBB55_3008:
	s_andn2_saveexec_b64 s[2:3], s[2:3]
; %bb.3009:
	s_mov_b32 s8, 0x7f800000
	v_mov_b32_e32 v3, 0x7e
	v_mov_b32_e32 v5, 0x7f
	v_cmp_lt_u32_e32 vcc, s8, v4
	v_cndmask_b32_e32 v3, v3, v5, vcc
; %bb.3010:
	s_or_b64 exec, exec, s[2:3]
	v_lshrrev_b32_e32 v2, 24, v2
	s_movk_i32 s2, 0x80
	v_and_or_b32 v2, v2, s2, v3
	global_store_byte v[0:1], v2, off
.LBB55_3011:
	s_mov_b64 s[2:3], 0
.LBB55_3012:
	s_andn2_b64 vcc, exec, s[2:3]
	s_cbranch_vccnz .LBB55_3022
; %bb.3013:
	v_cvt_f32_f16_e32 v2, v6
	s_mov_b32 s2, 0x47800000
                                        ; implicit-def: $vgpr3
	v_and_b32_e32 v4, 0x7fffffff, v2
	v_cmp_gt_u32_e32 vcc, s2, v4
	s_and_saveexec_b64 s[2:3], vcc
	s_xor_b64 s[2:3], exec, s[2:3]
	s_cbranch_execz .LBB55_3019
; %bb.3014:
	s_mov_b32 s8, 0x387fffff
	v_cmp_lt_u32_e32 vcc, s8, v4
                                        ; implicit-def: $vgpr3
	s_and_saveexec_b64 s[8:9], vcc
	s_xor_b64 s[8:9], exec, s[8:9]
; %bb.3015:
	v_bfe_u32 v3, v2, 21, 1
	s_mov_b32 s10, 0x80fffff
	v_add3_u32 v3, v2, v3, s10
	v_lshrrev_b32_e32 v3, 21, v3
; %bb.3016:
	s_andn2_saveexec_b64 s[8:9], s[8:9]
; %bb.3017:
	s_mov_b32 s10, 0x43000000
	v_add_f32_e64 v3, |v2|, s10
; %bb.3018:
	s_or_b64 exec, exec, s[8:9]
                                        ; implicit-def: $vgpr4
.LBB55_3019:
	s_andn2_saveexec_b64 s[2:3], s[2:3]
; %bb.3020:
	s_mov_b32 s8, 0x7f800000
	v_mov_b32_e32 v3, 0x7c
	v_mov_b32_e32 v5, 0x7f
	v_cmp_lt_u32_e32 vcc, s8, v4
	v_cndmask_b32_e32 v3, v3, v5, vcc
; %bb.3021:
	s_or_b64 exec, exec, s[2:3]
	v_lshrrev_b32_e32 v2, 24, v2
	s_movk_i32 s2, 0x80
	v_and_or_b32 v2, v2, s2, v3
	global_store_byte v[0:1], v2, off
.LBB55_3022:
	s_mov_b64 s[2:3], 0
.LBB55_3023:
	s_andn2_b64 vcc, exec, s[2:3]
	s_mov_b64 s[2:3], 0
	s_cbranch_vccnz .LBB55_3030
; %bb.3024:
	v_cmp_lt_i16_e32 vcc, 14, v7
	s_mov_b64 s[8:9], -1
	s_cbranch_vccz .LBB55_3028
; %bb.3025:
	v_cmp_eq_u16_e32 vcc, 15, v7
	s_mov_b64 s[0:1], -1
	s_cbranch_vccz .LBB55_3027
; %bb.3026:
	v_cvt_f32_f16_e32 v2, v6
	s_movk_i32 s0, 0x7fff
	v_mov_b32_e32 v3, 0x7fc0
	v_cmp_o_f16_e32 vcc, v6, v6
	v_bfe_u32 v4, v2, 16, 1
	v_add3_u32 v2, v2, v4, s0
	v_lshrrev_b32_e32 v2, 16, v2
	v_cndmask_b32_e32 v2, v3, v2, vcc
	global_store_short v[0:1], v2, off
	s_mov_b64 s[0:1], 0
.LBB55_3027:
	s_mov_b64 s[8:9], 0
.LBB55_3028:
	s_and_b64 vcc, exec, s[8:9]
	s_cbranch_vccz .LBB55_3030
; %bb.3029:
	v_cmp_ne_u16_e64 s[0:1], 11, v7
	s_mov_b64 s[2:3], -1
.LBB55_3030:
	s_and_b64 vcc, exec, s[0:1]
	s_cbranch_vccnz .LBB55_3085
.LBB55_3031:
	s_mov_b64 s[0:1], 0
	s_branch .LBB55_3033
.LBB55_3032:
	s_mov_b64 s[0:1], 0
	s_mov_b64 s[2:3], 0
                                        ; implicit-def: $vgpr7
                                        ; implicit-def: $vgpr0_vgpr1
                                        ; implicit-def: $vgpr6
.LBB55_3033:
	s_and_b64 s[16:17], s[2:3], exec
	s_andn2_b64 s[2:3], s[6:7], exec
	s_and_b64 s[6:7], s[18:19], exec
	s_and_b64 s[0:1], s[0:1], exec
	s_or_b64 s[6:7], s[2:3], s[6:7]
.LBB55_3034:
	s_or_b64 exec, exec, s[4:5]
	s_and_saveexec_b64 s[2:3], s[6:7]
	s_cbranch_execz .LBB55_3037
; %bb.3035:
	; divergent unreachable
	s_or_b64 exec, exec, s[2:3]
	s_and_saveexec_b64 s[2:3], s[16:17]
	s_xor_b64 s[2:3], exec, s[2:3]
	s_cbranch_execnz .LBB55_3038
.LBB55_3036:
	s_or_b64 exec, exec, s[2:3]
	s_and_saveexec_b64 s[2:3], s[0:1]
	s_cbranch_execnz .LBB55_3039
	s_branch .LBB55_3076
.LBB55_3037:
	s_or_b64 exec, exec, s[2:3]
	s_and_saveexec_b64 s[2:3], s[16:17]
	s_xor_b64 s[2:3], exec, s[2:3]
	s_cbranch_execz .LBB55_3036
.LBB55_3038:
	s_waitcnt vmcnt(0)
	v_and_b32_e32 v2, 0x7fff, v6
	v_cmp_ne_u16_e32 vcc, 0, v2
	v_cndmask_b32_e64 v2, 0, 1, vcc
	global_store_byte v[0:1], v2, off
	s_or_b64 exec, exec, s[2:3]
	s_and_saveexec_b64 s[2:3], s[0:1]
	s_cbranch_execz .LBB55_3076
.LBB55_3039:
	s_waitcnt vmcnt(0)
	v_cmp_gt_i16_e32 vcc, 5, v7
	s_mov_b64 s[0:1], -1
	s_cbranch_vccnz .LBB55_3060
; %bb.3040:
	v_cmp_gt_i16_e32 vcc, 8, v7
	s_cbranch_vccnz .LBB55_3050
; %bb.3041:
	v_cmp_gt_i16_e32 vcc, 9, v7
	s_cbranch_vccnz .LBB55_3047
; %bb.3042:
	v_cmp_lt_i16_e32 vcc, 9, v7
	s_cbranch_vccz .LBB55_3044
; %bb.3043:
	v_cvt_f32_f16_e32 v2, v6
	v_mov_b32_e32 v4, 0
	v_mov_b32_e32 v5, v4
	s_mov_b64 s[0:1], 0
	v_cvt_f64_f32_e32 v[2:3], v2
	global_store_dwordx4 v[0:1], v[2:5], off
.LBB55_3044:
	s_andn2_b64 vcc, exec, s[0:1]
	s_cbranch_vccnz .LBB55_3046
; %bb.3045:
	v_cvt_f32_f16_e32 v2, v6
	v_mov_b32_e32 v3, 0
	global_store_dwordx2 v[0:1], v[2:3], off
.LBB55_3046:
	s_mov_b64 s[0:1], 0
.LBB55_3047:
	s_andn2_b64 vcc, exec, s[0:1]
	s_cbranch_vccnz .LBB55_3049
; %bb.3048:
	v_and_b32_e32 v2, 0xffff, v6
	global_store_dword v[0:1], v2, off
.LBB55_3049:
	s_mov_b64 s[0:1], 0
.LBB55_3050:
	s_andn2_b64 vcc, exec, s[0:1]
	s_cbranch_vccnz .LBB55_3059
; %bb.3051:
	v_cmp_gt_i16_e32 vcc, 6, v7
	s_mov_b64 s[0:1], -1
	s_cbranch_vccnz .LBB55_3057
; %bb.3052:
	v_cmp_lt_i16_e32 vcc, 6, v7
	s_cbranch_vccz .LBB55_3054
; %bb.3053:
	v_cvt_f32_f16_e32 v2, v6
	s_mov_b64 s[0:1], 0
	v_cvt_f64_f32_e32 v[2:3], v2
	global_store_dwordx2 v[0:1], v[2:3], off
.LBB55_3054:
	s_andn2_b64 vcc, exec, s[0:1]
	s_cbranch_vccnz .LBB55_3056
; %bb.3055:
	v_cvt_f32_f16_e32 v2, v6
	global_store_dword v[0:1], v2, off
.LBB55_3056:
	s_mov_b64 s[0:1], 0
.LBB55_3057:
	s_andn2_b64 vcc, exec, s[0:1]
	s_cbranch_vccnz .LBB55_3059
; %bb.3058:
	global_store_short v[0:1], v6, off
.LBB55_3059:
	s_mov_b64 s[0:1], 0
.LBB55_3060:
	s_andn2_b64 vcc, exec, s[0:1]
	s_cbranch_vccnz .LBB55_3076
; %bb.3061:
	v_cmp_gt_i16_e32 vcc, 2, v7
	s_mov_b64 s[0:1], -1
	s_cbranch_vccnz .LBB55_3071
; %bb.3062:
	v_cmp_gt_i16_e32 vcc, 3, v7
	s_cbranch_vccnz .LBB55_3068
; %bb.3063:
	v_cmp_lt_i16_e32 vcc, 3, v7
	s_cbranch_vccz .LBB55_3065
; %bb.3064:
	v_cvt_f32_f16_e32 v2, v6
	s_mov_b64 s[0:1], 0
	v_cvt_i32_f32_e32 v2, v2
	v_ashrrev_i32_e32 v3, 31, v2
	global_store_dwordx2 v[0:1], v[2:3], off
.LBB55_3065:
	s_andn2_b64 vcc, exec, s[0:1]
	s_cbranch_vccnz .LBB55_3067
; %bb.3066:
	v_cvt_f32_f16_e32 v2, v6
	v_cvt_i32_f32_e32 v2, v2
	global_store_dword v[0:1], v2, off
.LBB55_3067:
	s_mov_b64 s[0:1], 0
.LBB55_3068:
	s_andn2_b64 vcc, exec, s[0:1]
	s_cbranch_vccnz .LBB55_3070
; %bb.3069:
	v_cvt_i16_f16_e32 v2, v6
	global_store_short v[0:1], v2, off
.LBB55_3070:
	s_mov_b64 s[0:1], 0
.LBB55_3071:
	s_andn2_b64 vcc, exec, s[0:1]
	s_cbranch_vccnz .LBB55_3076
; %bb.3072:
	v_cmp_lt_i16_e32 vcc, 0, v7
	s_mov_b64 s[0:1], -1
	s_cbranch_vccz .LBB55_3074
; %bb.3073:
	v_cvt_i16_f16_e32 v2, v6
	global_store_byte v[0:1], v2, off
	s_mov_b64 s[0:1], 0
.LBB55_3074:
	s_andn2_b64 vcc, exec, s[0:1]
	s_cbranch_vccnz .LBB55_3076
; %bb.3075:
	v_cvt_f32_f16_e32 v2, v6
	v_cvt_i32_f32_e32 v2, v2
	global_store_byte v[0:1], v2, off
	s_endpgm
.LBB55_3076:
	s_endpgm
.LBB55_3077:
	s_mov_b64 s[2:3], 0
	s_mov_b64 s[0:1], -1
	s_branch .LBB55_3033
.LBB55_3078:
	s_or_saveexec_b64 s[14:15], s[14:15]
                                        ; implicit-def: $sgpr17
	s_xor_b64 exec, exec, s[14:15]
	s_cbranch_execz .LBB55_2866
.LBB55_3079:
	s_mov_b32 s17, 0x46000000
	v_add_f32_e64 v7, |v6|, s17
	v_and_b32_e32 v7, 0xff, v7
	v_cmp_ne_u32_e32 vcc, 0, v7
	s_andn2_b64 s[12:13], s[12:13], exec
	s_and_b64 s[20:21], vcc, exec
	s_mov_b32 s17, 0
	s_or_b64 s[12:13], s[12:13], s[20:21]
	s_or_b64 exec, exec, s[14:15]
	v_mov_b32_e32 v8, s17
	s_and_saveexec_b64 s[14:15], s[12:13]
	s_cbranch_execnz .LBB55_2867
	s_branch .LBB55_2868
.LBB55_3080:
	s_trap 2
	s_or_b64 s[18:19], s[18:19], exec
	s_cbranch_execz .LBB55_2914
	s_branch .LBB55_2915
.LBB55_3081:
	s_or_saveexec_b64 s[12:13], s[12:13]
                                        ; implicit-def: $sgpr14
	s_xor_b64 exec, exec, s[12:13]
	s_cbranch_execz .LBB55_2879
.LBB55_3082:
	s_mov_b32 s14, 0x42800000
	v_add_f32_e64 v7, |v6|, s14
	v_and_b32_e32 v7, 0xff, v7
	v_cmp_ne_u32_e32 vcc, 0, v7
	s_andn2_b64 s[10:11], s[10:11], exec
	s_and_b64 s[20:21], vcc, exec
	s_mov_b32 s14, 0
	s_or_b64 s[10:11], s[10:11], s[20:21]
	s_or_b64 exec, exec, s[12:13]
	v_mov_b32_e32 v8, s14
	s_and_saveexec_b64 s[12:13], s[10:11]
	s_cbranch_execnz .LBB55_2880
	s_branch .LBB55_2881
.LBB55_3083:
	s_or_saveexec_b64 s[12:13], s[12:13]
                                        ; implicit-def: $sgpr14
	s_xor_b64 exec, exec, s[12:13]
	s_cbranch_execz .LBB55_2985
.LBB55_3084:
	s_mov_b32 s14, 0x46000000
	v_add_f32_e64 v3, |v2|, s14
	v_and_b32_e32 v3, 0xff, v3
	v_cmp_ne_u32_e32 vcc, 0, v3
	s_andn2_b64 s[10:11], s[10:11], exec
	s_and_b64 s[16:17], vcc, exec
	s_mov_b32 s14, 0
	s_or_b64 s[10:11], s[10:11], s[16:17]
	s_or_b64 exec, exec, s[12:13]
	v_mov_b32_e32 v4, s14
	s_and_saveexec_b64 s[12:13], s[10:11]
	s_cbranch_execnz .LBB55_2986
	s_branch .LBB55_2987
.LBB55_3085:
	s_mov_b64 s[2:3], 0
	s_or_b64 s[18:19], s[18:19], exec
	s_trap 2
	s_branch .LBB55_3031
.LBB55_3086:
	s_or_saveexec_b64 s[10:11], s[10:11]
                                        ; implicit-def: $sgpr12
	s_xor_b64 exec, exec, s[10:11]
	s_cbranch_execz .LBB55_2997
.LBB55_3087:
	s_mov_b32 s12, 0x42800000
	v_add_f32_e64 v3, |v2|, s12
	v_and_b32_e32 v3, 0xff, v3
	v_cmp_ne_u32_e32 vcc, 0, v3
	s_andn2_b64 s[8:9], s[8:9], exec
	s_and_b64 s[14:15], vcc, exec
	s_mov_b32 s12, 0
	s_or_b64 s[8:9], s[8:9], s[14:15]
	s_or_b64 exec, exec, s[10:11]
	v_mov_b32_e32 v4, s12
	s_and_saveexec_b64 s[10:11], s[8:9]
	s_cbranch_execnz .LBB55_2998
	s_branch .LBB55_2999
	.section	.rodata,"a",@progbits
	.p2align	6, 0x0
	.amdhsa_kernel _ZN2at6native32elementwise_kernel_manual_unrollILi128ELi4EZNS0_15gpu_kernel_implIZZZNS0_12prelu_kernelERNS_14TensorIteratorEENKUlvE_clEvENKUlvE2_clEvEUlN3c104HalfES8_E_EEvRNS_18TensorIteratorBaseERKT_EUlibE_EEviT1_
		.amdhsa_group_segment_fixed_size 0
		.amdhsa_private_segment_fixed_size 0
		.amdhsa_kernarg_size 48
		.amdhsa_user_sgpr_count 6
		.amdhsa_user_sgpr_private_segment_buffer 1
		.amdhsa_user_sgpr_dispatch_ptr 0
		.amdhsa_user_sgpr_queue_ptr 0
		.amdhsa_user_sgpr_kernarg_segment_ptr 1
		.amdhsa_user_sgpr_dispatch_id 0
		.amdhsa_user_sgpr_flat_scratch_init 0
		.amdhsa_user_sgpr_kernarg_preload_length 0
		.amdhsa_user_sgpr_kernarg_preload_offset 0
		.amdhsa_user_sgpr_private_segment_size 0
		.amdhsa_uses_dynamic_stack 0
		.amdhsa_system_sgpr_private_segment_wavefront_offset 0
		.amdhsa_system_sgpr_workgroup_id_x 1
		.amdhsa_system_sgpr_workgroup_id_y 0
		.amdhsa_system_sgpr_workgroup_id_z 0
		.amdhsa_system_sgpr_workgroup_info 0
		.amdhsa_system_vgpr_workitem_id 0
		.amdhsa_next_free_vgpr 19
		.amdhsa_next_free_sgpr 54
		.amdhsa_accum_offset 20
		.amdhsa_reserve_vcc 1
		.amdhsa_reserve_flat_scratch 0
		.amdhsa_float_round_mode_32 0
		.amdhsa_float_round_mode_16_64 0
		.amdhsa_float_denorm_mode_32 3
		.amdhsa_float_denorm_mode_16_64 3
		.amdhsa_dx10_clamp 1
		.amdhsa_ieee_mode 1
		.amdhsa_fp16_overflow 0
		.amdhsa_tg_split 0
		.amdhsa_exception_fp_ieee_invalid_op 0
		.amdhsa_exception_fp_denorm_src 0
		.amdhsa_exception_fp_ieee_div_zero 0
		.amdhsa_exception_fp_ieee_overflow 0
		.amdhsa_exception_fp_ieee_underflow 0
		.amdhsa_exception_fp_ieee_inexact 0
		.amdhsa_exception_int_div_zero 0
	.end_amdhsa_kernel
	.section	.text._ZN2at6native32elementwise_kernel_manual_unrollILi128ELi4EZNS0_15gpu_kernel_implIZZZNS0_12prelu_kernelERNS_14TensorIteratorEENKUlvE_clEvENKUlvE2_clEvEUlN3c104HalfES8_E_EEvRNS_18TensorIteratorBaseERKT_EUlibE_EEviT1_,"axG",@progbits,_ZN2at6native32elementwise_kernel_manual_unrollILi128ELi4EZNS0_15gpu_kernel_implIZZZNS0_12prelu_kernelERNS_14TensorIteratorEENKUlvE_clEvENKUlvE2_clEvEUlN3c104HalfES8_E_EEvRNS_18TensorIteratorBaseERKT_EUlibE_EEviT1_,comdat
.Lfunc_end55:
	.size	_ZN2at6native32elementwise_kernel_manual_unrollILi128ELi4EZNS0_15gpu_kernel_implIZZZNS0_12prelu_kernelERNS_14TensorIteratorEENKUlvE_clEvENKUlvE2_clEvEUlN3c104HalfES8_E_EEvRNS_18TensorIteratorBaseERKT_EUlibE_EEviT1_, .Lfunc_end55-_ZN2at6native32elementwise_kernel_manual_unrollILi128ELi4EZNS0_15gpu_kernel_implIZZZNS0_12prelu_kernelERNS_14TensorIteratorEENKUlvE_clEvENKUlvE2_clEvEUlN3c104HalfES8_E_EEvRNS_18TensorIteratorBaseERKT_EUlibE_EEviT1_
                                        ; -- End function
	.section	.AMDGPU.csdata,"",@progbits
; Kernel info:
; codeLenInByte = 53976
; NumSgprs: 58
; NumVgprs: 19
; NumAgprs: 0
; TotalNumVgprs: 19
; ScratchSize: 0
; MemoryBound: 0
; FloatMode: 240
; IeeeMode: 1
; LDSByteSize: 0 bytes/workgroup (compile time only)
; SGPRBlocks: 7
; VGPRBlocks: 2
; NumSGPRsForWavesPerEU: 58
; NumVGPRsForWavesPerEU: 19
; AccumOffset: 20
; Occupancy: 8
; WaveLimiterHint : 0
; COMPUTE_PGM_RSRC2:SCRATCH_EN: 0
; COMPUTE_PGM_RSRC2:USER_SGPR: 6
; COMPUTE_PGM_RSRC2:TRAP_HANDLER: 0
; COMPUTE_PGM_RSRC2:TGID_X_EN: 1
; COMPUTE_PGM_RSRC2:TGID_Y_EN: 0
; COMPUTE_PGM_RSRC2:TGID_Z_EN: 0
; COMPUTE_PGM_RSRC2:TIDIG_COMP_CNT: 0
; COMPUTE_PGM_RSRC3_GFX90A:ACCUM_OFFSET: 4
; COMPUTE_PGM_RSRC3_GFX90A:TG_SPLIT: 0
	.section	.text._ZN2at6native32elementwise_kernel_manual_unrollILi128ELi4EZNS0_15gpu_kernel_implIZZZNS0_12prelu_kernelERNS_14TensorIteratorEENKUlvE_clEvENKUlvE2_clEvEUlN3c104HalfES8_E_EEvRNS_18TensorIteratorBaseERKT_EUlibE0_EEviT1_,"axG",@progbits,_ZN2at6native32elementwise_kernel_manual_unrollILi128ELi4EZNS0_15gpu_kernel_implIZZZNS0_12prelu_kernelERNS_14TensorIteratorEENKUlvE_clEvENKUlvE2_clEvEUlN3c104HalfES8_E_EEvRNS_18TensorIteratorBaseERKT_EUlibE0_EEviT1_,comdat
	.globl	_ZN2at6native32elementwise_kernel_manual_unrollILi128ELi4EZNS0_15gpu_kernel_implIZZZNS0_12prelu_kernelERNS_14TensorIteratorEENKUlvE_clEvENKUlvE2_clEvEUlN3c104HalfES8_E_EEvRNS_18TensorIteratorBaseERKT_EUlibE0_EEviT1_ ; -- Begin function _ZN2at6native32elementwise_kernel_manual_unrollILi128ELi4EZNS0_15gpu_kernel_implIZZZNS0_12prelu_kernelERNS_14TensorIteratorEENKUlvE_clEvENKUlvE2_clEvEUlN3c104HalfES8_E_EEvRNS_18TensorIteratorBaseERKT_EUlibE0_EEviT1_
	.p2align	8
	.type	_ZN2at6native32elementwise_kernel_manual_unrollILi128ELi4EZNS0_15gpu_kernel_implIZZZNS0_12prelu_kernelERNS_14TensorIteratorEENKUlvE_clEvENKUlvE2_clEvEUlN3c104HalfES8_E_EEvRNS_18TensorIteratorBaseERKT_EUlibE0_EEviT1_,@function
_ZN2at6native32elementwise_kernel_manual_unrollILi128ELi4EZNS0_15gpu_kernel_implIZZZNS0_12prelu_kernelERNS_14TensorIteratorEENKUlvE_clEvENKUlvE2_clEvEUlN3c104HalfES8_E_EEvRNS_18TensorIteratorBaseERKT_EUlibE0_EEviT1_: ; @_ZN2at6native32elementwise_kernel_manual_unrollILi128ELi4EZNS0_15gpu_kernel_implIZZZNS0_12prelu_kernelERNS_14TensorIteratorEENKUlvE_clEvENKUlvE2_clEvEUlN3c104HalfES8_E_EEvRNS_18TensorIteratorBaseERKT_EUlibE0_EEviT1_
; %bb.0:
	s_load_dword s66, s[4:5], 0x0
	s_load_dword s33, s[4:5], 0x8
	s_or_b32 s2, s4, 8
	v_lshl_or_b32 v8, s6, 9, v0
	v_or_b32_e32 v24, 0x180, v8
	s_mov_b32 s3, s5
	s_waitcnt lgkmcnt(0)
	s_add_i32 s68, s33, -1
	s_cmp_gt_u32 s68, 1
	v_cmp_le_i32_e32 vcc, s66, v24
	s_cselect_b64 s[20:21], -1, 0
	s_mov_b64 s[6:7], 0
	s_mov_b64 s[12:13], 0
	s_and_saveexec_b64 s[0:1], vcc
	s_xor_b64 s[22:23], exec, s[0:1]
	s_cbranch_execz .LBB56_1585
; %bb.1:
	v_mov_b32_e32 v0, 0
	global_load_ushort v6, v0, s[2:3] offset:417
	global_load_sbyte v7, v0, s[2:3] offset:419
	s_load_dwordx4 s[16:19], s[2:3], 0x4
	s_load_dwordx2 s[28:29], s[2:3], 0x14
	s_load_dwordx4 s[12:15], s[2:3], 0xc4
	s_load_dwordx2 s[26:27], s[2:3], 0xd4
	s_load_dwordx2 s[24:25], s[2:3], 0x198
	s_load_dwordx4 s[8:11], s[2:3], 0x188
	s_cmp_lg_u32 s33, 0
	s_cselect_b64 s[34:35], -1, 0
	s_min_u32 s69, s68, 15
	s_cmp_gt_u32 s33, 1
	v_cmp_gt_i32_e32 vcc, s66, v8
	s_mov_b64 s[0:1], -1
	s_mov_b64 s[46:47], 0
	s_mov_b64 s[40:41], 0
	;; [unrolled: 1-line block ×3, first 2 shown]
	s_cselect_b64 s[30:31], -1, 0
	s_mov_b64 s[36:37], 0
	s_waitcnt vmcnt(1)
	v_lshrrev_b32_e32 v9, 8, v6
	s_and_saveexec_b64 s[42:43], vcc
	s_cbranch_execz .LBB56_393
; %bb.2:
	s_andn2_b64 vcc, exec, s[20:21]
	s_cbranch_vccnz .LBB56_9
; %bb.3:
	s_andn2_b64 vcc, exec, s[34:35]
	v_mov_b32_e32 v2, 0
	v_mov_b32_e32 v4, 0
	;; [unrolled: 1-line block ×3, first 2 shown]
	s_cbranch_vccnz .LBB56_8
; %bb.4:
	s_add_i32 s0, s69, 1
	s_and_b32 s36, s0, 30
	s_add_u32 s0, s2, 0xffffffec
	s_addc_u32 s1, s3, -1
	v_mov_b32_e32 v0, 0
	v_mov_b32_e32 v1, v8
	;; [unrolled: 1-line block ×4, first 2 shown]
.LBB56_5:                               ; =>This Inner Loop Header: Depth=1
	s_mov_b64 s[38:39], s[0:1]
	s_load_dwordx4 s[48:51], s[38:39], 0x18
	s_load_dwordx2 s[40:41], s[38:39], 0x28
	s_load_dwordx2 s[44:45], s[38:39], 0xe8
	s_load_dwordx4 s[52:55], s[38:39], 0xd8
	s_add_u32 s0, s38, 24
	s_waitcnt lgkmcnt(0)
	v_mul_hi_u32 v3, s49, v1
	v_add_u32_e32 v3, v1, v3
	v_lshrrev_b32_e32 v3, s50, v3
	v_mul_lo_u32 v5, v3, s48
	v_mul_hi_u32 v10, s40, v3
	v_sub_u32_e32 v1, v1, v5
	v_add_u32_e32 v5, v3, v10
	v_mul_lo_u32 v10, v1, s52
	v_mul_lo_u32 v11, v1, s53
	;; [unrolled: 1-line block ×3, first 2 shown]
	v_lshrrev_b32_e32 v1, s41, v5
	v_mul_lo_u32 v5, v1, s51
	v_sub_u32_e32 v3, v3, v5
	s_addc_u32 s1, s39, 0
	s_add_i32 s36, s36, -2
	v_mul_lo_u32 v5, v3, s55
	v_mul_lo_u32 v13, v3, s44
	;; [unrolled: 1-line block ×3, first 2 shown]
	s_cmp_lg_u32 s36, 0
	v_add3_u32 v0, v10, v0, v5
	v_add3_u32 v2, v12, v2, v3
	;; [unrolled: 1-line block ×3, first 2 shown]
	s_cbranch_scc1 .LBB56_5
; %bb.6:
	s_bitcmp1_b32 s69, 0
	s_cselect_b64 s[36:37], -1, 0
	s_and_b64 vcc, exec, s[36:37]
	s_cbranch_vccnz .LBB56_8
; %bb.7:
	s_load_dwordx2 s[36:37], s[0:1], 0x18
	s_load_dword s38, s[0:1], 0x20
	s_load_dword s39, s[0:1], 0xe0
	s_nop 0
	s_load_dwordx2 s[0:1], s[0:1], 0xd8
	s_waitcnt lgkmcnt(0)
	v_mul_hi_u32 v3, s37, v1
	v_add_u32_e32 v3, v1, v3
	v_lshrrev_b32_e32 v3, s38, v3
	v_mul_lo_u32 v3, v3, s36
	v_sub_u32_e32 v3, v1, v3
	v_mad_u64_u32 v[0:1], s[36:37], v3, s0, v[0:1]
	v_mad_u64_u32 v[4:5], s[0:1], v3, s1, v[4:5]
	v_mad_u64_u32 v[2:3], s[0:1], v3, s39, v[2:3]
.LBB56_8:
	s_cbranch_execz .LBB56_10
	s_branch .LBB56_12
.LBB56_9:
                                        ; implicit-def: $vgpr2
                                        ; implicit-def: $vgpr4
                                        ; implicit-def: $vgpr0
	s_andn2_b64 vcc, exec, s[0:1]
	s_cbranch_vccnz .LBB56_12
.LBB56_10:
	s_waitcnt lgkmcnt(0)
	v_mul_hi_u32 v0, s17, v8
	v_add_u32_e32 v0, v8, v0
	v_lshrrev_b32_e32 v1, s18, v0
	v_mul_lo_u32 v0, v1, s16
	v_sub_u32_e32 v3, v8, v0
	v_mul_lo_u32 v0, v3, s12
	v_mul_lo_u32 v2, v3, s14
	s_andn2_b64 vcc, exec, s[30:31]
	v_mul_lo_u32 v4, v3, s13
	s_cbranch_vccnz .LBB56_12
; %bb.11:
	v_mul_hi_u32 v3, s28, v1
	v_add_u32_e32 v3, v1, v3
	v_lshrrev_b32_e32 v3, s29, v3
	v_mul_lo_u32 v3, v3, s19
	v_sub_u32_e32 v3, v1, v3
	v_mad_u64_u32 v[0:1], s[0:1], v3, s15, v[0:1]
	v_mad_u64_u32 v[4:5], s[0:1], v3, s26, v[4:5]
	;; [unrolled: 1-line block ×3, first 2 shown]
.LBB56_12:
	s_waitcnt lgkmcnt(0)
	v_mov_b32_e32 v1, s11
	v_add_co_u32_e32 v4, vcc, s10, v4
	v_addc_co_u32_e32 v5, vcc, 0, v1, vcc
	v_mov_b32_e32 v1, 11
	v_cmp_lt_i16_sdwa s[0:1], v9, v1 src0_sel:BYTE_0 src1_sel:DWORD
	s_and_b64 vcc, exec, s[0:1]
	s_cbranch_vccnz .LBB56_19
; %bb.13:
	v_mov_b32_e32 v1, 25
	v_cmp_gt_i16_sdwa s[0:1], v9, v1 src0_sel:BYTE_0 src1_sel:DWORD
	s_and_b64 vcc, exec, s[0:1]
	s_cbranch_vccz .LBB56_28
; %bb.14:
	v_mov_b32_e32 v1, 28
	v_cmp_gt_i16_sdwa s[0:1], v9, v1 src0_sel:BYTE_0 src1_sel:DWORD
	s_and_b64 vcc, exec, s[0:1]
	s_cbranch_vccz .LBB56_38
	;; [unrolled: 5-line block ×4, first 2 shown]
; %bb.17:
	v_mov_b32_e32 v1, 46
	v_cmp_eq_u16_sdwa s[0:1], v9, v1 src0_sel:BYTE_0 src1_sel:DWORD
	s_mov_b64 s[36:37], 0
	s_and_b64 vcc, exec, s[0:1]
	s_cbranch_vccz .LBB56_47
; %bb.18:
	global_load_dword v1, v[4:5], off
	s_mov_b64 s[0:1], -1
	s_mov_b64 s[40:41], 0
	s_waitcnt vmcnt(0)
	v_lshlrev_b32_e32 v1, 16, v1
	v_cvt_f16_f32_e32 v1, v1
	s_branch .LBB56_49
.LBB56_19:
	s_mov_b64 s[40:41], 0
                                        ; implicit-def: $vgpr1
	s_mov_b64 s[0:1], 0
	s_cbranch_execnz .LBB56_115
.LBB56_20:
	s_andn2_b64 vcc, exec, s[0:1]
	s_cbranch_vccnz .LBB56_162
.LBB56_21:
	v_mov_b32_e32 v3, s25
	v_add_co_u32_e32 v2, vcc, s24, v2
	v_mov_b32_e32 v4, 11
	v_addc_co_u32_e32 v3, vcc, 0, v3, vcc
	s_waitcnt vmcnt(0)
	v_cmp_lt_i16_sdwa s[0:1], v7, v4 src0_sel:BYTE_0 src1_sel:DWORD
	s_and_b64 vcc, exec, s[0:1]
	s_cbranch_vccnz .LBB56_29
; %bb.22:
	v_mov_b32_e32 v4, 25
	v_cmp_gt_i16_sdwa s[0:1], v7, v4 src0_sel:BYTE_0 src1_sel:DWORD
	s_and_b64 vcc, exec, s[0:1]
	s_cbranch_vccz .LBB56_39
; %bb.23:
	v_mov_b32_e32 v4, 28
	v_cmp_gt_i16_sdwa s[0:1], v7, v4 src0_sel:BYTE_0 src1_sel:DWORD
	s_and_b64 vcc, exec, s[0:1]
	s_cbranch_vccz .LBB56_42
	;; [unrolled: 5-line block ×4, first 2 shown]
; %bb.26:
	v_mov_b32_e32 v4, 46
	v_cmp_eq_u16_sdwa s[0:1], v7, v4 src0_sel:BYTE_0 src1_sel:DWORD
	s_mov_b64 s[36:37], 0
	s_and_b64 vcc, exec, s[0:1]
	s_cbranch_vccz .LBB56_163
; %bb.27:
	global_load_dword v4, v[2:3], off
	s_mov_b64 s[0:1], -1
	s_mov_b64 s[38:39], 0
	s_waitcnt vmcnt(0)
	v_lshlrev_b32_e32 v4, 16, v4
	v_cvt_f16_f32_e32 v4, v4
	s_branch .LBB56_165
.LBB56_28:
	s_mov_b64 s[40:41], 0
	s_mov_b64 s[0:1], 0
                                        ; implicit-def: $vgpr1
	s_cbranch_execnz .LBB56_80
	s_branch .LBB56_114
.LBB56_29:
	s_mov_b64 s[38:39], 0
                                        ; implicit-def: $vgpr4
	s_mov_b64 s[0:1], 0
	s_cbranch_execnz .LBB56_342
.LBB56_30:
	s_andn2_b64 vcc, exec, s[0:1]
	s_cbranch_vccnz .LBB56_390
.LBB56_31:
	s_waitcnt vmcnt(0)
	v_mul_f16_e32 v2, v1, v4
	v_cmp_lt_f16_e32 vcc, 0, v1
	v_cndmask_b32_e32 v2, v2, v1, vcc
	v_mov_b32_e32 v1, s9
	v_add_co_u32_e32 v0, vcc, s8, v0
	v_mov_b32_e32 v3, 11
	v_addc_co_u32_e32 v1, vcc, 0, v1, vcc
	v_cmp_lt_i16_sdwa s[0:1], v6, v3 src0_sel:BYTE_0 src1_sel:DWORD
	s_and_b64 vcc, exec, s[0:1]
	s_cbranch_vccnz .LBB56_40
; %bb.32:
	v_mov_b32_e32 v3, 25
	v_cmp_gt_i16_sdwa s[0:1], v6, v3 src0_sel:BYTE_0 src1_sel:DWORD
	s_and_b64 vcc, exec, s[0:1]
	s_cbranch_vccz .LBB56_43
; %bb.33:
	v_mov_b32_e32 v3, 28
	v_cmp_gt_i16_sdwa s[0:1], v6, v3 src0_sel:BYTE_0 src1_sel:DWORD
	s_and_b64 vcc, exec, s[0:1]
	s_cbranch_vccz .LBB56_46
	;; [unrolled: 5-line block ×4, first 2 shown]
; %bb.36:
	v_mov_b32_e32 v3, 46
	v_cmp_eq_u16_sdwa s[36:37], v6, v3 src0_sel:BYTE_0 src1_sel:DWORD
	s_mov_b64 s[44:45], 0
	s_mov_b64 s[0:1], -1
	s_and_b64 vcc, exec, s[36:37]
	s_mov_b64 s[36:37], 0
	s_cbranch_vccz .LBB56_169
; %bb.37:
	v_cvt_f32_f16_e32 v3, v2
	s_movk_i32 s0, 0x7fff
	v_mov_b32_e32 v4, 0x7fc0
	v_cmp_o_f16_e32 vcc, v2, v2
	v_bfe_u32 v5, v3, 16, 1
	v_add3_u32 v3, v3, v5, s0
	v_lshrrev_b32_e32 v3, 16, v3
	v_cndmask_b32_e32 v3, v4, v3, vcc
	global_store_dword v[0:1], v3, off
	s_mov_b64 s[36:37], -1
	s_mov_b64 s[0:1], 0
	s_branch .LBB56_169
.LBB56_38:
	s_mov_b64 s[36:37], -1
	s_mov_b64 s[40:41], 0
	s_mov_b64 s[0:1], 0
                                        ; implicit-def: $vgpr1
	s_branch .LBB56_61
.LBB56_39:
	s_mov_b64 s[36:37], -1
	s_mov_b64 s[38:39], 0
	s_mov_b64 s[0:1], 0
                                        ; implicit-def: $vgpr4
	s_branch .LBB56_306
.LBB56_40:
	s_mov_b64 s[44:45], -1
	s_mov_b64 s[0:1], 0
	s_mov_b64 s[36:37], 0
	s_branch .LBB56_238
.LBB56_41:
	s_mov_b64 s[36:37], -1
	s_mov_b64 s[40:41], 0
	s_mov_b64 s[0:1], 0
                                        ; implicit-def: $vgpr1
	s_branch .LBB56_56
.LBB56_42:
	s_mov_b64 s[36:37], -1
	s_mov_b64 s[38:39], 0
	s_mov_b64 s[0:1], 0
                                        ; implicit-def: $vgpr4
	s_branch .LBB56_287
.LBB56_43:
	s_mov_b64 s[44:45], -1
	s_mov_b64 s[0:1], 0
	s_mov_b64 s[36:37], 0
	s_branch .LBB56_196
.LBB56_44:
	s_mov_b64 s[36:37], -1
	s_mov_b64 s[40:41], 0
	s_branch .LBB56_48
.LBB56_45:
	s_mov_b64 s[36:37], -1
	s_mov_b64 s[38:39], 0
	s_mov_b64 s[0:1], 0
                                        ; implicit-def: $vgpr4
	s_branch .LBB56_282
.LBB56_46:
	s_mov_b64 s[44:45], -1
	s_mov_b64 s[0:1], 0
	s_mov_b64 s[36:37], 0
	s_branch .LBB56_179
.LBB56_47:
	s_mov_b64 s[40:41], -1
.LBB56_48:
	s_mov_b64 s[0:1], 0
                                        ; implicit-def: $vgpr1
.LBB56_49:
	s_and_b64 vcc, exec, s[36:37]
	s_cbranch_vccz .LBB56_55
; %bb.50:
	v_mov_b32_e32 v1, 44
	v_cmp_eq_u16_sdwa s[36:37], v9, v1 src0_sel:BYTE_0 src1_sel:DWORD
	s_and_b64 vcc, exec, s[36:37]
	s_cbranch_vccz .LBB56_54
; %bb.51:
	global_load_ubyte v1, v[4:5], off
	s_movk_i32 s36, 0xff
	v_mov_b32_e32 v10, 0x7e00
	s_mov_b64 s[0:1], -1
	s_mov_b64 s[40:41], 0
	s_waitcnt vmcnt(0)
	v_lshlrev_b32_e32 v3, 23, v1
	v_cvt_f16_f32_e32 v3, v3
	v_cmp_ne_u32_e32 vcc, s36, v1
	v_cndmask_b32_e32 v3, v10, v3, vcc
	v_cmp_ne_u32_e32 vcc, 0, v1
	v_cndmask_b32_e32 v1, 0, v3, vcc
	s_branch .LBB56_55
.LBB56_52:
	s_mov_b64 s[36:37], -1
	s_mov_b64 s[38:39], 0
	s_branch .LBB56_164
.LBB56_53:
	s_mov_b64 s[44:45], -1
	s_mov_b64 s[0:1], 0
	s_mov_b64 s[36:37], 0
	s_branch .LBB56_175
.LBB56_54:
	s_mov_b64 s[40:41], -1
                                        ; implicit-def: $vgpr1
.LBB56_55:
	s_mov_b64 s[36:37], 0
.LBB56_56:
	s_and_b64 vcc, exec, s[36:37]
	s_cbranch_vccz .LBB56_60
; %bb.57:
	v_mov_b32_e32 v1, 29
	v_cmp_eq_u16_sdwa s[36:37], v9, v1 src0_sel:BYTE_0 src1_sel:DWORD
	s_and_b64 vcc, exec, s[36:37]
	s_cbranch_vccz .LBB56_59
; %bb.58:
	global_load_dwordx2 v[10:11], v[4:5], off
	s_mov_b64 s[0:1], -1
	s_mov_b64 s[40:41], 0
	s_mov_b64 s[36:37], 0
	s_waitcnt vmcnt(0)
	v_ffbh_u32_e32 v1, v11
	v_min_u32_e32 v1, 32, v1
	v_lshlrev_b64 v[10:11], v1, v[10:11]
	v_min_u32_e32 v3, 1, v10
	v_or_b32_e32 v3, v11, v3
	v_cvt_f32_u32_e32 v3, v3
	v_sub_u32_e32 v1, 32, v1
	v_ldexp_f32 v1, v3, v1
	v_cvt_f16_f32_e32 v1, v1
	s_branch .LBB56_61
.LBB56_59:
	s_mov_b64 s[40:41], -1
                                        ; implicit-def: $vgpr1
.LBB56_60:
	s_mov_b64 s[36:37], 0
.LBB56_61:
	s_and_b64 vcc, exec, s[36:37]
	s_cbranch_vccz .LBB56_79
; %bb.62:
	v_mov_b32_e32 v1, 27
	v_cmp_lt_i16_sdwa s[0:1], v9, v1 src0_sel:BYTE_0 src1_sel:DWORD
	s_and_b64 vcc, exec, s[0:1]
	s_cbranch_vccnz .LBB56_65
; %bb.63:
	v_cmp_gt_i16_sdwa s[0:1], v9, v1 src0_sel:BYTE_0 src1_sel:DWORD
	s_and_b64 vcc, exec, s[0:1]
	s_cbranch_vccz .LBB56_66
; %bb.64:
	global_load_dword v1, v[4:5], off
	s_mov_b64 s[0:1], 0
	s_waitcnt vmcnt(0)
	v_cvt_f32_u32_e32 v1, v1
	v_cvt_f16_f32_e32 v1, v1
	s_branch .LBB56_67
.LBB56_65:
	s_mov_b64 s[0:1], -1
                                        ; implicit-def: $vgpr1
	s_branch .LBB56_70
.LBB56_66:
	s_mov_b64 s[0:1], -1
                                        ; implicit-def: $vgpr1
.LBB56_67:
	s_andn2_b64 vcc, exec, s[0:1]
	s_cbranch_vccnz .LBB56_69
; %bb.68:
	global_load_ushort v1, v[4:5], off
	s_waitcnt vmcnt(0)
	v_cvt_f16_u16_e32 v1, v1
.LBB56_69:
	s_mov_b64 s[0:1], 0
.LBB56_70:
	s_andn2_b64 vcc, exec, s[0:1]
	s_cbranch_vccnz .LBB56_78
; %bb.71:
	global_load_ubyte v3, v[4:5], off
	s_movk_i32 s0, 0x7f
                                        ; implicit-def: $sgpr44
	s_waitcnt vmcnt(0)
	v_cmp_lt_i16_e32 vcc, s0, v3
	s_mov_b64 s[0:1], 0
	s_and_saveexec_b64 s[36:37], vcc
	s_xor_b64 s[36:37], exec, s[36:37]
	s_cbranch_execz .LBB56_91
; %bb.72:
	s_movk_i32 s0, 0x80
	v_cmp_eq_u16_e32 vcc, s0, v3
	s_mov_b64 s[0:1], -1
                                        ; implicit-def: $sgpr44
	s_and_saveexec_b64 s[38:39], vcc
; %bb.73:
	s_movk_i32 s44, 0x7e00
	s_xor_b64 s[0:1], exec, -1
; %bb.74:
	s_or_b64 exec, exec, s[38:39]
	s_and_b64 s[0:1], s[0:1], exec
	s_or_saveexec_b64 s[36:37], s[36:37]
	v_mov_b32_e32 v1, s44
	s_xor_b64 exec, exec, s[36:37]
	s_cbranch_execnz .LBB56_92
.LBB56_75:
	s_or_b64 exec, exec, s[36:37]
	s_and_saveexec_b64 s[36:37], s[0:1]
	s_cbranch_execz .LBB56_77
.LBB56_76:
	v_lshlrev_b32_e32 v1, 24, v3
	v_and_b32_e32 v3, 0xffff, v3
	v_and_b32_e32 v10, 7, v3
	v_ffbh_u32_e32 v12, v10
	v_min_u32_e32 v12, 32, v12
	v_subrev_u32_e32 v13, 28, v12
	v_bfe_u32 v11, v3, 3, 4
	v_lshlrev_b32_e32 v3, v13, v3
	v_sub_u32_e32 v12, 29, v12
	v_and_b32_e32 v3, 7, v3
	v_cmp_eq_u32_e32 vcc, 0, v11
	v_cndmask_b32_e32 v11, v11, v12, vcc
	v_cndmask_b32_e32 v3, v10, v3, vcc
	v_mov_b32_e32 v10, 0x3b800000
	v_lshlrev_b32_e32 v3, 20, v3
	v_and_b32_e32 v1, 0x80000000, v1
	v_lshl_add_u32 v10, v11, 23, v10
	v_or3_b32 v1, v1, v10, v3
	v_cvt_f16_f32_e32 v1, v1
.LBB56_77:
	s_or_b64 exec, exec, s[36:37]
.LBB56_78:
	s_mov_b64 s[0:1], -1
.LBB56_79:
	s_branch .LBB56_114
.LBB56_80:
	v_mov_b32_e32 v1, 22
	v_cmp_gt_i16_sdwa s[36:37], v9, v1 src0_sel:BYTE_0 src1_sel:DWORD
	s_and_b64 vcc, exec, s[36:37]
	s_cbranch_vccz .LBB56_90
; %bb.81:
	v_mov_b32_e32 v1, 24
	v_cmp_lt_i16_sdwa s[0:1], v9, v1 src0_sel:BYTE_0 src1_sel:DWORD
	s_and_b64 vcc, exec, s[0:1]
	s_cbranch_vccnz .LBB56_93
; %bb.82:
	v_cmp_gt_i16_sdwa s[0:1], v9, v1 src0_sel:BYTE_0 src1_sel:DWORD
	s_and_b64 vcc, exec, s[0:1]
	s_cbranch_vccz .LBB56_94
; %bb.83:
	global_load_ubyte v3, v[4:5], off
	s_movk_i32 s0, 0x7f
                                        ; implicit-def: $sgpr44
	s_waitcnt vmcnt(0)
	v_cmp_lt_i16_e32 vcc, s0, v3
	s_mov_b64 s[0:1], 0
	s_and_saveexec_b64 s[36:37], vcc
	s_xor_b64 s[36:37], exec, s[36:37]
	s_cbranch_execz .LBB56_106
; %bb.84:
	s_movk_i32 s0, 0x80
	v_cmp_eq_u16_e32 vcc, s0, v3
	s_mov_b64 s[0:1], -1
                                        ; implicit-def: $sgpr44
	s_and_saveexec_b64 s[38:39], vcc
; %bb.85:
	s_movk_i32 s44, 0x7e00
	s_xor_b64 s[0:1], exec, -1
; %bb.86:
	s_or_b64 exec, exec, s[38:39]
	s_and_b64 s[0:1], s[0:1], exec
	s_or_saveexec_b64 s[36:37], s[36:37]
	v_mov_b32_e32 v1, s44
	s_xor_b64 exec, exec, s[36:37]
	s_cbranch_execnz .LBB56_107
.LBB56_87:
	s_or_b64 exec, exec, s[36:37]
	s_and_saveexec_b64 s[36:37], s[0:1]
	s_cbranch_execz .LBB56_89
.LBB56_88:
	v_lshlrev_b32_e32 v1, 24, v3
	v_and_b32_e32 v3, 0xffff, v3
	v_and_b32_e32 v10, 3, v3
	v_ffbh_u32_e32 v12, v10
	v_min_u32_e32 v12, 32, v12
	v_subrev_u32_e32 v13, 29, v12
	v_bfe_u32 v11, v3, 2, 5
	v_lshlrev_b32_e32 v3, v13, v3
	v_sub_u32_e32 v12, 30, v12
	v_and_b32_e32 v3, 3, v3
	v_cmp_eq_u32_e32 vcc, 0, v11
	v_cndmask_b32_e32 v11, v11, v12, vcc
	v_cndmask_b32_e32 v3, v10, v3, vcc
	v_mov_b32_e32 v10, 0x37800000
	v_lshlrev_b32_e32 v3, 21, v3
	v_and_b32_e32 v1, 0x80000000, v1
	v_lshl_add_u32 v10, v11, 23, v10
	v_or3_b32 v1, v1, v10, v3
	v_cvt_f16_f32_e32 v1, v1
.LBB56_89:
	s_or_b64 exec, exec, s[36:37]
	s_mov_b64 s[0:1], 0
	s_branch .LBB56_95
.LBB56_90:
	s_mov_b64 s[36:37], -1
                                        ; implicit-def: $vgpr1
	s_branch .LBB56_101
.LBB56_91:
	s_or_saveexec_b64 s[36:37], s[36:37]
	v_mov_b32_e32 v1, s44
	s_xor_b64 exec, exec, s[36:37]
	s_cbranch_execz .LBB56_75
.LBB56_92:
	v_cmp_ne_u16_e32 vcc, 0, v3
	s_andn2_b64 s[0:1], s[0:1], exec
	s_and_b64 s[38:39], vcc, exec
	s_or_b64 s[0:1], s[0:1], s[38:39]
	v_mov_b32_e32 v1, v3
	s_or_b64 exec, exec, s[36:37]
	s_and_saveexec_b64 s[36:37], s[0:1]
	s_cbranch_execnz .LBB56_76
	s_branch .LBB56_77
.LBB56_93:
	s_mov_b64 s[0:1], -1
                                        ; implicit-def: $vgpr1
	s_branch .LBB56_98
.LBB56_94:
	s_mov_b64 s[0:1], -1
                                        ; implicit-def: $vgpr1
.LBB56_95:
	s_and_b64 vcc, exec, s[0:1]
	s_cbranch_vccz .LBB56_97
; %bb.96:
	global_load_ubyte v1, v[4:5], off
	s_mov_b32 s0, 0x7f800000
	s_waitcnt vmcnt(0)
	v_lshlrev_b32_e32 v1, 24, v1
	v_and_b32_e32 v3, 0x7f000000, v1
	v_ffbh_u32_e32 v10, v3
	v_min_u32_e32 v10, 32, v10
	v_sub_u32_e64 v10, v10, 4 clamp
	v_lshlrev_b32_e32 v12, v10, v3
	v_lshlrev_b32_e32 v10, 23, v10
	v_lshrrev_b32_e32 v12, 4, v12
	v_add_u32_e32 v11, 0x1000000, v3
	v_sub_u32_e32 v10, v12, v10
	v_ashrrev_i32_e32 v11, 8, v11
	v_add_u32_e32 v10, 0x3c000000, v10
	v_and_or_b32 v10, v11, s0, v10
	v_cmp_ne_u32_e32 vcc, 0, v3
	v_cndmask_b32_e32 v3, 0, v10, vcc
	s_brev_b32 s0, 1
	v_and_or_b32 v1, v1, s0, v3
	v_cvt_f16_f32_e32 v1, v1
.LBB56_97:
	s_mov_b64 s[0:1], 0
.LBB56_98:
	s_andn2_b64 vcc, exec, s[0:1]
	s_cbranch_vccnz .LBB56_100
; %bb.99:
	global_load_ubyte v1, v[4:5], off
	s_movk_i32 s0, 0x7f00
	s_brev_b32 s1, 16
	s_waitcnt vmcnt(0)
	v_lshlrev_b16_e32 v3, 8, v1
	v_lshlrev_b32_e32 v1, 25, v1
	v_lshrrev_b32_e32 v10, 4, v1
	v_and_or_b32 v11, v3, s0, 0.5
	v_or_b32_e32 v10, 0x70000000, v10
	v_add_f32_e32 v11, -0.5, v11
	v_mul_f32_e32 v10, 0x7800000, v10
	v_cmp_gt_u32_e32 vcc, s1, v1
	v_bfe_i32 v3, v3, 0, 16
	v_cndmask_b32_e32 v1, v10, v11, vcc
	s_brev_b32 s0, 1
	v_and_or_b32 v1, v3, s0, v1
	v_cvt_f16_f32_e32 v1, v1
.LBB56_100:
	s_mov_b64 s[36:37], 0
	s_mov_b64 s[0:1], -1
.LBB56_101:
	s_andn2_b64 vcc, exec, s[36:37]
	s_cbranch_vccnz .LBB56_114
; %bb.102:
	v_mov_b32_e32 v1, 14
	v_cmp_gt_i16_sdwa s[36:37], v9, v1 src0_sel:BYTE_0 src1_sel:DWORD
	s_and_b64 vcc, exec, s[36:37]
	s_cbranch_vccz .LBB56_105
; %bb.103:
	v_mov_b32_e32 v1, 15
	v_cmp_eq_u16_sdwa s[36:37], v9, v1 src0_sel:BYTE_0 src1_sel:DWORD
	s_and_b64 vcc, exec, s[36:37]
	s_cbranch_vccz .LBB56_108
; %bb.104:
	global_load_ushort v1, v[4:5], off
	s_mov_b64 s[0:1], -1
	s_mov_b64 s[40:41], 0
	s_waitcnt vmcnt(0)
	v_lshlrev_b32_e32 v1, 16, v1
	v_cvt_f16_f32_e32 v1, v1
	s_branch .LBB56_109
.LBB56_105:
	s_mov_b64 s[36:37], -1
                                        ; implicit-def: $vgpr1
	s_branch .LBB56_110
.LBB56_106:
	s_or_saveexec_b64 s[36:37], s[36:37]
	v_mov_b32_e32 v1, s44
	s_xor_b64 exec, exec, s[36:37]
	s_cbranch_execz .LBB56_87
.LBB56_107:
	v_cmp_ne_u16_e32 vcc, 0, v3
	s_andn2_b64 s[0:1], s[0:1], exec
	s_and_b64 s[38:39], vcc, exec
	s_or_b64 s[0:1], s[0:1], s[38:39]
	v_mov_b32_e32 v1, v3
	s_or_b64 exec, exec, s[36:37]
	s_and_saveexec_b64 s[36:37], s[0:1]
	s_cbranch_execnz .LBB56_88
	s_branch .LBB56_89
.LBB56_108:
	s_mov_b64 s[40:41], -1
                                        ; implicit-def: $vgpr1
.LBB56_109:
	s_mov_b64 s[36:37], 0
.LBB56_110:
	s_and_b64 vcc, exec, s[36:37]
	s_cbranch_vccz .LBB56_114
; %bb.111:
	v_mov_b32_e32 v1, 11
	v_cmp_eq_u16_sdwa s[36:37], v9, v1 src0_sel:BYTE_0 src1_sel:DWORD
	s_and_b64 vcc, exec, s[36:37]
	s_cbranch_vccz .LBB56_113
; %bb.112:
	global_load_ubyte v1, v[4:5], off
	v_mov_b32_e32 v3, 0x3c00
	s_mov_b64 s[0:1], -1
	s_mov_b64 s[40:41], 0
	s_waitcnt vmcnt(0)
	v_cmp_ne_u16_e32 vcc, 0, v1
	v_cndmask_b32_e32 v1, 0, v3, vcc
	s_branch .LBB56_114
.LBB56_113:
	s_mov_b64 s[40:41], -1
                                        ; implicit-def: $vgpr1
.LBB56_114:
	s_branch .LBB56_20
.LBB56_115:
	v_mov_b32_e32 v1, 5
	v_cmp_lt_i16_sdwa s[0:1], v9, v1 src0_sel:BYTE_0 src1_sel:DWORD
	s_and_b64 vcc, exec, s[0:1]
	s_cbranch_vccnz .LBB56_120
; %bb.116:
	v_mov_b32_e32 v1, 8
	v_cmp_lt_i16_sdwa s[0:1], v9, v1 src0_sel:BYTE_0 src1_sel:DWORD
	s_and_b64 vcc, exec, s[0:1]
	s_cbranch_vccnz .LBB56_121
; %bb.117:
	;; [unrolled: 5-line block ×3, first 2 shown]
	v_cmp_gt_i16_sdwa s[0:1], v9, v1 src0_sel:BYTE_0 src1_sel:DWORD
	s_and_b64 vcc, exec, s[0:1]
	s_cbranch_vccz .LBB56_123
; %bb.119:
	global_load_dwordx2 v[10:11], v[4:5], off
	s_mov_b64 s[0:1], 0
	s_waitcnt vmcnt(0)
	v_cvt_f32_f64_e32 v1, v[10:11]
	v_cvt_f16_f32_e32 v1, v1
	s_branch .LBB56_124
.LBB56_120:
                                        ; implicit-def: $vgpr1
	s_branch .LBB56_142
.LBB56_121:
	s_mov_b64 s[0:1], -1
                                        ; implicit-def: $vgpr1
	s_branch .LBB56_130
.LBB56_122:
	s_mov_b64 s[0:1], -1
                                        ; implicit-def: $vgpr1
	s_branch .LBB56_127
.LBB56_123:
	s_mov_b64 s[0:1], -1
                                        ; implicit-def: $vgpr1
.LBB56_124:
	s_andn2_b64 vcc, exec, s[0:1]
	s_cbranch_vccnz .LBB56_126
; %bb.125:
	global_load_dword v1, v[4:5], off
	s_waitcnt vmcnt(0)
	v_cvt_f16_f32_e32 v1, v1
.LBB56_126:
	s_mov_b64 s[0:1], 0
.LBB56_127:
	s_andn2_b64 vcc, exec, s[0:1]
	s_cbranch_vccnz .LBB56_129
; %bb.128:
	global_load_dword v1, v[4:5], off
.LBB56_129:
	s_mov_b64 s[0:1], 0
.LBB56_130:
	s_andn2_b64 vcc, exec, s[0:1]
	s_cbranch_vccnz .LBB56_141
; %bb.131:
	s_waitcnt vmcnt(0)
	v_mov_b32_e32 v1, 6
	v_cmp_lt_i16_sdwa s[0:1], v9, v1 src0_sel:BYTE_0 src1_sel:DWORD
	s_and_b64 vcc, exec, s[0:1]
	s_cbranch_vccnz .LBB56_134
; %bb.132:
	v_cmp_gt_i16_sdwa s[0:1], v9, v1 src0_sel:BYTE_0 src1_sel:DWORD
	s_and_b64 vcc, exec, s[0:1]
	s_cbranch_vccz .LBB56_135
; %bb.133:
	global_load_dwordx2 v[10:11], v[4:5], off
	s_mov_b64 s[0:1], 0
	s_waitcnt vmcnt(0)
	v_cvt_f32_f64_e32 v1, v[10:11]
	v_cvt_f16_f32_e32 v1, v1
	s_branch .LBB56_136
.LBB56_134:
	s_mov_b64 s[0:1], -1
                                        ; implicit-def: $vgpr1
	s_branch .LBB56_139
.LBB56_135:
	s_mov_b64 s[0:1], -1
                                        ; implicit-def: $vgpr1
.LBB56_136:
	s_andn2_b64 vcc, exec, s[0:1]
	s_cbranch_vccnz .LBB56_138
; %bb.137:
	global_load_dword v1, v[4:5], off
	s_waitcnt vmcnt(0)
	v_cvt_f16_f32_e32 v1, v1
.LBB56_138:
	s_mov_b64 s[0:1], 0
.LBB56_139:
	s_andn2_b64 vcc, exec, s[0:1]
	s_cbranch_vccnz .LBB56_141
; %bb.140:
	global_load_ushort v1, v[4:5], off
.LBB56_141:
	s_cbranch_execnz .LBB56_161
.LBB56_142:
	s_waitcnt vmcnt(0)
	v_mov_b32_e32 v1, 2
	v_cmp_lt_i16_sdwa s[0:1], v9, v1 src0_sel:BYTE_0 src1_sel:DWORD
	s_and_b64 vcc, exec, s[0:1]
	s_cbranch_vccnz .LBB56_146
; %bb.143:
	v_mov_b32_e32 v1, 3
	v_cmp_lt_i16_sdwa s[0:1], v9, v1 src0_sel:BYTE_0 src1_sel:DWORD
	s_and_b64 vcc, exec, s[0:1]
	s_cbranch_vccnz .LBB56_147
; %bb.144:
	v_cmp_gt_i16_sdwa s[0:1], v9, v1 src0_sel:BYTE_0 src1_sel:DWORD
	s_and_b64 vcc, exec, s[0:1]
	s_cbranch_vccz .LBB56_148
; %bb.145:
	global_load_dwordx2 v[10:11], v[4:5], off
	s_mov_b64 s[0:1], 0
	s_waitcnt vmcnt(0)
	v_xor_b32_e32 v3, v10, v11
	v_ffbh_i32_e32 v1, v11
	v_ashrrev_i32_e32 v3, 31, v3
	v_add_u32_e32 v1, -1, v1
	v_add_u32_e32 v3, 32, v3
	v_min_u32_e32 v1, v1, v3
	v_lshlrev_b64 v[10:11], v1, v[10:11]
	v_min_u32_e32 v3, 1, v10
	v_or_b32_e32 v3, v11, v3
	v_cvt_f32_i32_e32 v3, v3
	v_sub_u32_e32 v1, 32, v1
	v_ldexp_f32 v1, v3, v1
	v_cvt_f16_f32_e32 v1, v1
	s_branch .LBB56_149
.LBB56_146:
	s_mov_b64 s[0:1], -1
                                        ; implicit-def: $vgpr1
	s_branch .LBB56_155
.LBB56_147:
	s_mov_b64 s[0:1], -1
                                        ; implicit-def: $vgpr1
	s_branch .LBB56_152
.LBB56_148:
	s_mov_b64 s[0:1], -1
                                        ; implicit-def: $vgpr1
.LBB56_149:
	s_andn2_b64 vcc, exec, s[0:1]
	s_cbranch_vccnz .LBB56_151
; %bb.150:
	global_load_dword v1, v[4:5], off
	s_waitcnt vmcnt(0)
	v_cvt_f32_i32_e32 v1, v1
	v_cvt_f16_f32_e32 v1, v1
.LBB56_151:
	s_mov_b64 s[0:1], 0
.LBB56_152:
	s_andn2_b64 vcc, exec, s[0:1]
	s_cbranch_vccnz .LBB56_154
; %bb.153:
	global_load_ushort v1, v[4:5], off
	s_waitcnt vmcnt(0)
	v_cvt_f16_i16_e32 v1, v1
.LBB56_154:
	s_mov_b64 s[0:1], 0
.LBB56_155:
	s_andn2_b64 vcc, exec, s[0:1]
	s_cbranch_vccnz .LBB56_161
; %bb.156:
	v_mov_b32_e32 v1, 0
	v_cmp_gt_i16_sdwa s[0:1], v9, v1 src0_sel:BYTE_0 src1_sel:DWORD
	s_and_b64 vcc, exec, s[0:1]
	s_cbranch_vccz .LBB56_158
; %bb.157:
	global_load_sbyte v1, v[4:5], off
	s_mov_b64 s[0:1], 0
	s_waitcnt vmcnt(0)
	v_cvt_f16_i16_e32 v1, v1
	s_branch .LBB56_159
.LBB56_158:
	s_mov_b64 s[0:1], -1
                                        ; implicit-def: $vgpr1
.LBB56_159:
	s_andn2_b64 vcc, exec, s[0:1]
	s_cbranch_vccnz .LBB56_161
; %bb.160:
	global_load_ubyte v1, v[4:5], off
	s_waitcnt vmcnt(0)
	v_cvt_f16_u16_e32 v1, v1
.LBB56_161:
	s_branch .LBB56_21
.LBB56_162:
	s_mov_b64 s[0:1], 0
	s_mov_b64 s[38:39], 0
	s_branch .LBB56_391
.LBB56_163:
	s_mov_b64 s[38:39], -1
.LBB56_164:
	s_mov_b64 s[0:1], 0
                                        ; implicit-def: $vgpr4
.LBB56_165:
	s_and_b64 vcc, exec, s[36:37]
	s_cbranch_vccz .LBB56_281
; %bb.166:
	v_mov_b32_e32 v4, 44
	v_cmp_eq_u16_sdwa s[36:37], v7, v4 src0_sel:BYTE_0 src1_sel:DWORD
	s_and_b64 vcc, exec, s[36:37]
	s_cbranch_vccz .LBB56_280
; %bb.167:
	global_load_ubyte v4, v[2:3], off
	s_movk_i32 s36, 0xff
	v_mov_b32_e32 v10, 0x7e00
	s_mov_b64 s[0:1], -1
	s_mov_b64 s[38:39], 0
	s_waitcnt vmcnt(0)
	v_lshlrev_b32_e32 v5, 23, v4
	v_cvt_f16_f32_e32 v5, v5
	v_cmp_ne_u32_e32 vcc, s36, v4
	v_cndmask_b32_e32 v5, v10, v5, vcc
	v_cmp_ne_u32_e32 vcc, 0, v4
	v_cndmask_b32_e32 v4, 0, v5, vcc
	s_branch .LBB56_281
.LBB56_168:
	s_mov_b64 s[44:45], -1
	s_mov_b64 s[0:1], 0
	s_mov_b64 s[36:37], 0
.LBB56_169:
	s_and_b64 vcc, exec, s[44:45]
	s_cbranch_vccz .LBB56_174
; %bb.170:
	v_mov_b32_e32 v3, 44
	v_cmp_eq_u16_sdwa s[44:45], v6, v3 src0_sel:BYTE_0 src1_sel:DWORD
	s_mov_b64 s[0:1], -1
	s_and_b64 vcc, exec, s[44:45]
	s_cbranch_vccz .LBB56_174
; %bb.171:
	v_cvt_f32_f16_e32 v3, v2
	s_movk_i32 s0, 0xff
	v_mov_b32_e32 v5, 0xff
	v_bfe_u32 v4, v3, 23, 8
	v_cmp_ne_u32_e32 vcc, s0, v4
	s_and_saveexec_b64 s[36:37], vcc
; %bb.172:
	s_mov_b32 s0, 0x3fffff
	v_lshrrev_b32_e32 v5, 23, v3
	v_and_b32_e32 v10, 0x400000, v3
	v_and_or_b32 v3, v3, s0, v4
	v_cmp_ne_u32_e32 vcc, 0, v10
	v_cmp_ne_u32_e64 s[0:1], 0, v3
	s_and_b64 s[0:1], vcc, s[0:1]
	v_cndmask_b32_e64 v3, 0, 1, s[0:1]
	v_add_u32_e32 v5, v5, v3
; %bb.173:
	s_or_b64 exec, exec, s[36:37]
	s_mov_b64 s[36:37], -1
	s_mov_b64 s[0:1], 0
	global_store_byte v[0:1], v5, off
.LBB56_174:
	s_mov_b64 s[44:45], 0
.LBB56_175:
	s_and_b64 vcc, exec, s[44:45]
	s_cbranch_vccz .LBB56_178
; %bb.176:
	v_mov_b32_e32 v3, 29
	v_cmp_eq_u16_sdwa s[44:45], v6, v3 src0_sel:BYTE_0 src1_sel:DWORD
	s_mov_b64 s[0:1], -1
	s_and_b64 vcc, exec, s[44:45]
	s_cbranch_vccz .LBB56_178
; %bb.177:
	v_cvt_f32_f16_e32 v3, v2
	v_mov_b32_e32 v5, 0
	s_mov_b64 s[36:37], -1
	s_mov_b64 s[0:1], 0
	v_cvt_u32_f32_e32 v4, v3
	s_mov_b64 s[44:45], 0
	global_store_dwordx2 v[0:1], v[4:5], off
	s_branch .LBB56_179
.LBB56_178:
	s_mov_b64 s[44:45], 0
.LBB56_179:
	s_and_b64 vcc, exec, s[44:45]
	s_cbranch_vccz .LBB56_195
; %bb.180:
	v_mov_b32_e32 v3, 27
	v_cmp_lt_i16_sdwa s[44:45], v6, v3 src0_sel:BYTE_0 src1_sel:DWORD
	s_mov_b64 s[36:37], -1
	s_and_b64 vcc, exec, s[44:45]
	s_cbranch_vccnz .LBB56_186
; %bb.181:
	v_cmp_gt_i16_sdwa s[44:45], v6, v3 src0_sel:BYTE_0 src1_sel:DWORD
	s_and_b64 vcc, exec, s[44:45]
	s_cbranch_vccz .LBB56_183
; %bb.182:
	v_cvt_f32_f16_e32 v3, v2
	s_mov_b64 s[36:37], 0
	v_cvt_u32_f32_e32 v3, v3
	global_store_dword v[0:1], v3, off
.LBB56_183:
	s_andn2_b64 vcc, exec, s[36:37]
	s_cbranch_vccnz .LBB56_185
; %bb.184:
	v_cvt_u16_f16_e32 v3, v2
	global_store_short v[0:1], v3, off
.LBB56_185:
	s_mov_b64 s[36:37], 0
.LBB56_186:
	s_andn2_b64 vcc, exec, s[36:37]
	s_cbranch_vccnz .LBB56_194
; %bb.187:
	v_cvt_f32_f16_e32 v3, v2
	s_mov_b32 s36, 0x43800000
	v_mov_b32_e32 v5, 0x80
	v_and_b32_e32 v4, 0x7fffffff, v3
	v_cmp_gt_u32_e32 vcc, s36, v4
	s_and_saveexec_b64 s[36:37], vcc
	s_cbranch_execz .LBB56_193
; %bb.188:
	s_mov_b32 s44, 0x3bffffff
	v_cmp_lt_u32_e32 vcc, s44, v4
	s_mov_b64 s[44:45], 0
                                        ; implicit-def: $vgpr4
	s_and_saveexec_b64 s[48:49], vcc
	s_xor_b64 s[48:49], exec, s[48:49]
	s_cbranch_execz .LBB56_432
; %bb.189:
	v_bfe_u32 v4, v3, 20, 1
	s_mov_b32 s50, 0x487ffff
	v_add3_u32 v4, v3, v4, s50
	s_mov_b64 s[44:45], exec
	v_lshrrev_b32_e32 v4, 20, v4
	s_or_saveexec_b64 s[48:49], s[48:49]
                                        ; implicit-def: $sgpr50
	s_xor_b64 exec, exec, s[48:49]
	s_cbranch_execnz .LBB56_433
.LBB56_190:
	s_or_b64 exec, exec, s[48:49]
	v_mov_b32_e32 v5, s50
	s_and_saveexec_b64 s[48:49], s[44:45]
.LBB56_191:
	v_lshrrev_b32_e32 v3, 24, v3
	s_movk_i32 s44, 0x80
	v_and_or_b32 v5, v3, s44, v4
.LBB56_192:
	s_or_b64 exec, exec, s[48:49]
.LBB56_193:
	s_or_b64 exec, exec, s[36:37]
	global_store_byte v[0:1], v5, off
.LBB56_194:
	s_mov_b64 s[36:37], -1
.LBB56_195:
	s_mov_b64 s[44:45], 0
.LBB56_196:
	s_and_b64 vcc, exec, s[44:45]
	s_cbranch_vccz .LBB56_237
; %bb.197:
	v_mov_b32_e32 v3, 22
	v_cmp_gt_i16_sdwa s[48:49], v6, v3 src0_sel:BYTE_0 src1_sel:DWORD
	s_mov_b64 s[44:45], -1
	s_and_b64 vcc, exec, s[48:49]
	s_cbranch_vccz .LBB56_229
; %bb.198:
	v_mov_b32_e32 v3, 24
	v_cmp_lt_i16_sdwa s[44:45], v6, v3 src0_sel:BYTE_0 src1_sel:DWORD
	s_mov_b64 s[36:37], -1
	s_and_b64 vcc, exec, s[44:45]
	s_cbranch_vccnz .LBB56_218
; %bb.199:
	v_cmp_gt_i16_sdwa s[44:45], v6, v3 src0_sel:BYTE_0 src1_sel:DWORD
	s_and_b64 vcc, exec, s[44:45]
	s_cbranch_vccz .LBB56_207
; %bb.200:
	v_cvt_f32_f16_e32 v3, v2
	s_mov_b32 s36, 0x47800000
	v_mov_b32_e32 v5, 0x80
	v_and_b32_e32 v4, 0x7fffffff, v3
	v_cmp_gt_u32_e32 vcc, s36, v4
	s_and_saveexec_b64 s[36:37], vcc
	s_cbranch_execz .LBB56_206
; %bb.201:
	s_mov_b32 s44, 0x37ffffff
	v_cmp_lt_u32_e32 vcc, s44, v4
	s_mov_b64 s[44:45], 0
                                        ; implicit-def: $vgpr4
	s_and_saveexec_b64 s[48:49], vcc
	s_xor_b64 s[48:49], exec, s[48:49]
	s_cbranch_execz .LBB56_551
; %bb.202:
	v_bfe_u32 v4, v3, 21, 1
	s_mov_b32 s50, 0x88fffff
	v_add3_u32 v4, v3, v4, s50
	s_mov_b64 s[44:45], exec
	v_lshrrev_b32_e32 v4, 21, v4
	s_or_saveexec_b64 s[48:49], s[48:49]
                                        ; implicit-def: $sgpr50
	s_xor_b64 exec, exec, s[48:49]
	s_cbranch_execnz .LBB56_552
.LBB56_203:
	s_or_b64 exec, exec, s[48:49]
	v_mov_b32_e32 v5, s50
	s_and_saveexec_b64 s[48:49], s[44:45]
.LBB56_204:
	v_lshrrev_b32_e32 v3, 24, v3
	s_movk_i32 s44, 0x80
	v_and_or_b32 v5, v3, s44, v4
.LBB56_205:
	s_or_b64 exec, exec, s[48:49]
.LBB56_206:
	s_or_b64 exec, exec, s[36:37]
	s_mov_b64 s[36:37], 0
	global_store_byte v[0:1], v5, off
.LBB56_207:
	s_and_b64 vcc, exec, s[36:37]
	s_cbranch_vccz .LBB56_217
; %bb.208:
	v_cvt_f32_f16_e32 v3, v2
	s_mov_b32 s36, 0x43f00000
                                        ; implicit-def: $vgpr4
	v_and_b32_e32 v5, 0x7fffffff, v3
	v_cmp_gt_u32_e32 vcc, s36, v5
	s_and_saveexec_b64 s[36:37], vcc
	s_xor_b64 s[36:37], exec, s[36:37]
	s_cbranch_execz .LBB56_214
; %bb.209:
	s_mov_b32 s44, 0x3c7fffff
	v_cmp_lt_u32_e32 vcc, s44, v5
                                        ; implicit-def: $vgpr4
	s_and_saveexec_b64 s[44:45], vcc
	s_xor_b64 s[44:45], exec, s[44:45]
; %bb.210:
	v_bfe_u32 v4, v3, 20, 1
	s_mov_b32 s48, 0x407ffff
	v_add3_u32 v4, v3, v4, s48
	v_lshrrev_b32_e32 v5, 20, v4
	v_and_b32_e32 v4, 0xff00000, v4
	s_mov_b32 s48, 0x7f00000
	v_mov_b32_e32 v10, 0x7e
	v_cmp_ne_u32_e32 vcc, s48, v4
	v_cndmask_b32_e32 v4, v10, v5, vcc
; %bb.211:
	s_andn2_saveexec_b64 s[44:45], s[44:45]
; %bb.212:
	s_mov_b32 s48, 0x46800000
	v_add_f32_e64 v4, |v3|, s48
; %bb.213:
	s_or_b64 exec, exec, s[44:45]
                                        ; implicit-def: $vgpr5
.LBB56_214:
	s_andn2_saveexec_b64 s[36:37], s[36:37]
; %bb.215:
	s_mov_b32 s44, 0x7f800000
	v_mov_b32_e32 v4, 0x7e
	v_mov_b32_e32 v10, 0x7f
	v_cmp_lt_u32_e32 vcc, s44, v5
	v_cndmask_b32_e32 v4, v4, v10, vcc
; %bb.216:
	s_or_b64 exec, exec, s[36:37]
	v_lshrrev_b32_e32 v3, 24, v3
	s_movk_i32 s36, 0x80
	v_and_or_b32 v3, v3, s36, v4
	global_store_byte v[0:1], v3, off
.LBB56_217:
	s_mov_b64 s[36:37], 0
.LBB56_218:
	s_andn2_b64 vcc, exec, s[36:37]
	s_cbranch_vccnz .LBB56_228
; %bb.219:
	v_cvt_f32_f16_e32 v3, v2
	s_mov_b32 s36, 0x47800000
                                        ; implicit-def: $vgpr4
	v_and_b32_e32 v5, 0x7fffffff, v3
	v_cmp_gt_u32_e32 vcc, s36, v5
	s_and_saveexec_b64 s[36:37], vcc
	s_xor_b64 s[36:37], exec, s[36:37]
	s_cbranch_execz .LBB56_225
; %bb.220:
	s_mov_b32 s44, 0x387fffff
	v_cmp_lt_u32_e32 vcc, s44, v5
                                        ; implicit-def: $vgpr4
	s_and_saveexec_b64 s[44:45], vcc
	s_xor_b64 s[44:45], exec, s[44:45]
; %bb.221:
	v_bfe_u32 v4, v3, 21, 1
	s_mov_b32 s48, 0x80fffff
	v_add3_u32 v4, v3, v4, s48
	v_lshrrev_b32_e32 v4, 21, v4
; %bb.222:
	s_andn2_saveexec_b64 s[44:45], s[44:45]
; %bb.223:
	s_mov_b32 s48, 0x43000000
	v_add_f32_e64 v4, |v3|, s48
; %bb.224:
	s_or_b64 exec, exec, s[44:45]
                                        ; implicit-def: $vgpr5
.LBB56_225:
	s_andn2_saveexec_b64 s[36:37], s[36:37]
; %bb.226:
	s_mov_b32 s44, 0x7f800000
	v_mov_b32_e32 v4, 0x7c
	v_mov_b32_e32 v10, 0x7f
	v_cmp_lt_u32_e32 vcc, s44, v5
	v_cndmask_b32_e32 v4, v4, v10, vcc
; %bb.227:
	s_or_b64 exec, exec, s[36:37]
	v_lshrrev_b32_e32 v3, 24, v3
	s_movk_i32 s36, 0x80
	v_and_or_b32 v3, v3, s36, v4
	global_store_byte v[0:1], v3, off
.LBB56_228:
	s_mov_b64 s[44:45], 0
	s_mov_b64 s[36:37], -1
.LBB56_229:
	s_andn2_b64 vcc, exec, s[44:45]
	s_cbranch_vccnz .LBB56_237
; %bb.230:
	v_mov_b32_e32 v3, 14
	v_cmp_gt_i16_sdwa s[48:49], v6, v3 src0_sel:BYTE_0 src1_sel:DWORD
	s_mov_b64 s[44:45], -1
	s_and_b64 vcc, exec, s[48:49]
	s_cbranch_vccz .LBB56_234
; %bb.231:
	v_mov_b32_e32 v3, 15
	v_cmp_eq_u16_sdwa s[44:45], v6, v3 src0_sel:BYTE_0 src1_sel:DWORD
	s_mov_b64 s[0:1], -1
	s_and_b64 vcc, exec, s[44:45]
	s_cbranch_vccz .LBB56_233
; %bb.232:
	v_cvt_f32_f16_e32 v3, v2
	s_movk_i32 s0, 0x7fff
	v_mov_b32_e32 v4, 0x7fc0
	v_cmp_o_f16_e32 vcc, v2, v2
	v_bfe_u32 v5, v3, 16, 1
	v_add3_u32 v3, v3, v5, s0
	v_lshrrev_b32_e32 v3, 16, v3
	v_cndmask_b32_e32 v3, v4, v3, vcc
	global_store_short v[0:1], v3, off
	s_mov_b64 s[36:37], -1
	s_mov_b64 s[0:1], 0
.LBB56_233:
	s_mov_b64 s[44:45], 0
.LBB56_234:
	s_and_b64 vcc, exec, s[44:45]
	s_cbranch_vccz .LBB56_237
; %bb.235:
	v_mov_b32_e32 v3, 11
	v_cmp_eq_u16_sdwa s[44:45], v6, v3 src0_sel:BYTE_0 src1_sel:DWORD
	s_mov_b64 s[0:1], -1
	s_and_b64 vcc, exec, s[44:45]
	s_cbranch_vccz .LBB56_237
; %bb.236:
	v_and_b32_e32 v3, 0x7fff, v2
	v_cmp_ne_u16_e32 vcc, 0, v3
	v_cndmask_b32_e64 v3, 0, 1, vcc
	s_mov_b64 s[36:37], -1
	s_mov_b64 s[0:1], 0
	global_store_byte v[0:1], v3, off
.LBB56_237:
	s_mov_b64 s[44:45], 0
.LBB56_238:
	s_and_b64 vcc, exec, s[44:45]
	s_cbranch_vccz .LBB56_277
; %bb.239:
	v_mov_b32_e32 v3, 5
	v_cmp_lt_i16_sdwa s[44:45], v6, v3 src0_sel:BYTE_0 src1_sel:DWORD
	s_mov_b64 s[36:37], -1
	s_and_b64 vcc, exec, s[44:45]
	s_cbranch_vccnz .LBB56_260
; %bb.240:
	v_mov_b32_e32 v3, 8
	v_cmp_lt_i16_sdwa s[44:45], v6, v3 src0_sel:BYTE_0 src1_sel:DWORD
	s_and_b64 vcc, exec, s[44:45]
	s_cbranch_vccnz .LBB56_250
; %bb.241:
	v_mov_b32_e32 v3, 9
	v_cmp_lt_i16_sdwa s[44:45], v6, v3 src0_sel:BYTE_0 src1_sel:DWORD
	s_and_b64 vcc, exec, s[44:45]
	s_cbranch_vccnz .LBB56_247
; %bb.242:
	v_cmp_gt_i16_sdwa s[44:45], v6, v3 src0_sel:BYTE_0 src1_sel:DWORD
	s_and_b64 vcc, exec, s[44:45]
	s_cbranch_vccz .LBB56_244
; %bb.243:
	v_cvt_f32_f16_e32 v3, v2
	v_mov_b32_e32 v12, 0
	v_mov_b32_e32 v13, v12
	s_mov_b64 s[36:37], 0
	v_cvt_f64_f32_e32 v[10:11], v3
	global_store_dwordx4 v[0:1], v[10:13], off
.LBB56_244:
	s_andn2_b64 vcc, exec, s[36:37]
	s_cbranch_vccnz .LBB56_246
; %bb.245:
	v_cvt_f32_f16_e32 v4, v2
	v_mov_b32_e32 v5, 0
	global_store_dwordx2 v[0:1], v[4:5], off
.LBB56_246:
	s_mov_b64 s[36:37], 0
.LBB56_247:
	s_andn2_b64 vcc, exec, s[36:37]
	s_cbranch_vccnz .LBB56_249
; %bb.248:
	v_and_b32_e32 v3, 0xffff, v2
	global_store_dword v[0:1], v3, off
.LBB56_249:
	s_mov_b64 s[36:37], 0
.LBB56_250:
	s_andn2_b64 vcc, exec, s[36:37]
	s_cbranch_vccnz .LBB56_259
; %bb.251:
	v_mov_b32_e32 v3, 6
	v_cmp_lt_i16_sdwa s[44:45], v6, v3 src0_sel:BYTE_0 src1_sel:DWORD
	s_mov_b64 s[36:37], -1
	s_and_b64 vcc, exec, s[44:45]
	s_cbranch_vccnz .LBB56_257
; %bb.252:
	v_cmp_gt_i16_sdwa s[44:45], v6, v3 src0_sel:BYTE_0 src1_sel:DWORD
	s_and_b64 vcc, exec, s[44:45]
	s_cbranch_vccz .LBB56_254
; %bb.253:
	v_cvt_f32_f16_e32 v3, v2
	s_mov_b64 s[36:37], 0
	v_cvt_f64_f32_e32 v[4:5], v3
	global_store_dwordx2 v[0:1], v[4:5], off
.LBB56_254:
	s_andn2_b64 vcc, exec, s[36:37]
	s_cbranch_vccnz .LBB56_256
; %bb.255:
	v_cvt_f32_f16_e32 v3, v2
	global_store_dword v[0:1], v3, off
.LBB56_256:
	s_mov_b64 s[36:37], 0
.LBB56_257:
	s_andn2_b64 vcc, exec, s[36:37]
	s_cbranch_vccnz .LBB56_259
; %bb.258:
	global_store_short v[0:1], v2, off
.LBB56_259:
	s_mov_b64 s[36:37], 0
.LBB56_260:
	s_andn2_b64 vcc, exec, s[36:37]
	s_cbranch_vccnz .LBB56_276
; %bb.261:
	v_mov_b32_e32 v3, 2
	v_cmp_lt_i16_sdwa s[44:45], v6, v3 src0_sel:BYTE_0 src1_sel:DWORD
	s_mov_b64 s[36:37], -1
	s_and_b64 vcc, exec, s[44:45]
	s_cbranch_vccnz .LBB56_271
; %bb.262:
	v_mov_b32_e32 v3, 3
	v_cmp_lt_i16_sdwa s[44:45], v6, v3 src0_sel:BYTE_0 src1_sel:DWORD
	s_and_b64 vcc, exec, s[44:45]
	s_cbranch_vccnz .LBB56_268
; %bb.263:
	v_cmp_gt_i16_sdwa s[44:45], v6, v3 src0_sel:BYTE_0 src1_sel:DWORD
	s_and_b64 vcc, exec, s[44:45]
	s_cbranch_vccz .LBB56_265
; %bb.264:
	v_cvt_f32_f16_e32 v3, v2
	s_mov_b64 s[36:37], 0
	v_cvt_i32_f32_e32 v4, v3
	v_ashrrev_i32_e32 v5, 31, v4
	global_store_dwordx2 v[0:1], v[4:5], off
.LBB56_265:
	s_andn2_b64 vcc, exec, s[36:37]
	s_cbranch_vccnz .LBB56_267
; %bb.266:
	v_cvt_f32_f16_e32 v3, v2
	v_cvt_i32_f32_e32 v3, v3
	global_store_dword v[0:1], v3, off
.LBB56_267:
	s_mov_b64 s[36:37], 0
.LBB56_268:
	s_andn2_b64 vcc, exec, s[36:37]
	s_cbranch_vccnz .LBB56_270
; %bb.269:
	v_cvt_i16_f16_e32 v3, v2
	global_store_short v[0:1], v3, off
.LBB56_270:
	s_mov_b64 s[36:37], 0
.LBB56_271:
	s_andn2_b64 vcc, exec, s[36:37]
	s_cbranch_vccnz .LBB56_276
; %bb.272:
	v_mov_b32_e32 v3, 0
	v_cmp_gt_i16_sdwa s[44:45], v6, v3 src0_sel:BYTE_0 src1_sel:DWORD
	s_mov_b64 s[36:37], -1
	s_and_b64 vcc, exec, s[44:45]
	s_cbranch_vccz .LBB56_274
; %bb.273:
	v_cvt_i16_f16_e32 v3, v2
	global_store_byte v[0:1], v3, off
	s_mov_b64 s[36:37], 0
.LBB56_274:
	s_andn2_b64 vcc, exec, s[36:37]
	s_cbranch_vccnz .LBB56_276
; %bb.275:
	v_cvt_f32_f16_e32 v2, v2
	v_cvt_i32_f32_e32 v2, v2
	global_store_byte v[0:1], v2, off
.LBB56_276:
	s_mov_b64 s[36:37], -1
.LBB56_277:
	s_andn2_b64 vcc, exec, s[36:37]
	s_cbranch_vccnz .LBB56_279
; %bb.278:
	v_add_u32_e32 v8, 0x80, v8
	s_mov_b64 s[44:45], -1
	s_branch .LBB56_392
.LBB56_279:
	s_mov_b64 s[44:45], 0
                                        ; implicit-def: $vgpr8
	s_branch .LBB56_392
.LBB56_280:
	s_mov_b64 s[38:39], -1
                                        ; implicit-def: $vgpr4
.LBB56_281:
	s_mov_b64 s[36:37], 0
.LBB56_282:
	s_and_b64 vcc, exec, s[36:37]
	s_cbranch_vccz .LBB56_286
; %bb.283:
	v_mov_b32_e32 v4, 29
	v_cmp_eq_u16_sdwa s[36:37], v7, v4 src0_sel:BYTE_0 src1_sel:DWORD
	s_and_b64 vcc, exec, s[36:37]
	s_cbranch_vccz .LBB56_285
; %bb.284:
	global_load_dwordx2 v[4:5], v[2:3], off
	s_mov_b64 s[0:1], -1
	s_mov_b64 s[38:39], 0
	s_mov_b64 s[36:37], 0
	s_waitcnt vmcnt(0)
	v_ffbh_u32_e32 v10, v5
	v_min_u32_e32 v10, 32, v10
	v_lshlrev_b64 v[4:5], v10, v[4:5]
	v_min_u32_e32 v4, 1, v4
	v_or_b32_e32 v4, v5, v4
	v_cvt_f32_u32_e32 v4, v4
	v_sub_u32_e32 v5, 32, v10
	v_ldexp_f32 v4, v4, v5
	v_cvt_f16_f32_e32 v4, v4
	s_branch .LBB56_287
.LBB56_285:
	s_mov_b64 s[38:39], -1
                                        ; implicit-def: $vgpr4
.LBB56_286:
	s_mov_b64 s[36:37], 0
.LBB56_287:
	s_and_b64 vcc, exec, s[36:37]
	s_cbranch_vccz .LBB56_305
; %bb.288:
	v_mov_b32_e32 v4, 27
	v_cmp_lt_i16_sdwa s[0:1], v7, v4 src0_sel:BYTE_0 src1_sel:DWORD
	s_and_b64 vcc, exec, s[0:1]
	s_cbranch_vccnz .LBB56_291
; %bb.289:
	v_cmp_gt_i16_sdwa s[0:1], v7, v4 src0_sel:BYTE_0 src1_sel:DWORD
	s_and_b64 vcc, exec, s[0:1]
	s_cbranch_vccz .LBB56_292
; %bb.290:
	global_load_dword v4, v[2:3], off
	s_mov_b64 s[0:1], 0
	s_waitcnt vmcnt(0)
	v_cvt_f32_u32_e32 v4, v4
	v_cvt_f16_f32_e32 v4, v4
	s_branch .LBB56_293
.LBB56_291:
	s_mov_b64 s[0:1], -1
                                        ; implicit-def: $vgpr4
	s_branch .LBB56_296
.LBB56_292:
	s_mov_b64 s[0:1], -1
                                        ; implicit-def: $vgpr4
.LBB56_293:
	s_andn2_b64 vcc, exec, s[0:1]
	s_cbranch_vccnz .LBB56_295
; %bb.294:
	global_load_ushort v4, v[2:3], off
	s_waitcnt vmcnt(0)
	v_cvt_f16_u16_e32 v4, v4
.LBB56_295:
	s_mov_b64 s[0:1], 0
.LBB56_296:
	s_andn2_b64 vcc, exec, s[0:1]
	s_cbranch_vccnz .LBB56_304
; %bb.297:
	global_load_ubyte v5, v[2:3], off
	s_movk_i32 s0, 0x7f
                                        ; implicit-def: $sgpr48
	s_waitcnt vmcnt(0)
	v_cmp_lt_i16_e32 vcc, s0, v5
	s_mov_b64 s[0:1], 0
	s_and_saveexec_b64 s[36:37], vcc
	s_xor_b64 s[36:37], exec, s[36:37]
	s_cbranch_execz .LBB56_318
; %bb.298:
	s_movk_i32 s0, 0x80
	v_cmp_eq_u16_e32 vcc, s0, v5
	s_mov_b64 s[0:1], -1
                                        ; implicit-def: $sgpr48
	s_and_saveexec_b64 s[44:45], vcc
; %bb.299:
	s_movk_i32 s48, 0x7e00
	s_xor_b64 s[0:1], exec, -1
; %bb.300:
	s_or_b64 exec, exec, s[44:45]
	s_and_b64 s[0:1], s[0:1], exec
	s_or_saveexec_b64 s[36:37], s[36:37]
	v_mov_b32_e32 v4, s48
	s_xor_b64 exec, exec, s[36:37]
	s_cbranch_execnz .LBB56_319
.LBB56_301:
	s_or_b64 exec, exec, s[36:37]
	s_and_saveexec_b64 s[36:37], s[0:1]
	s_cbranch_execz .LBB56_303
.LBB56_302:
	v_lshlrev_b32_e32 v4, 24, v5
	v_and_b32_e32 v5, 0xffff, v5
	v_and_b32_e32 v10, 7, v5
	v_ffbh_u32_e32 v12, v10
	v_min_u32_e32 v12, 32, v12
	v_subrev_u32_e32 v13, 28, v12
	v_bfe_u32 v11, v5, 3, 4
	v_lshlrev_b32_e32 v5, v13, v5
	v_sub_u32_e32 v12, 29, v12
	v_and_b32_e32 v5, 7, v5
	v_cmp_eq_u32_e32 vcc, 0, v11
	v_cndmask_b32_e32 v11, v11, v12, vcc
	v_cndmask_b32_e32 v5, v10, v5, vcc
	v_mov_b32_e32 v10, 0x3b800000
	v_lshlrev_b32_e32 v5, 20, v5
	v_and_b32_e32 v4, 0x80000000, v4
	v_lshl_add_u32 v10, v11, 23, v10
	v_or3_b32 v4, v4, v10, v5
	v_cvt_f16_f32_e32 v4, v4
.LBB56_303:
	s_or_b64 exec, exec, s[36:37]
.LBB56_304:
	s_mov_b64 s[0:1], -1
.LBB56_305:
	s_mov_b64 s[36:37], 0
.LBB56_306:
	s_and_b64 vcc, exec, s[36:37]
	s_cbranch_vccz .LBB56_341
; %bb.307:
	v_mov_b32_e32 v4, 22
	v_cmp_gt_i16_sdwa s[36:37], v7, v4 src0_sel:BYTE_0 src1_sel:DWORD
	s_and_b64 vcc, exec, s[36:37]
	s_cbranch_vccz .LBB56_317
; %bb.308:
	v_mov_b32_e32 v4, 24
	v_cmp_lt_i16_sdwa s[0:1], v7, v4 src0_sel:BYTE_0 src1_sel:DWORD
	s_and_b64 vcc, exec, s[0:1]
	s_cbranch_vccnz .LBB56_320
; %bb.309:
	v_cmp_gt_i16_sdwa s[0:1], v7, v4 src0_sel:BYTE_0 src1_sel:DWORD
	s_and_b64 vcc, exec, s[0:1]
	s_cbranch_vccz .LBB56_321
; %bb.310:
	global_load_ubyte v5, v[2:3], off
	s_movk_i32 s0, 0x7f
                                        ; implicit-def: $sgpr48
	s_waitcnt vmcnt(0)
	v_cmp_lt_i16_e32 vcc, s0, v5
	s_mov_b64 s[0:1], 0
	s_and_saveexec_b64 s[36:37], vcc
	s_xor_b64 s[36:37], exec, s[36:37]
	s_cbranch_execz .LBB56_333
; %bb.311:
	s_movk_i32 s0, 0x80
	v_cmp_eq_u16_e32 vcc, s0, v5
	s_mov_b64 s[0:1], -1
                                        ; implicit-def: $sgpr48
	s_and_saveexec_b64 s[44:45], vcc
; %bb.312:
	s_movk_i32 s48, 0x7e00
	s_xor_b64 s[0:1], exec, -1
; %bb.313:
	s_or_b64 exec, exec, s[44:45]
	s_and_b64 s[0:1], s[0:1], exec
	s_or_saveexec_b64 s[36:37], s[36:37]
	v_mov_b32_e32 v4, s48
	s_xor_b64 exec, exec, s[36:37]
	s_cbranch_execnz .LBB56_334
.LBB56_314:
	s_or_b64 exec, exec, s[36:37]
	s_and_saveexec_b64 s[36:37], s[0:1]
	s_cbranch_execz .LBB56_316
.LBB56_315:
	v_lshlrev_b32_e32 v4, 24, v5
	v_and_b32_e32 v5, 0xffff, v5
	v_and_b32_e32 v10, 3, v5
	v_ffbh_u32_e32 v12, v10
	v_min_u32_e32 v12, 32, v12
	v_subrev_u32_e32 v13, 29, v12
	v_bfe_u32 v11, v5, 2, 5
	v_lshlrev_b32_e32 v5, v13, v5
	v_sub_u32_e32 v12, 30, v12
	v_and_b32_e32 v5, 3, v5
	v_cmp_eq_u32_e32 vcc, 0, v11
	v_cndmask_b32_e32 v11, v11, v12, vcc
	v_cndmask_b32_e32 v5, v10, v5, vcc
	v_mov_b32_e32 v10, 0x37800000
	v_lshlrev_b32_e32 v5, 21, v5
	v_and_b32_e32 v4, 0x80000000, v4
	v_lshl_add_u32 v10, v11, 23, v10
	v_or3_b32 v4, v4, v10, v5
	v_cvt_f16_f32_e32 v4, v4
.LBB56_316:
	s_or_b64 exec, exec, s[36:37]
	s_mov_b64 s[0:1], 0
	s_branch .LBB56_322
.LBB56_317:
	s_mov_b64 s[36:37], -1
                                        ; implicit-def: $vgpr4
	s_branch .LBB56_328
.LBB56_318:
	s_or_saveexec_b64 s[36:37], s[36:37]
	v_mov_b32_e32 v4, s48
	s_xor_b64 exec, exec, s[36:37]
	s_cbranch_execz .LBB56_301
.LBB56_319:
	v_cmp_ne_u16_e32 vcc, 0, v5
	s_andn2_b64 s[0:1], s[0:1], exec
	s_and_b64 s[44:45], vcc, exec
	s_or_b64 s[0:1], s[0:1], s[44:45]
	v_mov_b32_e32 v4, v5
	s_or_b64 exec, exec, s[36:37]
	s_and_saveexec_b64 s[36:37], s[0:1]
	s_cbranch_execnz .LBB56_302
	s_branch .LBB56_303
.LBB56_320:
	s_mov_b64 s[0:1], -1
                                        ; implicit-def: $vgpr4
	s_branch .LBB56_325
.LBB56_321:
	s_mov_b64 s[0:1], -1
                                        ; implicit-def: $vgpr4
.LBB56_322:
	s_and_b64 vcc, exec, s[0:1]
	s_cbranch_vccz .LBB56_324
; %bb.323:
	global_load_ubyte v4, v[2:3], off
	s_mov_b32 s0, 0x7f800000
	s_waitcnt vmcnt(0)
	v_lshlrev_b32_e32 v4, 24, v4
	v_and_b32_e32 v5, 0x7f000000, v4
	v_ffbh_u32_e32 v10, v5
	v_min_u32_e32 v10, 32, v10
	v_sub_u32_e64 v10, v10, 4 clamp
	v_lshlrev_b32_e32 v12, v10, v5
	v_lshlrev_b32_e32 v10, 23, v10
	v_lshrrev_b32_e32 v12, 4, v12
	v_add_u32_e32 v11, 0x1000000, v5
	v_sub_u32_e32 v10, v12, v10
	v_ashrrev_i32_e32 v11, 8, v11
	v_add_u32_e32 v10, 0x3c000000, v10
	v_and_or_b32 v10, v11, s0, v10
	v_cmp_ne_u32_e32 vcc, 0, v5
	v_cndmask_b32_e32 v5, 0, v10, vcc
	s_brev_b32 s0, 1
	v_and_or_b32 v4, v4, s0, v5
	v_cvt_f16_f32_e32 v4, v4
.LBB56_324:
	s_mov_b64 s[0:1], 0
.LBB56_325:
	s_andn2_b64 vcc, exec, s[0:1]
	s_cbranch_vccnz .LBB56_327
; %bb.326:
	global_load_ubyte v4, v[2:3], off
	s_movk_i32 s0, 0x7f00
	s_brev_b32 s1, 16
	s_waitcnt vmcnt(0)
	v_lshlrev_b16_e32 v5, 8, v4
	v_lshlrev_b32_e32 v4, 25, v4
	v_lshrrev_b32_e32 v10, 4, v4
	v_and_or_b32 v11, v5, s0, 0.5
	v_or_b32_e32 v10, 0x70000000, v10
	v_add_f32_e32 v11, -0.5, v11
	v_mul_f32_e32 v10, 0x7800000, v10
	v_cmp_gt_u32_e32 vcc, s1, v4
	v_bfe_i32 v5, v5, 0, 16
	v_cndmask_b32_e32 v4, v10, v11, vcc
	s_brev_b32 s0, 1
	v_and_or_b32 v4, v5, s0, v4
	v_cvt_f16_f32_e32 v4, v4
.LBB56_327:
	s_mov_b64 s[36:37], 0
	s_mov_b64 s[0:1], -1
.LBB56_328:
	s_andn2_b64 vcc, exec, s[36:37]
	s_cbranch_vccnz .LBB56_341
; %bb.329:
	v_mov_b32_e32 v4, 14
	v_cmp_gt_i16_sdwa s[36:37], v7, v4 src0_sel:BYTE_0 src1_sel:DWORD
	s_and_b64 vcc, exec, s[36:37]
	s_cbranch_vccz .LBB56_332
; %bb.330:
	v_mov_b32_e32 v4, 15
	v_cmp_eq_u16_sdwa s[36:37], v7, v4 src0_sel:BYTE_0 src1_sel:DWORD
	s_and_b64 vcc, exec, s[36:37]
	s_cbranch_vccz .LBB56_335
; %bb.331:
	global_load_ushort v4, v[2:3], off
	s_mov_b64 s[0:1], -1
	s_mov_b64 s[38:39], 0
	s_waitcnt vmcnt(0)
	v_lshlrev_b32_e32 v4, 16, v4
	v_cvt_f16_f32_e32 v4, v4
	s_branch .LBB56_336
.LBB56_332:
	s_mov_b64 s[36:37], -1
                                        ; implicit-def: $vgpr4
	s_branch .LBB56_337
.LBB56_333:
	s_or_saveexec_b64 s[36:37], s[36:37]
	v_mov_b32_e32 v4, s48
	s_xor_b64 exec, exec, s[36:37]
	s_cbranch_execz .LBB56_314
.LBB56_334:
	v_cmp_ne_u16_e32 vcc, 0, v5
	s_andn2_b64 s[0:1], s[0:1], exec
	s_and_b64 s[44:45], vcc, exec
	s_or_b64 s[0:1], s[0:1], s[44:45]
	v_mov_b32_e32 v4, v5
	s_or_b64 exec, exec, s[36:37]
	s_and_saveexec_b64 s[36:37], s[0:1]
	s_cbranch_execnz .LBB56_315
	s_branch .LBB56_316
.LBB56_335:
	s_mov_b64 s[38:39], -1
                                        ; implicit-def: $vgpr4
.LBB56_336:
	s_mov_b64 s[36:37], 0
.LBB56_337:
	s_and_b64 vcc, exec, s[36:37]
	s_cbranch_vccz .LBB56_341
; %bb.338:
	v_mov_b32_e32 v4, 11
	v_cmp_eq_u16_sdwa s[36:37], v7, v4 src0_sel:BYTE_0 src1_sel:DWORD
	s_and_b64 vcc, exec, s[36:37]
	s_cbranch_vccz .LBB56_340
; %bb.339:
	global_load_ubyte v4, v[2:3], off
	v_mov_b32_e32 v5, 0x3c00
	s_mov_b64 s[0:1], -1
	s_mov_b64 s[38:39], 0
	s_waitcnt vmcnt(0)
	v_cmp_ne_u16_e32 vcc, 0, v4
	v_cndmask_b32_e32 v4, 0, v5, vcc
	s_branch .LBB56_341
.LBB56_340:
	s_mov_b64 s[38:39], -1
                                        ; implicit-def: $vgpr4
.LBB56_341:
	s_branch .LBB56_30
.LBB56_342:
	v_mov_b32_e32 v4, 5
	v_cmp_lt_i16_sdwa s[0:1], v7, v4 src0_sel:BYTE_0 src1_sel:DWORD
	s_and_b64 vcc, exec, s[0:1]
	s_cbranch_vccnz .LBB56_347
; %bb.343:
	v_mov_b32_e32 v4, 8
	v_cmp_lt_i16_sdwa s[0:1], v7, v4 src0_sel:BYTE_0 src1_sel:DWORD
	s_and_b64 vcc, exec, s[0:1]
	s_cbranch_vccnz .LBB56_348
; %bb.344:
	v_mov_b32_e32 v4, 9
	v_cmp_lt_i16_sdwa s[0:1], v7, v4 src0_sel:BYTE_0 src1_sel:DWORD
	s_and_b64 vcc, exec, s[0:1]
	s_cbranch_vccnz .LBB56_349
; %bb.345:
	v_cmp_gt_i16_sdwa s[0:1], v7, v4 src0_sel:BYTE_0 src1_sel:DWORD
	s_and_b64 vcc, exec, s[0:1]
	s_cbranch_vccz .LBB56_350
; %bb.346:
	global_load_dwordx2 v[4:5], v[2:3], off
	s_mov_b64 s[0:1], 0
	s_waitcnt vmcnt(0)
	v_cvt_f32_f64_e32 v4, v[4:5]
	v_cvt_f16_f32_e32 v4, v4
	s_branch .LBB56_351
.LBB56_347:
	s_mov_b64 s[0:1], -1
                                        ; implicit-def: $vgpr4
	s_branch .LBB56_369
.LBB56_348:
	s_mov_b64 s[0:1], -1
                                        ; implicit-def: $vgpr4
	s_branch .LBB56_357
.LBB56_349:
	s_mov_b64 s[0:1], -1
                                        ; implicit-def: $vgpr4
	s_branch .LBB56_354
.LBB56_350:
	s_mov_b64 s[0:1], -1
                                        ; implicit-def: $vgpr4
.LBB56_351:
	s_andn2_b64 vcc, exec, s[0:1]
	s_cbranch_vccnz .LBB56_353
; %bb.352:
	global_load_dword v4, v[2:3], off
	s_waitcnt vmcnt(0)
	v_cvt_f16_f32_e32 v4, v4
.LBB56_353:
	s_mov_b64 s[0:1], 0
.LBB56_354:
	s_andn2_b64 vcc, exec, s[0:1]
	s_cbranch_vccnz .LBB56_356
; %bb.355:
	global_load_dword v4, v[2:3], off
.LBB56_356:
	s_mov_b64 s[0:1], 0
.LBB56_357:
	s_andn2_b64 vcc, exec, s[0:1]
	s_cbranch_vccnz .LBB56_368
; %bb.358:
	s_waitcnt vmcnt(0)
	v_mov_b32_e32 v4, 6
	v_cmp_lt_i16_sdwa s[0:1], v7, v4 src0_sel:BYTE_0 src1_sel:DWORD
	s_and_b64 vcc, exec, s[0:1]
	s_cbranch_vccnz .LBB56_361
; %bb.359:
	v_cmp_gt_i16_sdwa s[0:1], v7, v4 src0_sel:BYTE_0 src1_sel:DWORD
	s_and_b64 vcc, exec, s[0:1]
	s_cbranch_vccz .LBB56_362
; %bb.360:
	global_load_dwordx2 v[4:5], v[2:3], off
	s_mov_b64 s[0:1], 0
	s_waitcnt vmcnt(0)
	v_cvt_f32_f64_e32 v4, v[4:5]
	v_cvt_f16_f32_e32 v4, v4
	s_branch .LBB56_363
.LBB56_361:
	s_mov_b64 s[0:1], -1
                                        ; implicit-def: $vgpr4
	s_branch .LBB56_366
.LBB56_362:
	s_mov_b64 s[0:1], -1
                                        ; implicit-def: $vgpr4
.LBB56_363:
	s_andn2_b64 vcc, exec, s[0:1]
	s_cbranch_vccnz .LBB56_365
; %bb.364:
	global_load_dword v4, v[2:3], off
	s_waitcnt vmcnt(0)
	v_cvt_f16_f32_e32 v4, v4
.LBB56_365:
	s_mov_b64 s[0:1], 0
.LBB56_366:
	s_andn2_b64 vcc, exec, s[0:1]
	s_cbranch_vccnz .LBB56_368
; %bb.367:
	global_load_ushort v4, v[2:3], off
.LBB56_368:
	s_mov_b64 s[0:1], 0
.LBB56_369:
	s_andn2_b64 vcc, exec, s[0:1]
	s_cbranch_vccnz .LBB56_389
; %bb.370:
	s_waitcnt vmcnt(0)
	v_mov_b32_e32 v4, 2
	v_cmp_lt_i16_sdwa s[0:1], v7, v4 src0_sel:BYTE_0 src1_sel:DWORD
	s_and_b64 vcc, exec, s[0:1]
	s_cbranch_vccnz .LBB56_374
; %bb.371:
	v_mov_b32_e32 v4, 3
	v_cmp_lt_i16_sdwa s[0:1], v7, v4 src0_sel:BYTE_0 src1_sel:DWORD
	s_and_b64 vcc, exec, s[0:1]
	s_cbranch_vccnz .LBB56_375
; %bb.372:
	v_cmp_gt_i16_sdwa s[0:1], v7, v4 src0_sel:BYTE_0 src1_sel:DWORD
	s_and_b64 vcc, exec, s[0:1]
	s_cbranch_vccz .LBB56_376
; %bb.373:
	global_load_dwordx2 v[4:5], v[2:3], off
	s_mov_b64 s[0:1], 0
	s_waitcnt vmcnt(0)
	v_xor_b32_e32 v11, v4, v5
	v_ffbh_i32_e32 v10, v5
	v_ashrrev_i32_e32 v11, 31, v11
	v_add_u32_e32 v10, -1, v10
	v_add_u32_e32 v11, 32, v11
	v_min_u32_e32 v10, v10, v11
	v_lshlrev_b64 v[4:5], v10, v[4:5]
	v_min_u32_e32 v4, 1, v4
	v_or_b32_e32 v4, v5, v4
	v_cvt_f32_i32_e32 v4, v4
	v_sub_u32_e32 v5, 32, v10
	v_ldexp_f32 v4, v4, v5
	v_cvt_f16_f32_e32 v4, v4
	s_branch .LBB56_377
.LBB56_374:
	s_mov_b64 s[0:1], -1
                                        ; implicit-def: $vgpr4
	s_branch .LBB56_383
.LBB56_375:
	s_mov_b64 s[0:1], -1
                                        ; implicit-def: $vgpr4
	s_branch .LBB56_380
.LBB56_376:
	s_mov_b64 s[0:1], -1
                                        ; implicit-def: $vgpr4
.LBB56_377:
	s_andn2_b64 vcc, exec, s[0:1]
	s_cbranch_vccnz .LBB56_379
; %bb.378:
	global_load_dword v4, v[2:3], off
	s_waitcnt vmcnt(0)
	v_cvt_f32_i32_e32 v4, v4
	v_cvt_f16_f32_e32 v4, v4
.LBB56_379:
	s_mov_b64 s[0:1], 0
.LBB56_380:
	s_andn2_b64 vcc, exec, s[0:1]
	s_cbranch_vccnz .LBB56_382
; %bb.381:
	global_load_ushort v4, v[2:3], off
	s_waitcnt vmcnt(0)
	v_cvt_f16_i16_e32 v4, v4
.LBB56_382:
	s_mov_b64 s[0:1], 0
.LBB56_383:
	s_andn2_b64 vcc, exec, s[0:1]
	s_cbranch_vccnz .LBB56_389
; %bb.384:
	v_mov_b32_e32 v4, 0
	v_cmp_gt_i16_sdwa s[0:1], v7, v4 src0_sel:BYTE_0 src1_sel:DWORD
	s_and_b64 vcc, exec, s[0:1]
	s_cbranch_vccz .LBB56_386
; %bb.385:
	global_load_sbyte v4, v[2:3], off
	s_mov_b64 s[0:1], 0
	s_waitcnt vmcnt(0)
	v_cvt_f16_i16_e32 v4, v4
	s_branch .LBB56_387
.LBB56_386:
	s_mov_b64 s[0:1], -1
                                        ; implicit-def: $vgpr4
.LBB56_387:
	s_andn2_b64 vcc, exec, s[0:1]
	s_cbranch_vccnz .LBB56_389
; %bb.388:
	global_load_ubyte v2, v[2:3], off
	s_waitcnt vmcnt(0)
	v_cvt_f16_u16_e32 v4, v2
.LBB56_389:
	s_branch .LBB56_31
.LBB56_390:
	s_mov_b64 s[0:1], 0
.LBB56_391:
                                        ; implicit-def: $vgpr8
	s_mov_b64 s[44:45], 0
.LBB56_392:
	s_and_b64 s[36:37], s[0:1], exec
	s_and_b64 s[38:39], s[38:39], exec
	;; [unrolled: 1-line block ×3, first 2 shown]
	s_orn2_b64 s[0:1], s[44:45], exec
.LBB56_393:
	s_or_b64 exec, exec, s[42:43]
	s_mov_b64 s[50:51], 0
	s_mov_b64 s[48:49], 0
                                        ; implicit-def: $vgpr3
                                        ; implicit-def: $vgpr4_vgpr5
                                        ; implicit-def: $vgpr2
                                        ; implicit-def: $vgpr0
                                        ; implicit-def: $vgpr1
	s_and_saveexec_b64 s[42:43], s[0:1]
	s_cbranch_execz .LBB56_402
; %bb.394:
	v_cmp_gt_i32_e32 vcc, s66, v8
	s_mov_b64 s[0:1], -1
	s_mov_b64 s[44:45], s[40:41]
	s_mov_b64 s[46:47], s[38:39]
	;; [unrolled: 1-line block ×3, first 2 shown]
	s_and_saveexec_b64 s[50:51], vcc
	s_cbranch_execz .LBB56_793
; %bb.395:
	s_andn2_b64 vcc, exec, s[20:21]
	s_cbranch_vccnz .LBB56_405
; %bb.396:
	s_andn2_b64 vcc, exec, s[34:35]
	v_mov_b32_e32 v2, 0
	s_waitcnt vmcnt(0)
	v_mov_b32_e32 v4, 0
	v_mov_b32_e32 v0, 0
	s_cbranch_vccnz .LBB56_401
; %bb.397:
	s_add_i32 s0, s69, 1
	s_and_b32 s44, s0, 30
	s_add_u32 s0, s2, 0xffffffec
	s_addc_u32 s1, s3, -1
	v_mov_b32_e32 v0, 0
	v_mov_b32_e32 v1, v8
	;; [unrolled: 1-line block ×4, first 2 shown]
.LBB56_398:                             ; =>This Inner Loop Header: Depth=1
	s_mov_b64 s[46:47], s[0:1]
	s_load_dwordx4 s[52:55], s[46:47], 0x18
	s_load_dwordx2 s[48:49], s[46:47], 0x28
	s_load_dwordx2 s[60:61], s[46:47], 0xe8
	s_load_dwordx4 s[56:59], s[46:47], 0xd8
	s_add_u32 s0, s46, 24
	s_waitcnt lgkmcnt(0)
	v_mul_hi_u32 v3, s53, v1
	v_add_u32_e32 v3, v1, v3
	v_lshrrev_b32_e32 v3, s54, v3
	v_mul_lo_u32 v5, v3, s52
	v_mul_hi_u32 v10, s48, v3
	v_sub_u32_e32 v1, v1, v5
	v_add_u32_e32 v5, v3, v10
	v_mul_lo_u32 v10, v1, s56
	v_mul_lo_u32 v11, v1, s57
	;; [unrolled: 1-line block ×3, first 2 shown]
	v_lshrrev_b32_e32 v1, s49, v5
	v_mul_lo_u32 v5, v1, s55
	v_sub_u32_e32 v3, v3, v5
	s_addc_u32 s1, s47, 0
	s_add_i32 s44, s44, -2
	v_mul_lo_u32 v5, v3, s59
	v_mul_lo_u32 v13, v3, s60
	;; [unrolled: 1-line block ×3, first 2 shown]
	s_cmp_eq_u32 s44, 0
	v_add3_u32 v0, v10, v0, v5
	v_add3_u32 v2, v12, v2, v3
	;; [unrolled: 1-line block ×3, first 2 shown]
	s_cbranch_scc0 .LBB56_398
; %bb.399:
	s_bitcmp1_b32 s69, 0
	s_cselect_b64 s[44:45], -1, 0
	s_and_b64 vcc, exec, s[44:45]
	s_cbranch_vccnz .LBB56_401
; %bb.400:
	s_load_dwordx2 s[44:45], s[0:1], 0x18
	s_load_dword s46, s[0:1], 0x20
	s_load_dword s47, s[0:1], 0xe0
	s_nop 0
	s_load_dwordx2 s[0:1], s[0:1], 0xd8
	s_waitcnt lgkmcnt(0)
	v_mul_hi_u32 v3, s45, v1
	v_add_u32_e32 v3, v1, v3
	v_lshrrev_b32_e32 v3, s46, v3
	v_mul_lo_u32 v3, v3, s44
	v_sub_u32_e32 v3, v1, v3
	v_mad_u64_u32 v[0:1], s[44:45], v3, s0, v[0:1]
	v_mad_u64_u32 v[4:5], s[0:1], v3, s1, v[4:5]
	;; [unrolled: 1-line block ×3, first 2 shown]
.LBB56_401:
	s_cbranch_execz .LBB56_406
	s_branch .LBB56_408
.LBB56_402:
	s_or_b64 exec, exec, s[42:43]
	s_waitcnt lgkmcnt(0)
	s_mov_b64 s[10:11], 0
	s_and_saveexec_b64 s[0:1], s[40:41]
	s_cbranch_execnz .LBB56_1289
.LBB56_403:
	s_or_b64 exec, exec, s[0:1]
	s_and_saveexec_b64 s[0:1], s[46:47]
	s_xor_b64 s[0:1], exec, s[0:1]
	s_cbranch_execz .LBB56_1290
.LBB56_404:
	s_waitcnt vmcnt(0)
	global_load_ubyte v1, v[4:5], off
	v_mov_b32_e32 v8, 0x3c00
	s_or_b64 s[48:49], s[48:49], exec
	s_waitcnt vmcnt(0)
	v_cmp_ne_u16_e32 vcc, 0, v1
	v_cndmask_b32_e32 v1, 0, v8, vcc
	s_or_b64 exec, exec, s[0:1]
	s_and_saveexec_b64 s[0:1], s[50:51]
	s_cbranch_execz .LBB56_1336
	s_branch .LBB56_1291
.LBB56_405:
                                        ; implicit-def: $vgpr2
                                        ; implicit-def: $vgpr4
                                        ; implicit-def: $vgpr0
	s_andn2_b64 vcc, exec, s[0:1]
	s_cbranch_vccnz .LBB56_408
.LBB56_406:
	s_waitcnt lgkmcnt(0)
	v_mul_hi_u32 v0, s17, v8
	v_add_u32_e32 v0, v8, v0
	s_waitcnt vmcnt(0)
	v_lshrrev_b32_e32 v1, s18, v0
	v_mul_lo_u32 v0, v1, s16
	v_sub_u32_e32 v3, v8, v0
	v_mul_lo_u32 v0, v3, s12
	v_mul_lo_u32 v2, v3, s14
	s_andn2_b64 vcc, exec, s[30:31]
	v_mul_lo_u32 v4, v3, s13
	s_cbranch_vccnz .LBB56_408
; %bb.407:
	v_mul_hi_u32 v3, s28, v1
	v_add_u32_e32 v3, v1, v3
	v_lshrrev_b32_e32 v3, s29, v3
	v_mul_lo_u32 v3, v3, s19
	v_sub_u32_e32 v3, v1, v3
	v_mad_u64_u32 v[0:1], s[0:1], v3, s15, v[0:1]
	v_mad_u64_u32 v[4:5], s[0:1], v3, s26, v[4:5]
	v_mad_u64_u32 v[2:3], s[0:1], v3, s27, v[2:3]
.LBB56_408:
	s_waitcnt vmcnt(0) lgkmcnt(0)
	v_mov_b32_e32 v1, s11
	v_add_co_u32_e32 v4, vcc, s10, v4
	v_addc_co_u32_e32 v5, vcc, 0, v1, vcc
	v_mov_b32_e32 v1, 11
	v_cmp_lt_i16_sdwa s[0:1], v9, v1 src0_sel:BYTE_0 src1_sel:DWORD
	s_and_b64 vcc, exec, s[0:1]
	s_cbranch_vccnz .LBB56_415
; %bb.409:
	v_mov_b32_e32 v1, 25
	v_cmp_gt_i16_sdwa s[0:1], v9, v1 src0_sel:BYTE_0 src1_sel:DWORD
	s_and_b64 vcc, exec, s[0:1]
	s_cbranch_vccz .LBB56_424
; %bb.410:
	v_mov_b32_e32 v1, 28
	v_cmp_gt_i16_sdwa s[0:1], v9, v1 src0_sel:BYTE_0 src1_sel:DWORD
	s_and_b64 vcc, exec, s[0:1]
	s_cbranch_vccz .LBB56_426
	;; [unrolled: 5-line block ×4, first 2 shown]
; %bb.413:
	v_mov_b32_e32 v1, 46
	v_cmp_eq_u16_sdwa s[0:1], v9, v1 src0_sel:BYTE_0 src1_sel:DWORD
	s_mov_b64 s[46:47], 0
	s_and_b64 vcc, exec, s[0:1]
	s_cbranch_vccz .LBB56_434
; %bb.414:
	global_load_dword v1, v[4:5], off
	s_mov_b64 s[0:1], -1
	s_mov_b64 s[44:45], 0
	s_waitcnt vmcnt(0)
	v_lshlrev_b32_e32 v1, 16, v1
	v_cvt_f16_f32_e32 v1, v1
	s_branch .LBB56_435
.LBB56_415:
	s_mov_b64 s[0:1], 0
                                        ; implicit-def: $vgpr1
	s_mov_b64 s[44:45], s[40:41]
	s_cbranch_execnz .LBB56_501
.LBB56_416:
	s_andn2_b64 vcc, exec, s[0:1]
	s_cbranch_vccnz .LBB56_549
.LBB56_417:
	v_mov_b32_e32 v3, s25
	v_add_co_u32_e32 v2, vcc, s24, v2
	v_mov_b32_e32 v4, 11
	v_addc_co_u32_e32 v3, vcc, 0, v3, vcc
	v_cmp_lt_i16_sdwa s[0:1], v7, v4 src0_sel:BYTE_0 src1_sel:DWORD
	s_and_b64 vcc, exec, s[0:1]
	s_cbranch_vccnz .LBB56_425
; %bb.418:
	v_mov_b32_e32 v4, 25
	v_cmp_gt_i16_sdwa s[0:1], v7, v4 src0_sel:BYTE_0 src1_sel:DWORD
	s_and_b64 vcc, exec, s[0:1]
	s_cbranch_vccz .LBB56_427
; %bb.419:
	v_mov_b32_e32 v4, 28
	v_cmp_gt_i16_sdwa s[0:1], v7, v4 src0_sel:BYTE_0 src1_sel:DWORD
	s_and_b64 vcc, exec, s[0:1]
	s_cbranch_vccz .LBB56_429
	;; [unrolled: 5-line block ×4, first 2 shown]
; %bb.422:
	v_mov_b32_e32 v4, 46
	v_cmp_eq_u16_sdwa s[0:1], v7, v4 src0_sel:BYTE_0 src1_sel:DWORD
	s_mov_b64 s[48:49], 0
	s_and_b64 vcc, exec, s[0:1]
	s_cbranch_vccz .LBB56_553
; %bb.423:
	global_load_dword v4, v[2:3], off
	s_mov_b64 s[0:1], -1
	s_mov_b64 s[46:47], 0
	s_waitcnt vmcnt(0)
	v_lshlrev_b32_e32 v4, 16, v4
	v_cvt_f16_f32_e32 v4, v4
	s_branch .LBB56_554
.LBB56_424:
	s_mov_b64 s[46:47], -1
	s_mov_b64 s[0:1], 0
	s_mov_b64 s[44:45], s[40:41]
                                        ; implicit-def: $vgpr1
	s_branch .LBB56_465
.LBB56_425:
	s_mov_b64 s[48:49], -1
	s_mov_b64 s[0:1], 0
                                        ; implicit-def: $vgpr4
	s_mov_b64 s[46:47], s[38:39]
	s_branch .LBB56_619
.LBB56_426:
	s_mov_b64 s[46:47], -1
	s_mov_b64 s[0:1], 0
	s_mov_b64 s[44:45], s[40:41]
                                        ; implicit-def: $vgpr1
	s_branch .LBB56_446
.LBB56_427:
	s_mov_b64 s[48:49], -1
	s_mov_b64 s[0:1], 0
	s_mov_b64 s[46:47], s[38:39]
                                        ; implicit-def: $vgpr4
	s_branch .LBB56_583
.LBB56_428:
	s_mov_b64 s[46:47], -1
	s_mov_b64 s[0:1], 0
	s_mov_b64 s[44:45], s[40:41]
                                        ; implicit-def: $vgpr1
	s_branch .LBB56_441
.LBB56_429:
	s_mov_b64 s[48:49], -1
	s_mov_b64 s[0:1], 0
	s_mov_b64 s[46:47], s[38:39]
                                        ; implicit-def: $vgpr4
	s_branch .LBB56_564
.LBB56_430:
	s_mov_b64 s[46:47], -1
	s_mov_b64 s[0:1], 0
	s_mov_b64 s[44:45], s[40:41]
                                        ; implicit-def: $vgpr1
	s_branch .LBB56_435
.LBB56_431:
	s_mov_b64 s[48:49], -1
	s_mov_b64 s[0:1], 0
	s_mov_b64 s[46:47], s[38:39]
                                        ; implicit-def: $vgpr4
	s_branch .LBB56_559
.LBB56_432:
	s_or_saveexec_b64 s[48:49], s[48:49]
                                        ; implicit-def: $sgpr50
	s_xor_b64 exec, exec, s[48:49]
	s_cbranch_execz .LBB56_190
.LBB56_433:
	s_mov_b32 s50, 0x46000000
	v_add_f32_e64 v4, |v3|, s50
	v_and_b32_e32 v4, 0xff, v4
	v_cmp_ne_u32_e32 vcc, 0, v4
	s_andn2_b64 s[44:45], s[44:45], exec
	s_and_b64 s[52:53], vcc, exec
	s_mov_b32 s50, 0
	s_or_b64 s[44:45], s[44:45], s[52:53]
	s_or_b64 exec, exec, s[48:49]
	v_mov_b32_e32 v5, s50
	s_and_saveexec_b64 s[48:49], s[44:45]
	s_cbranch_execnz .LBB56_191
	s_branch .LBB56_192
.LBB56_434:
	s_mov_b64 s[44:45], -1
                                        ; implicit-def: $vgpr1
	s_mov_b64 s[0:1], 0
.LBB56_435:
	s_and_b64 vcc, exec, s[46:47]
	s_cbranch_vccz .LBB56_440
; %bb.436:
	v_mov_b32_e32 v1, 44
	v_cmp_eq_u16_sdwa s[44:45], v9, v1 src0_sel:BYTE_0 src1_sel:DWORD
	s_and_b64 vcc, exec, s[44:45]
	s_cbranch_vccz .LBB56_439
; %bb.437:
	global_load_ubyte v1, v[4:5], off
	s_movk_i32 s44, 0xff
	v_mov_b32_e32 v10, 0x7e00
	s_mov_b64 s[0:1], -1
	s_waitcnt vmcnt(0)
	v_lshlrev_b32_e32 v3, 23, v1
	v_cvt_f16_f32_e32 v3, v3
	v_cmp_ne_u32_e32 vcc, s44, v1
	s_mov_b64 s[44:45], 0
	v_cndmask_b32_e32 v3, v10, v3, vcc
	v_cmp_ne_u32_e32 vcc, 0, v1
	v_cndmask_b32_e32 v1, 0, v3, vcc
	s_branch .LBB56_440
.LBB56_438:
	s_mov_b64 s[48:49], -1
	s_mov_b64 s[0:1], 0
	s_mov_b64 s[46:47], s[38:39]
                                        ; implicit-def: $vgpr4
	s_branch .LBB56_554
.LBB56_439:
	s_mov_b64 s[44:45], -1
                                        ; implicit-def: $vgpr1
.LBB56_440:
	s_mov_b64 s[46:47], 0
.LBB56_441:
	s_and_b64 vcc, exec, s[46:47]
	s_cbranch_vccz .LBB56_445
; %bb.442:
	v_mov_b32_e32 v1, 29
	v_cmp_eq_u16_sdwa s[44:45], v9, v1 src0_sel:BYTE_0 src1_sel:DWORD
	s_and_b64 vcc, exec, s[44:45]
	s_cbranch_vccz .LBB56_444
; %bb.443:
	global_load_dwordx2 v[10:11], v[4:5], off
	s_mov_b64 s[0:1], -1
	s_mov_b64 s[44:45], 0
	s_mov_b64 s[46:47], 0
	s_waitcnt vmcnt(0)
	v_ffbh_u32_e32 v1, v11
	v_min_u32_e32 v1, 32, v1
	v_lshlrev_b64 v[10:11], v1, v[10:11]
	v_min_u32_e32 v3, 1, v10
	v_or_b32_e32 v3, v11, v3
	v_cvt_f32_u32_e32 v3, v3
	v_sub_u32_e32 v1, 32, v1
	v_ldexp_f32 v1, v3, v1
	v_cvt_f16_f32_e32 v1, v1
	s_branch .LBB56_446
.LBB56_444:
	s_mov_b64 s[44:45], -1
                                        ; implicit-def: $vgpr1
.LBB56_445:
	s_mov_b64 s[46:47], 0
.LBB56_446:
	s_and_b64 vcc, exec, s[46:47]
	s_cbranch_vccz .LBB56_464
; %bb.447:
	v_mov_b32_e32 v1, 27
	v_cmp_lt_i16_sdwa s[0:1], v9, v1 src0_sel:BYTE_0 src1_sel:DWORD
	s_and_b64 vcc, exec, s[0:1]
	s_cbranch_vccnz .LBB56_450
; %bb.448:
	v_cmp_gt_i16_sdwa s[0:1], v9, v1 src0_sel:BYTE_0 src1_sel:DWORD
	s_and_b64 vcc, exec, s[0:1]
	s_cbranch_vccz .LBB56_451
; %bb.449:
	global_load_dword v1, v[4:5], off
	s_mov_b64 s[0:1], 0
	s_waitcnt vmcnt(0)
	v_cvt_f32_u32_e32 v1, v1
	v_cvt_f16_f32_e32 v1, v1
	s_branch .LBB56_452
.LBB56_450:
	s_mov_b64 s[0:1], -1
                                        ; implicit-def: $vgpr1
	s_branch .LBB56_455
.LBB56_451:
	s_mov_b64 s[0:1], -1
                                        ; implicit-def: $vgpr1
.LBB56_452:
	s_andn2_b64 vcc, exec, s[0:1]
	s_cbranch_vccnz .LBB56_454
; %bb.453:
	global_load_ushort v1, v[4:5], off
	s_waitcnt vmcnt(0)
	v_cvt_f16_u16_e32 v1, v1
.LBB56_454:
	s_mov_b64 s[0:1], 0
.LBB56_455:
	s_andn2_b64 vcc, exec, s[0:1]
	s_cbranch_vccnz .LBB56_463
; %bb.456:
	global_load_ubyte v3, v[4:5], off
	s_movk_i32 s0, 0x7f
                                        ; implicit-def: $sgpr52
	s_waitcnt vmcnt(0)
	v_cmp_lt_i16_e32 vcc, s0, v3
	s_mov_b64 s[0:1], 0
	s_and_saveexec_b64 s[46:47], vcc
	s_xor_b64 s[46:47], exec, s[46:47]
	s_cbranch_execz .LBB56_477
; %bb.457:
	s_movk_i32 s0, 0x80
	v_cmp_eq_u16_e32 vcc, s0, v3
	s_mov_b64 s[0:1], -1
                                        ; implicit-def: $sgpr52
	s_and_saveexec_b64 s[48:49], vcc
; %bb.458:
	s_movk_i32 s52, 0x7e00
	s_xor_b64 s[0:1], exec, -1
; %bb.459:
	s_or_b64 exec, exec, s[48:49]
	s_and_b64 s[0:1], s[0:1], exec
	s_or_saveexec_b64 s[46:47], s[46:47]
	v_mov_b32_e32 v1, s52
	s_xor_b64 exec, exec, s[46:47]
	s_cbranch_execnz .LBB56_478
.LBB56_460:
	s_or_b64 exec, exec, s[46:47]
	s_and_saveexec_b64 s[46:47], s[0:1]
	s_cbranch_execz .LBB56_462
.LBB56_461:
	v_lshlrev_b32_e32 v1, 24, v3
	v_and_b32_e32 v3, 0xffff, v3
	v_and_b32_e32 v10, 7, v3
	v_ffbh_u32_e32 v12, v10
	v_min_u32_e32 v12, 32, v12
	v_subrev_u32_e32 v13, 28, v12
	v_bfe_u32 v11, v3, 3, 4
	v_lshlrev_b32_e32 v3, v13, v3
	v_sub_u32_e32 v12, 29, v12
	v_and_b32_e32 v3, 7, v3
	v_cmp_eq_u32_e32 vcc, 0, v11
	v_cndmask_b32_e32 v11, v11, v12, vcc
	v_cndmask_b32_e32 v3, v10, v3, vcc
	v_mov_b32_e32 v10, 0x3b800000
	v_lshlrev_b32_e32 v3, 20, v3
	v_and_b32_e32 v1, 0x80000000, v1
	v_lshl_add_u32 v10, v11, 23, v10
	v_or3_b32 v1, v1, v10, v3
	v_cvt_f16_f32_e32 v1, v1
.LBB56_462:
	s_or_b64 exec, exec, s[46:47]
.LBB56_463:
	s_mov_b64 s[0:1], -1
.LBB56_464:
	s_mov_b64 s[46:47], 0
.LBB56_465:
	s_and_b64 vcc, exec, s[46:47]
	s_cbranch_vccz .LBB56_500
; %bb.466:
	v_mov_b32_e32 v1, 22
	v_cmp_gt_i16_sdwa s[46:47], v9, v1 src0_sel:BYTE_0 src1_sel:DWORD
	s_and_b64 vcc, exec, s[46:47]
	s_cbranch_vccz .LBB56_476
; %bb.467:
	v_mov_b32_e32 v1, 24
	v_cmp_lt_i16_sdwa s[0:1], v9, v1 src0_sel:BYTE_0 src1_sel:DWORD
	s_and_b64 vcc, exec, s[0:1]
	s_cbranch_vccnz .LBB56_479
; %bb.468:
	v_cmp_gt_i16_sdwa s[0:1], v9, v1 src0_sel:BYTE_0 src1_sel:DWORD
	s_and_b64 vcc, exec, s[0:1]
	s_cbranch_vccz .LBB56_480
; %bb.469:
	global_load_ubyte v3, v[4:5], off
	s_movk_i32 s0, 0x7f
                                        ; implicit-def: $sgpr52
	s_waitcnt vmcnt(0)
	v_cmp_lt_i16_e32 vcc, s0, v3
	s_mov_b64 s[0:1], 0
	s_and_saveexec_b64 s[46:47], vcc
	s_xor_b64 s[46:47], exec, s[46:47]
	s_cbranch_execz .LBB56_492
; %bb.470:
	s_movk_i32 s0, 0x80
	v_cmp_eq_u16_e32 vcc, s0, v3
	s_mov_b64 s[0:1], -1
                                        ; implicit-def: $sgpr52
	s_and_saveexec_b64 s[48:49], vcc
; %bb.471:
	s_movk_i32 s52, 0x7e00
	s_xor_b64 s[0:1], exec, -1
; %bb.472:
	s_or_b64 exec, exec, s[48:49]
	s_and_b64 s[0:1], s[0:1], exec
	s_or_saveexec_b64 s[46:47], s[46:47]
	v_mov_b32_e32 v1, s52
	s_xor_b64 exec, exec, s[46:47]
	s_cbranch_execnz .LBB56_493
.LBB56_473:
	s_or_b64 exec, exec, s[46:47]
	s_and_saveexec_b64 s[46:47], s[0:1]
	s_cbranch_execz .LBB56_475
.LBB56_474:
	v_lshlrev_b32_e32 v1, 24, v3
	v_and_b32_e32 v3, 0xffff, v3
	v_and_b32_e32 v10, 3, v3
	v_ffbh_u32_e32 v12, v10
	v_min_u32_e32 v12, 32, v12
	v_subrev_u32_e32 v13, 29, v12
	v_bfe_u32 v11, v3, 2, 5
	v_lshlrev_b32_e32 v3, v13, v3
	v_sub_u32_e32 v12, 30, v12
	v_and_b32_e32 v3, 3, v3
	v_cmp_eq_u32_e32 vcc, 0, v11
	v_cndmask_b32_e32 v11, v11, v12, vcc
	v_cndmask_b32_e32 v3, v10, v3, vcc
	v_mov_b32_e32 v10, 0x37800000
	v_lshlrev_b32_e32 v3, 21, v3
	v_and_b32_e32 v1, 0x80000000, v1
	v_lshl_add_u32 v10, v11, 23, v10
	v_or3_b32 v1, v1, v10, v3
	v_cvt_f16_f32_e32 v1, v1
.LBB56_475:
	s_or_b64 exec, exec, s[46:47]
	s_mov_b64 s[0:1], 0
	s_branch .LBB56_481
.LBB56_476:
	s_mov_b64 s[46:47], -1
                                        ; implicit-def: $vgpr1
	s_branch .LBB56_487
.LBB56_477:
	s_or_saveexec_b64 s[46:47], s[46:47]
	v_mov_b32_e32 v1, s52
	s_xor_b64 exec, exec, s[46:47]
	s_cbranch_execz .LBB56_460
.LBB56_478:
	v_cmp_ne_u16_e32 vcc, 0, v3
	s_andn2_b64 s[0:1], s[0:1], exec
	s_and_b64 s[48:49], vcc, exec
	s_or_b64 s[0:1], s[0:1], s[48:49]
	v_mov_b32_e32 v1, v3
	s_or_b64 exec, exec, s[46:47]
	s_and_saveexec_b64 s[46:47], s[0:1]
	s_cbranch_execnz .LBB56_461
	s_branch .LBB56_462
.LBB56_479:
	s_mov_b64 s[0:1], -1
                                        ; implicit-def: $vgpr1
	s_branch .LBB56_484
.LBB56_480:
	s_mov_b64 s[0:1], -1
                                        ; implicit-def: $vgpr1
.LBB56_481:
	s_and_b64 vcc, exec, s[0:1]
	s_cbranch_vccz .LBB56_483
; %bb.482:
	global_load_ubyte v1, v[4:5], off
	s_mov_b32 s0, 0x7f800000
	s_waitcnt vmcnt(0)
	v_lshlrev_b32_e32 v1, 24, v1
	v_and_b32_e32 v3, 0x7f000000, v1
	v_ffbh_u32_e32 v10, v3
	v_min_u32_e32 v10, 32, v10
	v_sub_u32_e64 v10, v10, 4 clamp
	v_lshlrev_b32_e32 v12, v10, v3
	v_lshlrev_b32_e32 v10, 23, v10
	v_lshrrev_b32_e32 v12, 4, v12
	v_add_u32_e32 v11, 0x1000000, v3
	v_sub_u32_e32 v10, v12, v10
	v_ashrrev_i32_e32 v11, 8, v11
	v_add_u32_e32 v10, 0x3c000000, v10
	v_and_or_b32 v10, v11, s0, v10
	v_cmp_ne_u32_e32 vcc, 0, v3
	v_cndmask_b32_e32 v3, 0, v10, vcc
	s_brev_b32 s0, 1
	v_and_or_b32 v1, v1, s0, v3
	v_cvt_f16_f32_e32 v1, v1
.LBB56_483:
	s_mov_b64 s[0:1], 0
.LBB56_484:
	s_andn2_b64 vcc, exec, s[0:1]
	s_cbranch_vccnz .LBB56_486
; %bb.485:
	global_load_ubyte v1, v[4:5], off
	s_movk_i32 s0, 0x7f00
	s_brev_b32 s1, 16
	s_waitcnt vmcnt(0)
	v_lshlrev_b16_e32 v3, 8, v1
	v_lshlrev_b32_e32 v1, 25, v1
	v_lshrrev_b32_e32 v10, 4, v1
	v_and_or_b32 v11, v3, s0, 0.5
	v_or_b32_e32 v10, 0x70000000, v10
	v_add_f32_e32 v11, -0.5, v11
	v_mul_f32_e32 v10, 0x7800000, v10
	v_cmp_gt_u32_e32 vcc, s1, v1
	v_bfe_i32 v3, v3, 0, 16
	v_cndmask_b32_e32 v1, v10, v11, vcc
	s_brev_b32 s0, 1
	v_and_or_b32 v1, v3, s0, v1
	v_cvt_f16_f32_e32 v1, v1
.LBB56_486:
	s_mov_b64 s[46:47], 0
	s_mov_b64 s[0:1], -1
.LBB56_487:
	s_andn2_b64 vcc, exec, s[46:47]
	s_cbranch_vccnz .LBB56_500
; %bb.488:
	v_mov_b32_e32 v1, 14
	v_cmp_gt_i16_sdwa s[46:47], v9, v1 src0_sel:BYTE_0 src1_sel:DWORD
	s_and_b64 vcc, exec, s[46:47]
	s_cbranch_vccz .LBB56_491
; %bb.489:
	v_mov_b32_e32 v1, 15
	v_cmp_eq_u16_sdwa s[44:45], v9, v1 src0_sel:BYTE_0 src1_sel:DWORD
	s_and_b64 vcc, exec, s[44:45]
	s_cbranch_vccz .LBB56_494
; %bb.490:
	global_load_ushort v1, v[4:5], off
	s_mov_b64 s[0:1], -1
	s_mov_b64 s[44:45], 0
	s_waitcnt vmcnt(0)
	v_lshlrev_b32_e32 v1, 16, v1
	v_cvt_f16_f32_e32 v1, v1
	s_branch .LBB56_495
.LBB56_491:
	s_mov_b64 s[46:47], -1
                                        ; implicit-def: $vgpr1
	s_branch .LBB56_496
.LBB56_492:
	s_or_saveexec_b64 s[46:47], s[46:47]
	v_mov_b32_e32 v1, s52
	s_xor_b64 exec, exec, s[46:47]
	s_cbranch_execz .LBB56_473
.LBB56_493:
	v_cmp_ne_u16_e32 vcc, 0, v3
	s_andn2_b64 s[0:1], s[0:1], exec
	s_and_b64 s[48:49], vcc, exec
	s_or_b64 s[0:1], s[0:1], s[48:49]
	v_mov_b32_e32 v1, v3
	s_or_b64 exec, exec, s[46:47]
	s_and_saveexec_b64 s[46:47], s[0:1]
	s_cbranch_execnz .LBB56_474
	s_branch .LBB56_475
.LBB56_494:
	s_mov_b64 s[44:45], -1
                                        ; implicit-def: $vgpr1
.LBB56_495:
	s_mov_b64 s[46:47], 0
.LBB56_496:
	s_and_b64 vcc, exec, s[46:47]
	s_cbranch_vccz .LBB56_500
; %bb.497:
	v_mov_b32_e32 v1, 11
	v_cmp_eq_u16_sdwa s[44:45], v9, v1 src0_sel:BYTE_0 src1_sel:DWORD
	s_and_b64 vcc, exec, s[44:45]
	s_cbranch_vccz .LBB56_499
; %bb.498:
	global_load_ubyte v1, v[4:5], off
	v_mov_b32_e32 v3, 0x3c00
	s_mov_b64 s[0:1], -1
	s_mov_b64 s[44:45], 0
	s_waitcnt vmcnt(0)
	v_cmp_ne_u16_e32 vcc, 0, v1
	v_cndmask_b32_e32 v1, 0, v3, vcc
	s_branch .LBB56_500
.LBB56_499:
	s_mov_b64 s[44:45], -1
                                        ; implicit-def: $vgpr1
.LBB56_500:
	s_branch .LBB56_416
.LBB56_501:
	v_mov_b32_e32 v1, 5
	v_cmp_lt_i16_sdwa s[0:1], v9, v1 src0_sel:BYTE_0 src1_sel:DWORD
	s_and_b64 vcc, exec, s[0:1]
	s_cbranch_vccnz .LBB56_506
; %bb.502:
	v_mov_b32_e32 v1, 8
	v_cmp_lt_i16_sdwa s[0:1], v9, v1 src0_sel:BYTE_0 src1_sel:DWORD
	s_and_b64 vcc, exec, s[0:1]
	s_cbranch_vccnz .LBB56_507
; %bb.503:
	;; [unrolled: 5-line block ×3, first 2 shown]
	v_cmp_gt_i16_sdwa s[0:1], v9, v1 src0_sel:BYTE_0 src1_sel:DWORD
	s_and_b64 vcc, exec, s[0:1]
	s_cbranch_vccz .LBB56_509
; %bb.505:
	global_load_dwordx2 v[10:11], v[4:5], off
	s_mov_b64 s[0:1], 0
	s_waitcnt vmcnt(0)
	v_cvt_f32_f64_e32 v1, v[10:11]
	v_cvt_f16_f32_e32 v1, v1
	s_branch .LBB56_510
.LBB56_506:
	s_mov_b64 s[0:1], -1
                                        ; implicit-def: $vgpr1
	s_branch .LBB56_528
.LBB56_507:
	s_mov_b64 s[0:1], -1
                                        ; implicit-def: $vgpr1
	s_branch .LBB56_516
.LBB56_508:
	s_mov_b64 s[0:1], -1
                                        ; implicit-def: $vgpr1
	s_branch .LBB56_513
.LBB56_509:
	s_mov_b64 s[0:1], -1
                                        ; implicit-def: $vgpr1
.LBB56_510:
	s_andn2_b64 vcc, exec, s[0:1]
	s_cbranch_vccnz .LBB56_512
; %bb.511:
	global_load_dword v1, v[4:5], off
	s_waitcnt vmcnt(0)
	v_cvt_f16_f32_e32 v1, v1
.LBB56_512:
	s_mov_b64 s[0:1], 0
.LBB56_513:
	s_andn2_b64 vcc, exec, s[0:1]
	s_cbranch_vccnz .LBB56_515
; %bb.514:
	global_load_dword v1, v[4:5], off
.LBB56_515:
	s_mov_b64 s[0:1], 0
.LBB56_516:
	s_andn2_b64 vcc, exec, s[0:1]
	s_cbranch_vccnz .LBB56_527
; %bb.517:
	s_waitcnt vmcnt(0)
	v_mov_b32_e32 v1, 6
	v_cmp_lt_i16_sdwa s[0:1], v9, v1 src0_sel:BYTE_0 src1_sel:DWORD
	s_and_b64 vcc, exec, s[0:1]
	s_cbranch_vccnz .LBB56_520
; %bb.518:
	v_cmp_gt_i16_sdwa s[0:1], v9, v1 src0_sel:BYTE_0 src1_sel:DWORD
	s_and_b64 vcc, exec, s[0:1]
	s_cbranch_vccz .LBB56_521
; %bb.519:
	global_load_dwordx2 v[10:11], v[4:5], off
	s_mov_b64 s[0:1], 0
	s_waitcnt vmcnt(0)
	v_cvt_f32_f64_e32 v1, v[10:11]
	v_cvt_f16_f32_e32 v1, v1
	s_branch .LBB56_522
.LBB56_520:
	s_mov_b64 s[0:1], -1
                                        ; implicit-def: $vgpr1
	s_branch .LBB56_525
.LBB56_521:
	s_mov_b64 s[0:1], -1
                                        ; implicit-def: $vgpr1
.LBB56_522:
	s_andn2_b64 vcc, exec, s[0:1]
	s_cbranch_vccnz .LBB56_524
; %bb.523:
	global_load_dword v1, v[4:5], off
	s_waitcnt vmcnt(0)
	v_cvt_f16_f32_e32 v1, v1
.LBB56_524:
	s_mov_b64 s[0:1], 0
.LBB56_525:
	s_andn2_b64 vcc, exec, s[0:1]
	s_cbranch_vccnz .LBB56_527
; %bb.526:
	global_load_ushort v1, v[4:5], off
.LBB56_527:
	s_mov_b64 s[0:1], 0
.LBB56_528:
	s_andn2_b64 vcc, exec, s[0:1]
	s_cbranch_vccnz .LBB56_548
; %bb.529:
	s_waitcnt vmcnt(0)
	v_mov_b32_e32 v1, 2
	v_cmp_lt_i16_sdwa s[0:1], v9, v1 src0_sel:BYTE_0 src1_sel:DWORD
	s_and_b64 vcc, exec, s[0:1]
	s_cbranch_vccnz .LBB56_533
; %bb.530:
	v_mov_b32_e32 v1, 3
	v_cmp_lt_i16_sdwa s[0:1], v9, v1 src0_sel:BYTE_0 src1_sel:DWORD
	s_and_b64 vcc, exec, s[0:1]
	s_cbranch_vccnz .LBB56_534
; %bb.531:
	v_cmp_gt_i16_sdwa s[0:1], v9, v1 src0_sel:BYTE_0 src1_sel:DWORD
	s_and_b64 vcc, exec, s[0:1]
	s_cbranch_vccz .LBB56_535
; %bb.532:
	global_load_dwordx2 v[10:11], v[4:5], off
	s_mov_b64 s[0:1], 0
	s_waitcnt vmcnt(0)
	v_xor_b32_e32 v3, v10, v11
	v_ffbh_i32_e32 v1, v11
	v_ashrrev_i32_e32 v3, 31, v3
	v_add_u32_e32 v1, -1, v1
	v_add_u32_e32 v3, 32, v3
	v_min_u32_e32 v1, v1, v3
	v_lshlrev_b64 v[10:11], v1, v[10:11]
	v_min_u32_e32 v3, 1, v10
	v_or_b32_e32 v3, v11, v3
	v_cvt_f32_i32_e32 v3, v3
	v_sub_u32_e32 v1, 32, v1
	v_ldexp_f32 v1, v3, v1
	v_cvt_f16_f32_e32 v1, v1
	s_branch .LBB56_536
.LBB56_533:
	s_mov_b64 s[0:1], -1
                                        ; implicit-def: $vgpr1
	s_branch .LBB56_542
.LBB56_534:
	s_mov_b64 s[0:1], -1
                                        ; implicit-def: $vgpr1
	s_branch .LBB56_539
.LBB56_535:
	s_mov_b64 s[0:1], -1
                                        ; implicit-def: $vgpr1
.LBB56_536:
	s_andn2_b64 vcc, exec, s[0:1]
	s_cbranch_vccnz .LBB56_538
; %bb.537:
	global_load_dword v1, v[4:5], off
	s_waitcnt vmcnt(0)
	v_cvt_f32_i32_e32 v1, v1
	v_cvt_f16_f32_e32 v1, v1
.LBB56_538:
	s_mov_b64 s[0:1], 0
.LBB56_539:
	s_andn2_b64 vcc, exec, s[0:1]
	s_cbranch_vccnz .LBB56_541
; %bb.540:
	global_load_ushort v1, v[4:5], off
	s_waitcnt vmcnt(0)
	v_cvt_f16_i16_e32 v1, v1
.LBB56_541:
	s_mov_b64 s[0:1], 0
.LBB56_542:
	s_andn2_b64 vcc, exec, s[0:1]
	s_cbranch_vccnz .LBB56_548
; %bb.543:
	v_mov_b32_e32 v1, 0
	v_cmp_gt_i16_sdwa s[0:1], v9, v1 src0_sel:BYTE_0 src1_sel:DWORD
	s_and_b64 vcc, exec, s[0:1]
	s_cbranch_vccz .LBB56_545
; %bb.544:
	global_load_sbyte v1, v[4:5], off
	s_mov_b64 s[0:1], 0
	s_waitcnt vmcnt(0)
	v_cvt_f16_i16_e32 v1, v1
	s_branch .LBB56_546
.LBB56_545:
	s_mov_b64 s[0:1], -1
                                        ; implicit-def: $vgpr1
.LBB56_546:
	s_andn2_b64 vcc, exec, s[0:1]
	s_cbranch_vccnz .LBB56_548
; %bb.547:
	global_load_ubyte v1, v[4:5], off
	s_waitcnt vmcnt(0)
	v_cvt_f16_u16_e32 v1, v1
.LBB56_548:
	s_branch .LBB56_417
.LBB56_549:
	s_mov_b64 s[52:53], 0
	s_mov_b64 s[0:1], s[36:37]
	;; [unrolled: 1-line block ×3, first 2 shown]
.LBB56_550:
                                        ; implicit-def: $vgpr8
	s_branch .LBB56_792
.LBB56_551:
	s_or_saveexec_b64 s[48:49], s[48:49]
                                        ; implicit-def: $sgpr50
	s_xor_b64 exec, exec, s[48:49]
	s_cbranch_execz .LBB56_203
.LBB56_552:
	s_mov_b32 s50, 0x42800000
	v_add_f32_e64 v4, |v3|, s50
	v_and_b32_e32 v4, 0xff, v4
	v_cmp_ne_u32_e32 vcc, 0, v4
	s_andn2_b64 s[44:45], s[44:45], exec
	s_and_b64 s[52:53], vcc, exec
	s_mov_b32 s50, 0
	s_or_b64 s[44:45], s[44:45], s[52:53]
	s_or_b64 exec, exec, s[48:49]
	v_mov_b32_e32 v5, s50
	s_and_saveexec_b64 s[48:49], s[44:45]
	s_cbranch_execnz .LBB56_204
	s_branch .LBB56_205
.LBB56_553:
	s_mov_b64 s[46:47], -1
                                        ; implicit-def: $vgpr4
	s_mov_b64 s[0:1], 0
.LBB56_554:
	s_and_b64 vcc, exec, s[48:49]
	s_cbranch_vccz .LBB56_558
; %bb.555:
	v_mov_b32_e32 v4, 44
	v_cmp_eq_u16_sdwa s[46:47], v7, v4 src0_sel:BYTE_0 src1_sel:DWORD
	s_and_b64 vcc, exec, s[46:47]
	s_cbranch_vccz .LBB56_557
; %bb.556:
	global_load_ubyte v4, v[2:3], off
	s_movk_i32 s46, 0xff
	v_mov_b32_e32 v10, 0x7e00
	s_mov_b64 s[0:1], -1
	s_waitcnt vmcnt(0)
	v_lshlrev_b32_e32 v5, 23, v4
	v_cvt_f16_f32_e32 v5, v5
	v_cmp_ne_u32_e32 vcc, s46, v4
	s_mov_b64 s[46:47], 0
	v_cndmask_b32_e32 v5, v10, v5, vcc
	v_cmp_ne_u32_e32 vcc, 0, v4
	v_cndmask_b32_e32 v4, 0, v5, vcc
	s_branch .LBB56_558
.LBB56_557:
	s_mov_b64 s[46:47], -1
                                        ; implicit-def: $vgpr4
.LBB56_558:
	s_mov_b64 s[48:49], 0
.LBB56_559:
	s_and_b64 vcc, exec, s[48:49]
	s_cbranch_vccz .LBB56_563
; %bb.560:
	v_mov_b32_e32 v4, 29
	v_cmp_eq_u16_sdwa s[46:47], v7, v4 src0_sel:BYTE_0 src1_sel:DWORD
	s_and_b64 vcc, exec, s[46:47]
	s_cbranch_vccz .LBB56_562
; %bb.561:
	global_load_dwordx2 v[4:5], v[2:3], off
	s_mov_b64 s[0:1], -1
	s_mov_b64 s[46:47], 0
	s_mov_b64 s[48:49], 0
	s_waitcnt vmcnt(0)
	v_ffbh_u32_e32 v10, v5
	v_min_u32_e32 v10, 32, v10
	v_lshlrev_b64 v[4:5], v10, v[4:5]
	v_min_u32_e32 v4, 1, v4
	v_or_b32_e32 v4, v5, v4
	v_cvt_f32_u32_e32 v4, v4
	v_sub_u32_e32 v5, 32, v10
	v_ldexp_f32 v4, v4, v5
	v_cvt_f16_f32_e32 v4, v4
	s_branch .LBB56_564
.LBB56_562:
	s_mov_b64 s[46:47], -1
                                        ; implicit-def: $vgpr4
.LBB56_563:
	s_mov_b64 s[48:49], 0
.LBB56_564:
	s_and_b64 vcc, exec, s[48:49]
	s_cbranch_vccz .LBB56_582
; %bb.565:
	v_mov_b32_e32 v4, 27
	v_cmp_lt_i16_sdwa s[0:1], v7, v4 src0_sel:BYTE_0 src1_sel:DWORD
	s_and_b64 vcc, exec, s[0:1]
	s_cbranch_vccnz .LBB56_568
; %bb.566:
	v_cmp_gt_i16_sdwa s[0:1], v7, v4 src0_sel:BYTE_0 src1_sel:DWORD
	s_and_b64 vcc, exec, s[0:1]
	s_cbranch_vccz .LBB56_569
; %bb.567:
	global_load_dword v4, v[2:3], off
	s_mov_b64 s[0:1], 0
	s_waitcnt vmcnt(0)
	v_cvt_f32_u32_e32 v4, v4
	v_cvt_f16_f32_e32 v4, v4
	s_branch .LBB56_570
.LBB56_568:
	s_mov_b64 s[0:1], -1
                                        ; implicit-def: $vgpr4
	s_branch .LBB56_573
.LBB56_569:
	s_mov_b64 s[0:1], -1
                                        ; implicit-def: $vgpr4
.LBB56_570:
	s_andn2_b64 vcc, exec, s[0:1]
	s_cbranch_vccnz .LBB56_572
; %bb.571:
	global_load_ushort v4, v[2:3], off
	s_waitcnt vmcnt(0)
	v_cvt_f16_u16_e32 v4, v4
.LBB56_572:
	s_mov_b64 s[0:1], 0
.LBB56_573:
	s_andn2_b64 vcc, exec, s[0:1]
	s_cbranch_vccnz .LBB56_581
; %bb.574:
	global_load_ubyte v5, v[2:3], off
	s_movk_i32 s0, 0x7f
                                        ; implicit-def: $sgpr54
	s_waitcnt vmcnt(0)
	v_cmp_lt_i16_e32 vcc, s0, v5
	s_mov_b64 s[0:1], 0
	s_and_saveexec_b64 s[48:49], vcc
	s_xor_b64 s[48:49], exec, s[48:49]
	s_cbranch_execz .LBB56_595
; %bb.575:
	s_movk_i32 s0, 0x80
	v_cmp_eq_u16_e32 vcc, s0, v5
	s_mov_b64 s[0:1], -1
                                        ; implicit-def: $sgpr54
	s_and_saveexec_b64 s[52:53], vcc
; %bb.576:
	s_movk_i32 s54, 0x7e00
	s_xor_b64 s[0:1], exec, -1
; %bb.577:
	s_or_b64 exec, exec, s[52:53]
	s_and_b64 s[0:1], s[0:1], exec
	s_or_saveexec_b64 s[48:49], s[48:49]
	v_mov_b32_e32 v4, s54
	s_xor_b64 exec, exec, s[48:49]
	s_cbranch_execnz .LBB56_596
.LBB56_578:
	s_or_b64 exec, exec, s[48:49]
	s_and_saveexec_b64 s[48:49], s[0:1]
	s_cbranch_execz .LBB56_580
.LBB56_579:
	v_lshlrev_b32_e32 v4, 24, v5
	v_and_b32_e32 v5, 0xffff, v5
	v_and_b32_e32 v10, 7, v5
	v_ffbh_u32_e32 v12, v10
	v_min_u32_e32 v12, 32, v12
	v_subrev_u32_e32 v13, 28, v12
	v_bfe_u32 v11, v5, 3, 4
	v_lshlrev_b32_e32 v5, v13, v5
	v_sub_u32_e32 v12, 29, v12
	v_and_b32_e32 v5, 7, v5
	v_cmp_eq_u32_e32 vcc, 0, v11
	v_cndmask_b32_e32 v11, v11, v12, vcc
	v_cndmask_b32_e32 v5, v10, v5, vcc
	v_mov_b32_e32 v10, 0x3b800000
	v_lshlrev_b32_e32 v5, 20, v5
	v_and_b32_e32 v4, 0x80000000, v4
	v_lshl_add_u32 v10, v11, 23, v10
	v_or3_b32 v4, v4, v10, v5
	v_cvt_f16_f32_e32 v4, v4
.LBB56_580:
	s_or_b64 exec, exec, s[48:49]
.LBB56_581:
	s_mov_b64 s[0:1], -1
.LBB56_582:
	s_mov_b64 s[48:49], 0
.LBB56_583:
	s_and_b64 vcc, exec, s[48:49]
	s_cbranch_vccz .LBB56_618
; %bb.584:
	v_mov_b32_e32 v4, 22
	v_cmp_gt_i16_sdwa s[48:49], v7, v4 src0_sel:BYTE_0 src1_sel:DWORD
	s_and_b64 vcc, exec, s[48:49]
	s_cbranch_vccz .LBB56_594
; %bb.585:
	v_mov_b32_e32 v4, 24
	v_cmp_lt_i16_sdwa s[0:1], v7, v4 src0_sel:BYTE_0 src1_sel:DWORD
	s_and_b64 vcc, exec, s[0:1]
	s_cbranch_vccnz .LBB56_597
; %bb.586:
	v_cmp_gt_i16_sdwa s[0:1], v7, v4 src0_sel:BYTE_0 src1_sel:DWORD
	s_and_b64 vcc, exec, s[0:1]
	s_cbranch_vccz .LBB56_598
; %bb.587:
	global_load_ubyte v5, v[2:3], off
	s_movk_i32 s0, 0x7f
                                        ; implicit-def: $sgpr54
	s_waitcnt vmcnt(0)
	v_cmp_lt_i16_e32 vcc, s0, v5
	s_mov_b64 s[0:1], 0
	s_and_saveexec_b64 s[48:49], vcc
	s_xor_b64 s[48:49], exec, s[48:49]
	s_cbranch_execz .LBB56_610
; %bb.588:
	s_movk_i32 s0, 0x80
	v_cmp_eq_u16_e32 vcc, s0, v5
	s_mov_b64 s[0:1], -1
                                        ; implicit-def: $sgpr54
	s_and_saveexec_b64 s[52:53], vcc
; %bb.589:
	s_movk_i32 s54, 0x7e00
	s_xor_b64 s[0:1], exec, -1
; %bb.590:
	s_or_b64 exec, exec, s[52:53]
	s_and_b64 s[0:1], s[0:1], exec
	s_or_saveexec_b64 s[48:49], s[48:49]
	v_mov_b32_e32 v4, s54
	s_xor_b64 exec, exec, s[48:49]
	s_cbranch_execnz .LBB56_611
.LBB56_591:
	s_or_b64 exec, exec, s[48:49]
	s_and_saveexec_b64 s[48:49], s[0:1]
	s_cbranch_execz .LBB56_593
.LBB56_592:
	v_lshlrev_b32_e32 v4, 24, v5
	v_and_b32_e32 v5, 0xffff, v5
	v_and_b32_e32 v10, 3, v5
	v_ffbh_u32_e32 v12, v10
	v_min_u32_e32 v12, 32, v12
	v_subrev_u32_e32 v13, 29, v12
	v_bfe_u32 v11, v5, 2, 5
	v_lshlrev_b32_e32 v5, v13, v5
	v_sub_u32_e32 v12, 30, v12
	v_and_b32_e32 v5, 3, v5
	v_cmp_eq_u32_e32 vcc, 0, v11
	v_cndmask_b32_e32 v11, v11, v12, vcc
	v_cndmask_b32_e32 v5, v10, v5, vcc
	v_mov_b32_e32 v10, 0x37800000
	v_lshlrev_b32_e32 v5, 21, v5
	v_and_b32_e32 v4, 0x80000000, v4
	v_lshl_add_u32 v10, v11, 23, v10
	v_or3_b32 v4, v4, v10, v5
	v_cvt_f16_f32_e32 v4, v4
.LBB56_593:
	s_or_b64 exec, exec, s[48:49]
	s_mov_b64 s[0:1], 0
	s_branch .LBB56_599
.LBB56_594:
	s_mov_b64 s[48:49], -1
                                        ; implicit-def: $vgpr4
	s_branch .LBB56_605
.LBB56_595:
	s_or_saveexec_b64 s[48:49], s[48:49]
	v_mov_b32_e32 v4, s54
	s_xor_b64 exec, exec, s[48:49]
	s_cbranch_execz .LBB56_578
.LBB56_596:
	v_cmp_ne_u16_e32 vcc, 0, v5
	s_andn2_b64 s[0:1], s[0:1], exec
	s_and_b64 s[52:53], vcc, exec
	s_or_b64 s[0:1], s[0:1], s[52:53]
	v_mov_b32_e32 v4, v5
	s_or_b64 exec, exec, s[48:49]
	s_and_saveexec_b64 s[48:49], s[0:1]
	s_cbranch_execnz .LBB56_579
	s_branch .LBB56_580
.LBB56_597:
	s_mov_b64 s[0:1], -1
                                        ; implicit-def: $vgpr4
	s_branch .LBB56_602
.LBB56_598:
	s_mov_b64 s[0:1], -1
                                        ; implicit-def: $vgpr4
.LBB56_599:
	s_and_b64 vcc, exec, s[0:1]
	s_cbranch_vccz .LBB56_601
; %bb.600:
	global_load_ubyte v4, v[2:3], off
	s_mov_b32 s0, 0x7f800000
	s_waitcnt vmcnt(0)
	v_lshlrev_b32_e32 v4, 24, v4
	v_and_b32_e32 v5, 0x7f000000, v4
	v_ffbh_u32_e32 v10, v5
	v_min_u32_e32 v10, 32, v10
	v_sub_u32_e64 v10, v10, 4 clamp
	v_lshlrev_b32_e32 v12, v10, v5
	v_lshlrev_b32_e32 v10, 23, v10
	v_lshrrev_b32_e32 v12, 4, v12
	v_add_u32_e32 v11, 0x1000000, v5
	v_sub_u32_e32 v10, v12, v10
	v_ashrrev_i32_e32 v11, 8, v11
	v_add_u32_e32 v10, 0x3c000000, v10
	v_and_or_b32 v10, v11, s0, v10
	v_cmp_ne_u32_e32 vcc, 0, v5
	v_cndmask_b32_e32 v5, 0, v10, vcc
	s_brev_b32 s0, 1
	v_and_or_b32 v4, v4, s0, v5
	v_cvt_f16_f32_e32 v4, v4
.LBB56_601:
	s_mov_b64 s[0:1], 0
.LBB56_602:
	s_andn2_b64 vcc, exec, s[0:1]
	s_cbranch_vccnz .LBB56_604
; %bb.603:
	global_load_ubyte v4, v[2:3], off
	s_movk_i32 s0, 0x7f00
	s_brev_b32 s1, 16
	s_waitcnt vmcnt(0)
	v_lshlrev_b16_e32 v5, 8, v4
	v_lshlrev_b32_e32 v4, 25, v4
	v_lshrrev_b32_e32 v10, 4, v4
	v_and_or_b32 v11, v5, s0, 0.5
	v_or_b32_e32 v10, 0x70000000, v10
	v_add_f32_e32 v11, -0.5, v11
	v_mul_f32_e32 v10, 0x7800000, v10
	v_cmp_gt_u32_e32 vcc, s1, v4
	v_bfe_i32 v5, v5, 0, 16
	v_cndmask_b32_e32 v4, v10, v11, vcc
	s_brev_b32 s0, 1
	v_and_or_b32 v4, v5, s0, v4
	v_cvt_f16_f32_e32 v4, v4
.LBB56_604:
	s_mov_b64 s[48:49], 0
	s_mov_b64 s[0:1], -1
.LBB56_605:
	s_andn2_b64 vcc, exec, s[48:49]
	s_cbranch_vccnz .LBB56_618
; %bb.606:
	v_mov_b32_e32 v4, 14
	v_cmp_gt_i16_sdwa s[48:49], v7, v4 src0_sel:BYTE_0 src1_sel:DWORD
	s_and_b64 vcc, exec, s[48:49]
	s_cbranch_vccz .LBB56_609
; %bb.607:
	v_mov_b32_e32 v4, 15
	v_cmp_eq_u16_sdwa s[46:47], v7, v4 src0_sel:BYTE_0 src1_sel:DWORD
	s_and_b64 vcc, exec, s[46:47]
	s_cbranch_vccz .LBB56_612
; %bb.608:
	global_load_ushort v4, v[2:3], off
	s_mov_b64 s[0:1], -1
	s_mov_b64 s[46:47], 0
	s_waitcnt vmcnt(0)
	v_lshlrev_b32_e32 v4, 16, v4
	v_cvt_f16_f32_e32 v4, v4
	s_branch .LBB56_613
.LBB56_609:
	s_mov_b64 s[48:49], -1
                                        ; implicit-def: $vgpr4
	s_branch .LBB56_614
.LBB56_610:
	s_or_saveexec_b64 s[48:49], s[48:49]
	v_mov_b32_e32 v4, s54
	s_xor_b64 exec, exec, s[48:49]
	s_cbranch_execz .LBB56_591
.LBB56_611:
	v_cmp_ne_u16_e32 vcc, 0, v5
	s_andn2_b64 s[0:1], s[0:1], exec
	s_and_b64 s[52:53], vcc, exec
	s_or_b64 s[0:1], s[0:1], s[52:53]
	v_mov_b32_e32 v4, v5
	s_or_b64 exec, exec, s[48:49]
	s_and_saveexec_b64 s[48:49], s[0:1]
	s_cbranch_execnz .LBB56_592
	s_branch .LBB56_593
.LBB56_612:
	s_mov_b64 s[46:47], -1
                                        ; implicit-def: $vgpr4
.LBB56_613:
	s_mov_b64 s[48:49], 0
.LBB56_614:
	s_and_b64 vcc, exec, s[48:49]
	s_cbranch_vccz .LBB56_618
; %bb.615:
	v_mov_b32_e32 v4, 11
	v_cmp_eq_u16_sdwa s[46:47], v7, v4 src0_sel:BYTE_0 src1_sel:DWORD
	s_and_b64 vcc, exec, s[46:47]
	s_cbranch_vccz .LBB56_617
; %bb.616:
	global_load_ubyte v4, v[2:3], off
	v_mov_b32_e32 v5, 0x3c00
	s_mov_b64 s[0:1], -1
	s_mov_b64 s[46:47], 0
	s_waitcnt vmcnt(0)
	v_cmp_ne_u16_e32 vcc, 0, v4
	v_cndmask_b32_e32 v4, 0, v5, vcc
	s_branch .LBB56_618
.LBB56_617:
	s_mov_b64 s[46:47], -1
                                        ; implicit-def: $vgpr4
.LBB56_618:
	s_mov_b64 s[48:49], 0
.LBB56_619:
	s_and_b64 vcc, exec, s[48:49]
	s_cbranch_vccz .LBB56_668
; %bb.620:
	v_mov_b32_e32 v4, 5
	v_cmp_lt_i16_sdwa s[0:1], v7, v4 src0_sel:BYTE_0 src1_sel:DWORD
	s_and_b64 vcc, exec, s[0:1]
	s_cbranch_vccnz .LBB56_625
; %bb.621:
	v_mov_b32_e32 v4, 8
	v_cmp_lt_i16_sdwa s[0:1], v7, v4 src0_sel:BYTE_0 src1_sel:DWORD
	s_and_b64 vcc, exec, s[0:1]
	s_cbranch_vccnz .LBB56_626
	;; [unrolled: 5-line block ×3, first 2 shown]
; %bb.623:
	v_cmp_gt_i16_sdwa s[0:1], v7, v4 src0_sel:BYTE_0 src1_sel:DWORD
	s_and_b64 vcc, exec, s[0:1]
	s_cbranch_vccz .LBB56_628
; %bb.624:
	global_load_dwordx2 v[4:5], v[2:3], off
	s_mov_b64 s[0:1], 0
	s_waitcnt vmcnt(0)
	v_cvt_f32_f64_e32 v4, v[4:5]
	v_cvt_f16_f32_e32 v4, v4
	s_branch .LBB56_629
.LBB56_625:
	s_mov_b64 s[0:1], -1
                                        ; implicit-def: $vgpr4
	s_branch .LBB56_647
.LBB56_626:
	s_mov_b64 s[0:1], -1
                                        ; implicit-def: $vgpr4
	s_branch .LBB56_635
.LBB56_627:
	s_mov_b64 s[0:1], -1
                                        ; implicit-def: $vgpr4
	s_branch .LBB56_632
.LBB56_628:
	s_mov_b64 s[0:1], -1
                                        ; implicit-def: $vgpr4
.LBB56_629:
	s_andn2_b64 vcc, exec, s[0:1]
	s_cbranch_vccnz .LBB56_631
; %bb.630:
	global_load_dword v4, v[2:3], off
	s_waitcnt vmcnt(0)
	v_cvt_f16_f32_e32 v4, v4
.LBB56_631:
	s_mov_b64 s[0:1], 0
.LBB56_632:
	s_andn2_b64 vcc, exec, s[0:1]
	s_cbranch_vccnz .LBB56_634
; %bb.633:
	global_load_dword v4, v[2:3], off
.LBB56_634:
	s_mov_b64 s[0:1], 0
.LBB56_635:
	s_andn2_b64 vcc, exec, s[0:1]
	s_cbranch_vccnz .LBB56_646
; %bb.636:
	s_waitcnt vmcnt(0)
	v_mov_b32_e32 v4, 6
	v_cmp_lt_i16_sdwa s[0:1], v7, v4 src0_sel:BYTE_0 src1_sel:DWORD
	s_and_b64 vcc, exec, s[0:1]
	s_cbranch_vccnz .LBB56_639
; %bb.637:
	v_cmp_gt_i16_sdwa s[0:1], v7, v4 src0_sel:BYTE_0 src1_sel:DWORD
	s_and_b64 vcc, exec, s[0:1]
	s_cbranch_vccz .LBB56_640
; %bb.638:
	global_load_dwordx2 v[4:5], v[2:3], off
	s_mov_b64 s[0:1], 0
	s_waitcnt vmcnt(0)
	v_cvt_f32_f64_e32 v4, v[4:5]
	v_cvt_f16_f32_e32 v4, v4
	s_branch .LBB56_641
.LBB56_639:
	s_mov_b64 s[0:1], -1
                                        ; implicit-def: $vgpr4
	s_branch .LBB56_644
.LBB56_640:
	s_mov_b64 s[0:1], -1
                                        ; implicit-def: $vgpr4
.LBB56_641:
	s_andn2_b64 vcc, exec, s[0:1]
	s_cbranch_vccnz .LBB56_643
; %bb.642:
	global_load_dword v4, v[2:3], off
	s_waitcnt vmcnt(0)
	v_cvt_f16_f32_e32 v4, v4
.LBB56_643:
	s_mov_b64 s[0:1], 0
.LBB56_644:
	s_andn2_b64 vcc, exec, s[0:1]
	s_cbranch_vccnz .LBB56_646
; %bb.645:
	global_load_ushort v4, v[2:3], off
.LBB56_646:
	s_mov_b64 s[0:1], 0
.LBB56_647:
	s_andn2_b64 vcc, exec, s[0:1]
	s_cbranch_vccnz .LBB56_667
; %bb.648:
	s_waitcnt vmcnt(0)
	v_mov_b32_e32 v4, 2
	v_cmp_lt_i16_sdwa s[0:1], v7, v4 src0_sel:BYTE_0 src1_sel:DWORD
	s_and_b64 vcc, exec, s[0:1]
	s_cbranch_vccnz .LBB56_652
; %bb.649:
	v_mov_b32_e32 v4, 3
	v_cmp_lt_i16_sdwa s[0:1], v7, v4 src0_sel:BYTE_0 src1_sel:DWORD
	s_and_b64 vcc, exec, s[0:1]
	s_cbranch_vccnz .LBB56_653
; %bb.650:
	v_cmp_gt_i16_sdwa s[0:1], v7, v4 src0_sel:BYTE_0 src1_sel:DWORD
	s_and_b64 vcc, exec, s[0:1]
	s_cbranch_vccz .LBB56_654
; %bb.651:
	global_load_dwordx2 v[4:5], v[2:3], off
	s_mov_b64 s[0:1], 0
	s_waitcnt vmcnt(0)
	v_xor_b32_e32 v11, v4, v5
	v_ffbh_i32_e32 v10, v5
	v_ashrrev_i32_e32 v11, 31, v11
	v_add_u32_e32 v10, -1, v10
	v_add_u32_e32 v11, 32, v11
	v_min_u32_e32 v10, v10, v11
	v_lshlrev_b64 v[4:5], v10, v[4:5]
	v_min_u32_e32 v4, 1, v4
	v_or_b32_e32 v4, v5, v4
	v_cvt_f32_i32_e32 v4, v4
	v_sub_u32_e32 v5, 32, v10
	v_ldexp_f32 v4, v4, v5
	v_cvt_f16_f32_e32 v4, v4
	s_branch .LBB56_655
.LBB56_652:
	s_mov_b64 s[0:1], -1
                                        ; implicit-def: $vgpr4
	s_branch .LBB56_661
.LBB56_653:
	s_mov_b64 s[0:1], -1
                                        ; implicit-def: $vgpr4
	s_branch .LBB56_658
.LBB56_654:
	s_mov_b64 s[0:1], -1
                                        ; implicit-def: $vgpr4
.LBB56_655:
	s_andn2_b64 vcc, exec, s[0:1]
	s_cbranch_vccnz .LBB56_657
; %bb.656:
	global_load_dword v4, v[2:3], off
	s_waitcnt vmcnt(0)
	v_cvt_f32_i32_e32 v4, v4
	v_cvt_f16_f32_e32 v4, v4
.LBB56_657:
	s_mov_b64 s[0:1], 0
.LBB56_658:
	s_andn2_b64 vcc, exec, s[0:1]
	s_cbranch_vccnz .LBB56_660
; %bb.659:
	global_load_ushort v4, v[2:3], off
	s_waitcnt vmcnt(0)
	v_cvt_f16_i16_e32 v4, v4
.LBB56_660:
	s_mov_b64 s[0:1], 0
.LBB56_661:
	s_andn2_b64 vcc, exec, s[0:1]
	s_cbranch_vccnz .LBB56_667
; %bb.662:
	v_mov_b32_e32 v4, 0
	v_cmp_gt_i16_sdwa s[0:1], v7, v4 src0_sel:BYTE_0 src1_sel:DWORD
	s_and_b64 vcc, exec, s[0:1]
	s_cbranch_vccz .LBB56_664
; %bb.663:
	global_load_sbyte v4, v[2:3], off
	s_mov_b64 s[0:1], 0
	s_waitcnt vmcnt(0)
	v_cvt_f16_i16_e32 v4, v4
	s_branch .LBB56_665
.LBB56_664:
	s_mov_b64 s[0:1], -1
                                        ; implicit-def: $vgpr4
.LBB56_665:
	s_andn2_b64 vcc, exec, s[0:1]
	s_cbranch_vccnz .LBB56_667
; %bb.666:
	global_load_ubyte v2, v[2:3], off
	s_waitcnt vmcnt(0)
	v_cvt_f16_u16_e32 v4, v2
.LBB56_667:
	s_mov_b64 s[0:1], -1
.LBB56_668:
	s_andn2_b64 vcc, exec, s[0:1]
	s_cbranch_vccnz .LBB56_676
; %bb.669:
	s_waitcnt vmcnt(0)
	v_mul_f16_e32 v2, v1, v4
	v_cmp_lt_f16_e32 vcc, 0, v1
	v_cndmask_b32_e32 v2, v2, v1, vcc
	v_mov_b32_e32 v1, s9
	v_add_co_u32_e32 v0, vcc, s8, v0
	v_mov_b32_e32 v3, 11
	v_addc_co_u32_e32 v1, vcc, 0, v1, vcc
	v_cmp_lt_i16_sdwa s[0:1], v6, v3 src0_sel:BYTE_0 src1_sel:DWORD
	s_and_b64 vcc, exec, s[0:1]
	s_cbranch_vccnz .LBB56_677
; %bb.670:
	v_mov_b32_e32 v3, 25
	v_cmp_gt_i16_sdwa s[0:1], v6, v3 src0_sel:BYTE_0 src1_sel:DWORD
	s_and_b64 vcc, exec, s[0:1]
	s_cbranch_vccz .LBB56_678
; %bb.671:
	v_mov_b32_e32 v3, 28
	v_cmp_gt_i16_sdwa s[0:1], v6, v3 src0_sel:BYTE_0 src1_sel:DWORD
	s_and_b64 vcc, exec, s[0:1]
	s_cbranch_vccz .LBB56_679
	;; [unrolled: 5-line block ×4, first 2 shown]
; %bb.674:
	v_mov_b32_e32 v3, 46
	v_cmp_eq_u16_sdwa s[48:49], v6, v3 src0_sel:BYTE_0 src1_sel:DWORD
	s_mov_b64 s[52:53], 0
	s_mov_b64 s[0:1], -1
	s_and_b64 vcc, exec, s[48:49]
	s_mov_b64 s[48:49], 0
	s_cbranch_vccz .LBB56_682
; %bb.675:
	v_cvt_f32_f16_e32 v3, v2
	s_movk_i32 s0, 0x7fff
	v_mov_b32_e32 v4, 0x7fc0
	v_cmp_o_f16_e32 vcc, v2, v2
	v_bfe_u32 v5, v3, 16, 1
	v_add3_u32 v3, v3, v5, s0
	v_lshrrev_b32_e32 v3, 16, v3
	v_cndmask_b32_e32 v3, v4, v3, vcc
	global_store_dword v[0:1], v3, off
	s_mov_b64 s[48:49], -1
	s_mov_b64 s[0:1], 0
	s_branch .LBB56_682
.LBB56_676:
	s_mov_b64 s[52:53], 0
                                        ; implicit-def: $vgpr8
	s_mov_b64 s[0:1], s[36:37]
	s_branch .LBB56_792
.LBB56_677:
	s_mov_b64 s[52:53], -1
	s_mov_b64 s[48:49], 0
	s_mov_b64 s[0:1], s[36:37]
	s_branch .LBB56_751
.LBB56_678:
	s_mov_b64 s[52:53], -1
	s_mov_b64 s[48:49], 0
	s_mov_b64 s[0:1], s[36:37]
	s_branch .LBB56_709
.LBB56_679:
	s_mov_b64 s[52:53], -1
	s_mov_b64 s[48:49], 0
	s_mov_b64 s[0:1], s[36:37]
	s_branch .LBB56_692
.LBB56_680:
	s_mov_b64 s[52:53], -1
	s_mov_b64 s[48:49], 0
	s_mov_b64 s[0:1], s[36:37]
	s_branch .LBB56_688
.LBB56_681:
	s_mov_b64 s[52:53], -1
	s_mov_b64 s[48:49], 0
	s_mov_b64 s[0:1], s[36:37]
.LBB56_682:
	s_and_b64 vcc, exec, s[52:53]
	s_cbranch_vccz .LBB56_687
; %bb.683:
	v_mov_b32_e32 v3, 44
	v_cmp_eq_u16_sdwa s[52:53], v6, v3 src0_sel:BYTE_0 src1_sel:DWORD
	s_mov_b64 s[0:1], -1
	s_and_b64 vcc, exec, s[52:53]
	s_cbranch_vccz .LBB56_687
; %bb.684:
	v_cvt_f32_f16_e32 v3, v2
	s_movk_i32 s0, 0xff
	v_mov_b32_e32 v5, 0xff
	v_bfe_u32 v4, v3, 23, 8
	v_cmp_ne_u32_e32 vcc, s0, v4
	s_and_saveexec_b64 s[48:49], vcc
; %bb.685:
	s_mov_b32 s0, 0x3fffff
	v_lshrrev_b32_e32 v5, 23, v3
	v_and_b32_e32 v10, 0x400000, v3
	v_and_or_b32 v3, v3, s0, v4
	v_cmp_ne_u32_e32 vcc, 0, v10
	v_cmp_ne_u32_e64 s[0:1], 0, v3
	s_and_b64 s[0:1], vcc, s[0:1]
	v_cndmask_b32_e64 v3, 0, 1, s[0:1]
	v_add_u32_e32 v5, v5, v3
; %bb.686:
	s_or_b64 exec, exec, s[48:49]
	s_mov_b64 s[48:49], -1
	s_mov_b64 s[0:1], 0
	global_store_byte v[0:1], v5, off
.LBB56_687:
	s_mov_b64 s[52:53], 0
.LBB56_688:
	s_and_b64 vcc, exec, s[52:53]
	s_cbranch_vccz .LBB56_691
; %bb.689:
	v_mov_b32_e32 v3, 29
	v_cmp_eq_u16_sdwa s[52:53], v6, v3 src0_sel:BYTE_0 src1_sel:DWORD
	s_mov_b64 s[0:1], -1
	s_and_b64 vcc, exec, s[52:53]
	s_cbranch_vccz .LBB56_691
; %bb.690:
	v_cvt_f32_f16_e32 v3, v2
	v_mov_b32_e32 v5, 0
	s_mov_b64 s[48:49], -1
	s_mov_b64 s[0:1], 0
	v_cvt_u32_f32_e32 v4, v3
	s_mov_b64 s[52:53], 0
	global_store_dwordx2 v[0:1], v[4:5], off
	s_branch .LBB56_692
.LBB56_691:
	s_mov_b64 s[52:53], 0
.LBB56_692:
	s_and_b64 vcc, exec, s[52:53]
	s_cbranch_vccz .LBB56_708
; %bb.693:
	v_mov_b32_e32 v3, 27
	v_cmp_lt_i16_sdwa s[52:53], v6, v3 src0_sel:BYTE_0 src1_sel:DWORD
	s_mov_b64 s[48:49], -1
	s_and_b64 vcc, exec, s[52:53]
	s_cbranch_vccnz .LBB56_699
; %bb.694:
	v_cmp_gt_i16_sdwa s[52:53], v6, v3 src0_sel:BYTE_0 src1_sel:DWORD
	s_and_b64 vcc, exec, s[52:53]
	s_cbranch_vccz .LBB56_696
; %bb.695:
	v_cvt_f32_f16_e32 v3, v2
	s_mov_b64 s[48:49], 0
	v_cvt_u32_f32_e32 v3, v3
	global_store_dword v[0:1], v3, off
.LBB56_696:
	s_andn2_b64 vcc, exec, s[48:49]
	s_cbranch_vccnz .LBB56_698
; %bb.697:
	v_cvt_u16_f16_e32 v3, v2
	global_store_short v[0:1], v3, off
.LBB56_698:
	s_mov_b64 s[48:49], 0
.LBB56_699:
	s_andn2_b64 vcc, exec, s[48:49]
	s_cbranch_vccnz .LBB56_707
; %bb.700:
	v_cvt_f32_f16_e32 v3, v2
	s_mov_b32 s48, 0x43800000
	v_mov_b32_e32 v5, 0x80
	v_and_b32_e32 v4, 0x7fffffff, v3
	v_cmp_gt_u32_e32 vcc, s48, v4
	s_and_saveexec_b64 s[48:49], vcc
	s_cbranch_execz .LBB56_706
; %bb.701:
	s_mov_b32 s52, 0x3bffffff
	v_cmp_lt_u32_e32 vcc, s52, v4
	s_mov_b64 s[52:53], 0
                                        ; implicit-def: $vgpr4
	s_and_saveexec_b64 s[54:55], vcc
	s_xor_b64 s[54:55], exec, s[54:55]
	s_cbranch_execz .LBB56_819
; %bb.702:
	v_bfe_u32 v4, v3, 20, 1
	s_mov_b32 s56, 0x487ffff
	v_add3_u32 v4, v3, v4, s56
	s_mov_b64 s[52:53], exec
	v_lshrrev_b32_e32 v4, 20, v4
	s_or_saveexec_b64 s[54:55], s[54:55]
                                        ; implicit-def: $sgpr56
	s_xor_b64 exec, exec, s[54:55]
	s_cbranch_execnz .LBB56_820
.LBB56_703:
	s_or_b64 exec, exec, s[54:55]
	v_mov_b32_e32 v5, s56
	s_and_saveexec_b64 s[54:55], s[52:53]
.LBB56_704:
	v_lshrrev_b32_e32 v3, 24, v3
	s_movk_i32 s52, 0x80
	v_and_or_b32 v5, v3, s52, v4
.LBB56_705:
	s_or_b64 exec, exec, s[54:55]
.LBB56_706:
	s_or_b64 exec, exec, s[48:49]
	global_store_byte v[0:1], v5, off
.LBB56_707:
	s_mov_b64 s[48:49], -1
.LBB56_708:
	s_mov_b64 s[52:53], 0
.LBB56_709:
	s_and_b64 vcc, exec, s[52:53]
	s_cbranch_vccz .LBB56_750
; %bb.710:
	v_mov_b32_e32 v3, 22
	v_cmp_gt_i16_sdwa s[54:55], v6, v3 src0_sel:BYTE_0 src1_sel:DWORD
	s_mov_b64 s[52:53], -1
	s_and_b64 vcc, exec, s[54:55]
	s_cbranch_vccz .LBB56_742
; %bb.711:
	v_mov_b32_e32 v3, 24
	v_cmp_lt_i16_sdwa s[52:53], v6, v3 src0_sel:BYTE_0 src1_sel:DWORD
	s_mov_b64 s[48:49], -1
	s_and_b64 vcc, exec, s[52:53]
	s_cbranch_vccnz .LBB56_731
; %bb.712:
	v_cmp_gt_i16_sdwa s[52:53], v6, v3 src0_sel:BYTE_0 src1_sel:DWORD
	s_and_b64 vcc, exec, s[52:53]
	s_cbranch_vccz .LBB56_720
; %bb.713:
	v_cvt_f32_f16_e32 v3, v2
	s_mov_b32 s48, 0x47800000
	v_mov_b32_e32 v5, 0x80
	v_and_b32_e32 v4, 0x7fffffff, v3
	v_cmp_gt_u32_e32 vcc, s48, v4
	s_and_saveexec_b64 s[48:49], vcc
	s_cbranch_execz .LBB56_719
; %bb.714:
	s_mov_b32 s52, 0x37ffffff
	v_cmp_lt_u32_e32 vcc, s52, v4
	s_mov_b64 s[52:53], 0
                                        ; implicit-def: $vgpr4
	s_and_saveexec_b64 s[54:55], vcc
	s_xor_b64 s[54:55], exec, s[54:55]
	s_cbranch_execz .LBB56_951
; %bb.715:
	v_bfe_u32 v4, v3, 21, 1
	s_mov_b32 s56, 0x88fffff
	v_add3_u32 v4, v3, v4, s56
	s_mov_b64 s[52:53], exec
	v_lshrrev_b32_e32 v4, 21, v4
	s_or_saveexec_b64 s[54:55], s[54:55]
                                        ; implicit-def: $sgpr56
	s_xor_b64 exec, exec, s[54:55]
	s_cbranch_execnz .LBB56_952
.LBB56_716:
	s_or_b64 exec, exec, s[54:55]
	v_mov_b32_e32 v5, s56
	s_and_saveexec_b64 s[54:55], s[52:53]
.LBB56_717:
	v_lshrrev_b32_e32 v3, 24, v3
	s_movk_i32 s52, 0x80
	v_and_or_b32 v5, v3, s52, v4
.LBB56_718:
	s_or_b64 exec, exec, s[54:55]
.LBB56_719:
	s_or_b64 exec, exec, s[48:49]
	s_mov_b64 s[48:49], 0
	global_store_byte v[0:1], v5, off
.LBB56_720:
	s_and_b64 vcc, exec, s[48:49]
	s_cbranch_vccz .LBB56_730
; %bb.721:
	v_cvt_f32_f16_e32 v3, v2
	s_mov_b32 s48, 0x43f00000
                                        ; implicit-def: $vgpr4
	v_and_b32_e32 v5, 0x7fffffff, v3
	v_cmp_gt_u32_e32 vcc, s48, v5
	s_and_saveexec_b64 s[48:49], vcc
	s_xor_b64 s[48:49], exec, s[48:49]
	s_cbranch_execz .LBB56_727
; %bb.722:
	s_mov_b32 s52, 0x3c7fffff
	v_cmp_lt_u32_e32 vcc, s52, v5
                                        ; implicit-def: $vgpr4
	s_and_saveexec_b64 s[52:53], vcc
	s_xor_b64 s[52:53], exec, s[52:53]
; %bb.723:
	v_bfe_u32 v4, v3, 20, 1
	s_mov_b32 s54, 0x407ffff
	v_add3_u32 v4, v3, v4, s54
	v_lshrrev_b32_e32 v5, 20, v4
	v_and_b32_e32 v4, 0xff00000, v4
	s_mov_b32 s54, 0x7f00000
	v_mov_b32_e32 v10, 0x7e
	v_cmp_ne_u32_e32 vcc, s54, v4
	v_cndmask_b32_e32 v4, v10, v5, vcc
; %bb.724:
	s_andn2_saveexec_b64 s[52:53], s[52:53]
; %bb.725:
	s_mov_b32 s54, 0x46800000
	v_add_f32_e64 v4, |v3|, s54
; %bb.726:
	s_or_b64 exec, exec, s[52:53]
                                        ; implicit-def: $vgpr5
.LBB56_727:
	s_andn2_saveexec_b64 s[48:49], s[48:49]
; %bb.728:
	s_mov_b32 s52, 0x7f800000
	v_mov_b32_e32 v4, 0x7e
	v_mov_b32_e32 v10, 0x7f
	v_cmp_lt_u32_e32 vcc, s52, v5
	v_cndmask_b32_e32 v4, v4, v10, vcc
; %bb.729:
	s_or_b64 exec, exec, s[48:49]
	v_lshrrev_b32_e32 v3, 24, v3
	s_movk_i32 s48, 0x80
	v_and_or_b32 v3, v3, s48, v4
	global_store_byte v[0:1], v3, off
.LBB56_730:
	s_mov_b64 s[48:49], 0
.LBB56_731:
	s_andn2_b64 vcc, exec, s[48:49]
	s_cbranch_vccnz .LBB56_741
; %bb.732:
	v_cvt_f32_f16_e32 v3, v2
	s_mov_b32 s48, 0x47800000
                                        ; implicit-def: $vgpr4
	v_and_b32_e32 v5, 0x7fffffff, v3
	v_cmp_gt_u32_e32 vcc, s48, v5
	s_and_saveexec_b64 s[48:49], vcc
	s_xor_b64 s[48:49], exec, s[48:49]
	s_cbranch_execz .LBB56_738
; %bb.733:
	s_mov_b32 s52, 0x387fffff
	v_cmp_lt_u32_e32 vcc, s52, v5
                                        ; implicit-def: $vgpr4
	s_and_saveexec_b64 s[52:53], vcc
	s_xor_b64 s[52:53], exec, s[52:53]
; %bb.734:
	v_bfe_u32 v4, v3, 21, 1
	s_mov_b32 s54, 0x80fffff
	v_add3_u32 v4, v3, v4, s54
	v_lshrrev_b32_e32 v4, 21, v4
; %bb.735:
	s_andn2_saveexec_b64 s[52:53], s[52:53]
; %bb.736:
	s_mov_b32 s54, 0x43000000
	v_add_f32_e64 v4, |v3|, s54
; %bb.737:
	s_or_b64 exec, exec, s[52:53]
                                        ; implicit-def: $vgpr5
.LBB56_738:
	s_andn2_saveexec_b64 s[48:49], s[48:49]
; %bb.739:
	s_mov_b32 s52, 0x7f800000
	v_mov_b32_e32 v4, 0x7c
	v_mov_b32_e32 v10, 0x7f
	v_cmp_lt_u32_e32 vcc, s52, v5
	v_cndmask_b32_e32 v4, v4, v10, vcc
; %bb.740:
	s_or_b64 exec, exec, s[48:49]
	v_lshrrev_b32_e32 v3, 24, v3
	s_movk_i32 s48, 0x80
	v_and_or_b32 v3, v3, s48, v4
	global_store_byte v[0:1], v3, off
.LBB56_741:
	s_mov_b64 s[52:53], 0
	s_mov_b64 s[48:49], -1
.LBB56_742:
	s_andn2_b64 vcc, exec, s[52:53]
	s_cbranch_vccnz .LBB56_750
; %bb.743:
	v_mov_b32_e32 v3, 14
	v_cmp_gt_i16_sdwa s[54:55], v6, v3 src0_sel:BYTE_0 src1_sel:DWORD
	s_mov_b64 s[52:53], -1
	s_and_b64 vcc, exec, s[54:55]
	s_cbranch_vccz .LBB56_747
; %bb.744:
	v_mov_b32_e32 v3, 15
	v_cmp_eq_u16_sdwa s[52:53], v6, v3 src0_sel:BYTE_0 src1_sel:DWORD
	s_mov_b64 s[0:1], -1
	s_and_b64 vcc, exec, s[52:53]
	s_cbranch_vccz .LBB56_746
; %bb.745:
	v_cvt_f32_f16_e32 v3, v2
	s_movk_i32 s0, 0x7fff
	v_mov_b32_e32 v4, 0x7fc0
	v_cmp_o_f16_e32 vcc, v2, v2
	v_bfe_u32 v5, v3, 16, 1
	v_add3_u32 v3, v3, v5, s0
	v_lshrrev_b32_e32 v3, 16, v3
	v_cndmask_b32_e32 v3, v4, v3, vcc
	global_store_short v[0:1], v3, off
	s_mov_b64 s[48:49], -1
	s_mov_b64 s[0:1], 0
.LBB56_746:
	s_mov_b64 s[52:53], 0
.LBB56_747:
	s_and_b64 vcc, exec, s[52:53]
	s_cbranch_vccz .LBB56_750
; %bb.748:
	v_mov_b32_e32 v3, 11
	v_cmp_eq_u16_sdwa s[52:53], v6, v3 src0_sel:BYTE_0 src1_sel:DWORD
	s_mov_b64 s[0:1], -1
	s_and_b64 vcc, exec, s[52:53]
	s_cbranch_vccz .LBB56_750
; %bb.749:
	v_and_b32_e32 v3, 0x7fff, v2
	v_cmp_ne_u16_e32 vcc, 0, v3
	v_cndmask_b32_e64 v3, 0, 1, vcc
	s_mov_b64 s[48:49], -1
	s_mov_b64 s[0:1], 0
	global_store_byte v[0:1], v3, off
.LBB56_750:
	s_mov_b64 s[52:53], 0
.LBB56_751:
	s_and_b64 vcc, exec, s[52:53]
	s_cbranch_vccz .LBB56_790
; %bb.752:
	v_mov_b32_e32 v3, 5
	v_cmp_lt_i16_sdwa s[52:53], v6, v3 src0_sel:BYTE_0 src1_sel:DWORD
	s_mov_b64 s[48:49], -1
	s_and_b64 vcc, exec, s[52:53]
	s_cbranch_vccnz .LBB56_773
; %bb.753:
	v_mov_b32_e32 v3, 8
	v_cmp_lt_i16_sdwa s[52:53], v6, v3 src0_sel:BYTE_0 src1_sel:DWORD
	s_and_b64 vcc, exec, s[52:53]
	s_cbranch_vccnz .LBB56_763
; %bb.754:
	v_mov_b32_e32 v3, 9
	v_cmp_lt_i16_sdwa s[52:53], v6, v3 src0_sel:BYTE_0 src1_sel:DWORD
	s_and_b64 vcc, exec, s[52:53]
	s_cbranch_vccnz .LBB56_760
; %bb.755:
	v_cmp_gt_i16_sdwa s[52:53], v6, v3 src0_sel:BYTE_0 src1_sel:DWORD
	s_and_b64 vcc, exec, s[52:53]
	s_cbranch_vccz .LBB56_757
; %bb.756:
	v_cvt_f32_f16_e32 v3, v2
	v_mov_b32_e32 v12, 0
	v_mov_b32_e32 v13, v12
	s_mov_b64 s[48:49], 0
	v_cvt_f64_f32_e32 v[10:11], v3
	global_store_dwordx4 v[0:1], v[10:13], off
.LBB56_757:
	s_andn2_b64 vcc, exec, s[48:49]
	s_cbranch_vccnz .LBB56_759
; %bb.758:
	v_cvt_f32_f16_e32 v4, v2
	v_mov_b32_e32 v5, 0
	global_store_dwordx2 v[0:1], v[4:5], off
.LBB56_759:
	s_mov_b64 s[48:49], 0
.LBB56_760:
	s_andn2_b64 vcc, exec, s[48:49]
	s_cbranch_vccnz .LBB56_762
; %bb.761:
	v_and_b32_e32 v3, 0xffff, v2
	global_store_dword v[0:1], v3, off
.LBB56_762:
	s_mov_b64 s[48:49], 0
.LBB56_763:
	s_andn2_b64 vcc, exec, s[48:49]
	s_cbranch_vccnz .LBB56_772
; %bb.764:
	v_mov_b32_e32 v3, 6
	v_cmp_lt_i16_sdwa s[52:53], v6, v3 src0_sel:BYTE_0 src1_sel:DWORD
	s_mov_b64 s[48:49], -1
	s_and_b64 vcc, exec, s[52:53]
	s_cbranch_vccnz .LBB56_770
; %bb.765:
	v_cmp_gt_i16_sdwa s[52:53], v6, v3 src0_sel:BYTE_0 src1_sel:DWORD
	s_and_b64 vcc, exec, s[52:53]
	s_cbranch_vccz .LBB56_767
; %bb.766:
	v_cvt_f32_f16_e32 v3, v2
	s_mov_b64 s[48:49], 0
	v_cvt_f64_f32_e32 v[4:5], v3
	global_store_dwordx2 v[0:1], v[4:5], off
.LBB56_767:
	s_andn2_b64 vcc, exec, s[48:49]
	s_cbranch_vccnz .LBB56_769
; %bb.768:
	v_cvt_f32_f16_e32 v3, v2
	global_store_dword v[0:1], v3, off
.LBB56_769:
	s_mov_b64 s[48:49], 0
.LBB56_770:
	s_andn2_b64 vcc, exec, s[48:49]
	s_cbranch_vccnz .LBB56_772
; %bb.771:
	global_store_short v[0:1], v2, off
.LBB56_772:
	s_mov_b64 s[48:49], 0
.LBB56_773:
	s_andn2_b64 vcc, exec, s[48:49]
	s_cbranch_vccnz .LBB56_789
; %bb.774:
	v_mov_b32_e32 v3, 2
	v_cmp_lt_i16_sdwa s[52:53], v6, v3 src0_sel:BYTE_0 src1_sel:DWORD
	s_mov_b64 s[48:49], -1
	s_and_b64 vcc, exec, s[52:53]
	s_cbranch_vccnz .LBB56_784
; %bb.775:
	v_mov_b32_e32 v3, 3
	v_cmp_lt_i16_sdwa s[52:53], v6, v3 src0_sel:BYTE_0 src1_sel:DWORD
	s_and_b64 vcc, exec, s[52:53]
	s_cbranch_vccnz .LBB56_781
; %bb.776:
	v_cmp_gt_i16_sdwa s[52:53], v6, v3 src0_sel:BYTE_0 src1_sel:DWORD
	s_and_b64 vcc, exec, s[52:53]
	s_cbranch_vccz .LBB56_778
; %bb.777:
	v_cvt_f32_f16_e32 v3, v2
	s_mov_b64 s[48:49], 0
	v_cvt_i32_f32_e32 v4, v3
	v_ashrrev_i32_e32 v5, 31, v4
	global_store_dwordx2 v[0:1], v[4:5], off
.LBB56_778:
	s_andn2_b64 vcc, exec, s[48:49]
	s_cbranch_vccnz .LBB56_780
; %bb.779:
	v_cvt_f32_f16_e32 v3, v2
	v_cvt_i32_f32_e32 v3, v3
	global_store_dword v[0:1], v3, off
.LBB56_780:
	s_mov_b64 s[48:49], 0
.LBB56_781:
	s_andn2_b64 vcc, exec, s[48:49]
	s_cbranch_vccnz .LBB56_783
; %bb.782:
	v_cvt_i16_f16_e32 v3, v2
	global_store_short v[0:1], v3, off
.LBB56_783:
	s_mov_b64 s[48:49], 0
.LBB56_784:
	s_andn2_b64 vcc, exec, s[48:49]
	s_cbranch_vccnz .LBB56_789
; %bb.785:
	v_mov_b32_e32 v3, 0
	v_cmp_gt_i16_sdwa s[52:53], v6, v3 src0_sel:BYTE_0 src1_sel:DWORD
	s_mov_b64 s[48:49], -1
	s_and_b64 vcc, exec, s[52:53]
	s_cbranch_vccz .LBB56_787
; %bb.786:
	v_cvt_i16_f16_e32 v3, v2
	s_mov_b64 s[48:49], 0
	global_store_byte v[0:1], v3, off
.LBB56_787:
	s_andn2_b64 vcc, exec, s[48:49]
	s_cbranch_vccnz .LBB56_789
; %bb.788:
	v_cvt_f32_f16_e32 v2, v2
	v_cvt_i32_f32_e32 v2, v2
	global_store_byte v[0:1], v2, off
.LBB56_789:
	s_mov_b64 s[48:49], -1
.LBB56_790:
	s_andn2_b64 vcc, exec, s[48:49]
	s_cbranch_vccnz .LBB56_814
; %bb.791:
	v_add_u32_e32 v8, 0x80, v8
	s_mov_b64 s[52:53], -1
.LBB56_792:
	s_andn2_b64 s[48:49], s[36:37], exec
	s_and_b64 s[0:1], s[0:1], exec
	s_or_b64 s[48:49], s[48:49], s[0:1]
	s_andn2_b64 s[0:1], s[38:39], exec
	s_and_b64 s[46:47], s[46:47], exec
	s_or_b64 s[46:47], s[0:1], s[46:47]
	;; [unrolled: 3-line block ×3, first 2 shown]
	s_orn2_b64 s[0:1], s[52:53], exec
.LBB56_793:
	s_or_b64 exec, exec, s[50:51]
	s_mov_b64 s[52:53], 0
	s_mov_b64 s[54:55], 0
	;; [unrolled: 1-line block ×3, first 2 shown]
                                        ; implicit-def: $vgpr3
                                        ; implicit-def: $vgpr4_vgpr5
                                        ; implicit-def: $vgpr2
                                        ; implicit-def: $vgpr0
                                        ; implicit-def: $vgpr1
	s_and_saveexec_b64 s[50:51], s[0:1]
	s_cbranch_execz .LBB56_1288
; %bb.794:
	v_cmp_gt_i32_e32 vcc, s66, v8
	s_mov_b64 s[64:65], -1
	s_mov_b64 s[0:1], s[44:45]
	s_mov_b64 s[56:57], s[46:47]
	;; [unrolled: 1-line block ×3, first 2 shown]
	s_and_saveexec_b64 s[52:53], vcc
	s_cbranch_execz .LBB56_1193
; %bb.795:
	s_andn2_b64 vcc, exec, s[20:21]
	s_cbranch_vccnz .LBB56_802
; %bb.796:
	s_andn2_b64 vcc, exec, s[34:35]
	v_mov_b32_e32 v2, 0
	s_waitcnt vmcnt(0)
	v_mov_b32_e32 v4, 0
	v_mov_b32_e32 v0, 0
	s_cbranch_vccnz .LBB56_801
; %bb.797:
	s_add_i32 s0, s69, 1
	s_and_b32 s54, s0, 30
	s_add_u32 s0, s2, 0xffffffec
	s_addc_u32 s1, s3, -1
	v_mov_b32_e32 v0, 0
	v_mov_b32_e32 v1, v8
	v_mov_b32_e32 v4, 0
	v_mov_b32_e32 v2, 0
.LBB56_798:                             ; =>This Inner Loop Header: Depth=1
	s_mov_b64 s[64:65], s[0:1]
	s_load_dwordx4 s[56:59], s[64:65], 0x18
	s_load_dwordx2 s[70:71], s[64:65], 0x28
	s_load_dwordx2 s[72:73], s[64:65], 0xe8
	s_load_dwordx4 s[60:63], s[64:65], 0xd8
	s_add_u32 s0, s64, 24
	s_waitcnt lgkmcnt(0)
	v_mul_hi_u32 v3, s57, v1
	v_add_u32_e32 v3, v1, v3
	v_lshrrev_b32_e32 v3, s58, v3
	v_mul_lo_u32 v5, v3, s56
	v_mul_hi_u32 v10, s70, v3
	v_sub_u32_e32 v1, v1, v5
	v_add_u32_e32 v5, v3, v10
	v_mul_lo_u32 v10, v1, s60
	v_mul_lo_u32 v11, v1, s61
	;; [unrolled: 1-line block ×3, first 2 shown]
	v_lshrrev_b32_e32 v1, s71, v5
	v_mul_lo_u32 v5, v1, s59
	v_sub_u32_e32 v3, v3, v5
	s_addc_u32 s1, s65, 0
	s_add_i32 s54, s54, -2
	v_mul_lo_u32 v5, v3, s63
	v_mul_lo_u32 v13, v3, s72
	;; [unrolled: 1-line block ×3, first 2 shown]
	s_cmp_eq_u32 s54, 0
	v_add3_u32 v0, v10, v0, v5
	v_add3_u32 v2, v12, v2, v3
	;; [unrolled: 1-line block ×3, first 2 shown]
	s_cbranch_scc0 .LBB56_798
; %bb.799:
	s_bitcmp1_b32 s69, 0
	s_cselect_b64 s[54:55], -1, 0
	s_and_b64 vcc, exec, s[54:55]
	s_cbranch_vccnz .LBB56_801
; %bb.800:
	s_load_dwordx2 s[54:55], s[0:1], 0x18
	s_load_dword s56, s[0:1], 0x20
	s_load_dword s57, s[0:1], 0xe0
	s_nop 0
	s_load_dwordx2 s[0:1], s[0:1], 0xd8
	s_waitcnt lgkmcnt(0)
	v_mul_hi_u32 v3, s55, v1
	v_add_u32_e32 v3, v1, v3
	v_lshrrev_b32_e32 v3, s56, v3
	v_mul_lo_u32 v3, v3, s54
	v_sub_u32_e32 v3, v1, v3
	v_mad_u64_u32 v[0:1], s[54:55], v3, s0, v[0:1]
	v_mad_u64_u32 v[4:5], s[0:1], v3, s1, v[4:5]
	;; [unrolled: 1-line block ×3, first 2 shown]
.LBB56_801:
	s_mov_b64 s[0:1], 0
	s_branch .LBB56_803
.LBB56_802:
	s_mov_b64 s[0:1], -1
                                        ; implicit-def: $vgpr2
                                        ; implicit-def: $vgpr4
                                        ; implicit-def: $vgpr0
.LBB56_803:
	s_andn2_b64 vcc, exec, s[0:1]
	s_cbranch_vccnz .LBB56_806
; %bb.804:
	s_waitcnt lgkmcnt(0)
	v_mul_hi_u32 v0, s17, v8
	v_add_u32_e32 v0, v8, v0
	s_waitcnt vmcnt(0)
	v_lshrrev_b32_e32 v1, s18, v0
	v_mul_lo_u32 v0, v1, s16
	v_sub_u32_e32 v3, v8, v0
	v_mul_lo_u32 v0, v3, s12
	v_mul_lo_u32 v2, v3, s14
	s_andn2_b64 vcc, exec, s[30:31]
	v_mul_lo_u32 v4, v3, s13
	s_cbranch_vccnz .LBB56_806
; %bb.805:
	v_mul_hi_u32 v3, s28, v1
	v_add_u32_e32 v3, v1, v3
	v_lshrrev_b32_e32 v3, s29, v3
	v_mul_lo_u32 v3, v3, s19
	v_sub_u32_e32 v3, v1, v3
	v_mad_u64_u32 v[0:1], s[0:1], v3, s15, v[0:1]
	v_mad_u64_u32 v[4:5], s[0:1], v3, s26, v[4:5]
	v_mad_u64_u32 v[2:3], s[0:1], v3, s27, v[2:3]
.LBB56_806:
	s_waitcnt vmcnt(0) lgkmcnt(0)
	v_mov_b32_e32 v1, s11
	v_add_co_u32_e32 v4, vcc, s10, v4
	v_addc_co_u32_e32 v5, vcc, 0, v1, vcc
	v_mov_b32_e32 v1, 11
	v_cmp_lt_i16_sdwa s[0:1], v9, v1 src0_sel:BYTE_0 src1_sel:DWORD
	s_and_b64 vcc, exec, s[0:1]
	s_cbranch_vccnz .LBB56_813
; %bb.807:
	v_mov_b32_e32 v1, 25
	v_cmp_gt_i16_sdwa s[0:1], v9, v1 src0_sel:BYTE_0 src1_sel:DWORD
	s_and_b64 vcc, exec, s[0:1]
	s_cbranch_vccz .LBB56_815
; %bb.808:
	v_mov_b32_e32 v1, 28
	v_cmp_gt_i16_sdwa s[0:1], v9, v1 src0_sel:BYTE_0 src1_sel:DWORD
	s_and_b64 vcc, exec, s[0:1]
	s_cbranch_vccz .LBB56_816
	;; [unrolled: 5-line block ×4, first 2 shown]
; %bb.811:
	v_mov_b32_e32 v1, 46
	v_cmp_eq_u16_sdwa s[0:1], v9, v1 src0_sel:BYTE_0 src1_sel:DWORD
	s_mov_b64 s[56:57], 0
	s_and_b64 vcc, exec, s[0:1]
	s_cbranch_vccz .LBB56_821
; %bb.812:
	global_load_dword v1, v[4:5], off
	s_mov_b64 s[0:1], -1
	s_mov_b64 s[54:55], 0
	s_waitcnt vmcnt(0)
	v_lshlrev_b32_e32 v1, 16, v1
	v_cvt_f16_f32_e32 v1, v1
	s_branch .LBB56_822
.LBB56_813:
	s_mov_b64 s[56:57], -1
	s_mov_b64 s[0:1], 0
                                        ; implicit-def: $vgpr1
	s_mov_b64 s[54:55], s[44:45]
	s_branch .LBB56_887
.LBB56_814:
	s_mov_b64 s[52:53], 0
	s_branch .LBB56_550
.LBB56_815:
	s_mov_b64 s[56:57], -1
	s_mov_b64 s[0:1], 0
	s_mov_b64 s[54:55], s[44:45]
                                        ; implicit-def: $vgpr1
	s_branch .LBB56_851
.LBB56_816:
	s_mov_b64 s[56:57], -1
	s_mov_b64 s[0:1], 0
	s_mov_b64 s[54:55], s[44:45]
                                        ; implicit-def: $vgpr1
	s_branch .LBB56_832
.LBB56_817:
	s_mov_b64 s[56:57], -1
	s_mov_b64 s[0:1], 0
	s_mov_b64 s[54:55], s[44:45]
                                        ; implicit-def: $vgpr1
	s_branch .LBB56_827
.LBB56_818:
	s_mov_b64 s[56:57], -1
	s_mov_b64 s[0:1], 0
	s_mov_b64 s[54:55], s[44:45]
                                        ; implicit-def: $vgpr1
	s_branch .LBB56_822
.LBB56_819:
	s_or_saveexec_b64 s[54:55], s[54:55]
                                        ; implicit-def: $sgpr56
	s_xor_b64 exec, exec, s[54:55]
	s_cbranch_execz .LBB56_703
.LBB56_820:
	s_mov_b32 s56, 0x46000000
	v_add_f32_e64 v4, |v3|, s56
	v_and_b32_e32 v4, 0xff, v4
	v_cmp_ne_u32_e32 vcc, 0, v4
	s_andn2_b64 s[52:53], s[52:53], exec
	s_and_b64 s[58:59], vcc, exec
	s_mov_b32 s56, 0
	s_or_b64 s[52:53], s[52:53], s[58:59]
	s_or_b64 exec, exec, s[54:55]
	v_mov_b32_e32 v5, s56
	s_and_saveexec_b64 s[54:55], s[52:53]
	s_cbranch_execnz .LBB56_704
	s_branch .LBB56_705
.LBB56_821:
	s_mov_b64 s[54:55], -1
                                        ; implicit-def: $vgpr1
	s_mov_b64 s[0:1], 0
.LBB56_822:
	s_and_b64 vcc, exec, s[56:57]
	s_cbranch_vccz .LBB56_826
; %bb.823:
	v_mov_b32_e32 v1, 44
	v_cmp_eq_u16_sdwa s[54:55], v9, v1 src0_sel:BYTE_0 src1_sel:DWORD
	s_and_b64 vcc, exec, s[54:55]
	s_cbranch_vccz .LBB56_825
; %bb.824:
	global_load_ubyte v1, v[4:5], off
	s_movk_i32 s54, 0xff
	v_mov_b32_e32 v10, 0x7e00
	s_mov_b64 s[0:1], -1
	s_waitcnt vmcnt(0)
	v_lshlrev_b32_e32 v3, 23, v1
	v_cvt_f16_f32_e32 v3, v3
	v_cmp_ne_u32_e32 vcc, s54, v1
	s_mov_b64 s[54:55], 0
	v_cndmask_b32_e32 v3, v10, v3, vcc
	v_cmp_ne_u32_e32 vcc, 0, v1
	v_cndmask_b32_e32 v1, 0, v3, vcc
	s_branch .LBB56_826
.LBB56_825:
	s_mov_b64 s[54:55], -1
                                        ; implicit-def: $vgpr1
.LBB56_826:
	s_mov_b64 s[56:57], 0
.LBB56_827:
	s_and_b64 vcc, exec, s[56:57]
	s_cbranch_vccz .LBB56_831
; %bb.828:
	v_mov_b32_e32 v1, 29
	v_cmp_eq_u16_sdwa s[54:55], v9, v1 src0_sel:BYTE_0 src1_sel:DWORD
	s_and_b64 vcc, exec, s[54:55]
	s_cbranch_vccz .LBB56_830
; %bb.829:
	global_load_dwordx2 v[10:11], v[4:5], off
	s_mov_b64 s[0:1], -1
	s_mov_b64 s[54:55], 0
	s_mov_b64 s[56:57], 0
	s_waitcnt vmcnt(0)
	v_ffbh_u32_e32 v1, v11
	v_min_u32_e32 v1, 32, v1
	v_lshlrev_b64 v[10:11], v1, v[10:11]
	v_min_u32_e32 v3, 1, v10
	v_or_b32_e32 v3, v11, v3
	v_cvt_f32_u32_e32 v3, v3
	v_sub_u32_e32 v1, 32, v1
	v_ldexp_f32 v1, v3, v1
	v_cvt_f16_f32_e32 v1, v1
	s_branch .LBB56_832
.LBB56_830:
	s_mov_b64 s[54:55], -1
                                        ; implicit-def: $vgpr1
.LBB56_831:
	s_mov_b64 s[56:57], 0
.LBB56_832:
	s_and_b64 vcc, exec, s[56:57]
	s_cbranch_vccz .LBB56_850
; %bb.833:
	v_mov_b32_e32 v1, 27
	v_cmp_lt_i16_sdwa s[0:1], v9, v1 src0_sel:BYTE_0 src1_sel:DWORD
	s_and_b64 vcc, exec, s[0:1]
	s_cbranch_vccnz .LBB56_836
; %bb.834:
	v_cmp_gt_i16_sdwa s[0:1], v9, v1 src0_sel:BYTE_0 src1_sel:DWORD
	s_and_b64 vcc, exec, s[0:1]
	s_cbranch_vccz .LBB56_837
; %bb.835:
	global_load_dword v1, v[4:5], off
	s_mov_b64 s[0:1], 0
	s_waitcnt vmcnt(0)
	v_cvt_f32_u32_e32 v1, v1
	v_cvt_f16_f32_e32 v1, v1
	s_branch .LBB56_838
.LBB56_836:
	s_mov_b64 s[0:1], -1
                                        ; implicit-def: $vgpr1
	s_branch .LBB56_841
.LBB56_837:
	s_mov_b64 s[0:1], -1
                                        ; implicit-def: $vgpr1
.LBB56_838:
	s_andn2_b64 vcc, exec, s[0:1]
	s_cbranch_vccnz .LBB56_840
; %bb.839:
	global_load_ushort v1, v[4:5], off
	s_waitcnt vmcnt(0)
	v_cvt_f16_u16_e32 v1, v1
.LBB56_840:
	s_mov_b64 s[0:1], 0
.LBB56_841:
	s_andn2_b64 vcc, exec, s[0:1]
	s_cbranch_vccnz .LBB56_849
; %bb.842:
	global_load_ubyte v3, v[4:5], off
	s_movk_i32 s0, 0x7f
                                        ; implicit-def: $sgpr60
	s_waitcnt vmcnt(0)
	v_cmp_lt_i16_e32 vcc, s0, v3
	s_mov_b64 s[0:1], 0
	s_and_saveexec_b64 s[56:57], vcc
	s_xor_b64 s[56:57], exec, s[56:57]
	s_cbranch_execz .LBB56_863
; %bb.843:
	s_movk_i32 s0, 0x80
	v_cmp_eq_u16_e32 vcc, s0, v3
	s_mov_b64 s[0:1], -1
                                        ; implicit-def: $sgpr60
	s_and_saveexec_b64 s[58:59], vcc
; %bb.844:
	s_movk_i32 s60, 0x7e00
	s_xor_b64 s[0:1], exec, -1
; %bb.845:
	s_or_b64 exec, exec, s[58:59]
	s_and_b64 s[0:1], s[0:1], exec
	s_or_saveexec_b64 s[56:57], s[56:57]
	v_mov_b32_e32 v1, s60
	s_xor_b64 exec, exec, s[56:57]
	s_cbranch_execnz .LBB56_864
.LBB56_846:
	s_or_b64 exec, exec, s[56:57]
	s_and_saveexec_b64 s[56:57], s[0:1]
	s_cbranch_execz .LBB56_848
.LBB56_847:
	v_lshlrev_b32_e32 v1, 24, v3
	v_and_b32_e32 v3, 0xffff, v3
	v_and_b32_e32 v10, 7, v3
	v_ffbh_u32_e32 v12, v10
	v_min_u32_e32 v12, 32, v12
	v_subrev_u32_e32 v13, 28, v12
	v_bfe_u32 v11, v3, 3, 4
	v_lshlrev_b32_e32 v3, v13, v3
	v_sub_u32_e32 v12, 29, v12
	v_and_b32_e32 v3, 7, v3
	v_cmp_eq_u32_e32 vcc, 0, v11
	v_cndmask_b32_e32 v11, v11, v12, vcc
	v_cndmask_b32_e32 v3, v10, v3, vcc
	v_mov_b32_e32 v10, 0x3b800000
	v_lshlrev_b32_e32 v3, 20, v3
	v_and_b32_e32 v1, 0x80000000, v1
	v_lshl_add_u32 v10, v11, 23, v10
	v_or3_b32 v1, v1, v10, v3
	v_cvt_f16_f32_e32 v1, v1
.LBB56_848:
	s_or_b64 exec, exec, s[56:57]
.LBB56_849:
	s_mov_b64 s[0:1], -1
.LBB56_850:
	s_mov_b64 s[56:57], 0
.LBB56_851:
	s_and_b64 vcc, exec, s[56:57]
	s_cbranch_vccz .LBB56_886
; %bb.852:
	v_mov_b32_e32 v1, 22
	v_cmp_gt_i16_sdwa s[56:57], v9, v1 src0_sel:BYTE_0 src1_sel:DWORD
	s_and_b64 vcc, exec, s[56:57]
	s_cbranch_vccz .LBB56_862
; %bb.853:
	v_mov_b32_e32 v1, 24
	v_cmp_lt_i16_sdwa s[0:1], v9, v1 src0_sel:BYTE_0 src1_sel:DWORD
	s_and_b64 vcc, exec, s[0:1]
	s_cbranch_vccnz .LBB56_865
; %bb.854:
	v_cmp_gt_i16_sdwa s[0:1], v9, v1 src0_sel:BYTE_0 src1_sel:DWORD
	s_and_b64 vcc, exec, s[0:1]
	s_cbranch_vccz .LBB56_866
; %bb.855:
	global_load_ubyte v3, v[4:5], off
	s_movk_i32 s0, 0x7f
                                        ; implicit-def: $sgpr60
	s_waitcnt vmcnt(0)
	v_cmp_lt_i16_e32 vcc, s0, v3
	s_mov_b64 s[0:1], 0
	s_and_saveexec_b64 s[56:57], vcc
	s_xor_b64 s[56:57], exec, s[56:57]
	s_cbranch_execz .LBB56_878
; %bb.856:
	s_movk_i32 s0, 0x80
	v_cmp_eq_u16_e32 vcc, s0, v3
	s_mov_b64 s[0:1], -1
                                        ; implicit-def: $sgpr60
	s_and_saveexec_b64 s[58:59], vcc
; %bb.857:
	s_movk_i32 s60, 0x7e00
	s_xor_b64 s[0:1], exec, -1
; %bb.858:
	s_or_b64 exec, exec, s[58:59]
	s_and_b64 s[0:1], s[0:1], exec
	s_or_saveexec_b64 s[56:57], s[56:57]
	v_mov_b32_e32 v1, s60
	s_xor_b64 exec, exec, s[56:57]
	s_cbranch_execnz .LBB56_879
.LBB56_859:
	s_or_b64 exec, exec, s[56:57]
	s_and_saveexec_b64 s[56:57], s[0:1]
	s_cbranch_execz .LBB56_861
.LBB56_860:
	v_lshlrev_b32_e32 v1, 24, v3
	v_and_b32_e32 v3, 0xffff, v3
	v_and_b32_e32 v10, 3, v3
	v_ffbh_u32_e32 v12, v10
	v_min_u32_e32 v12, 32, v12
	v_subrev_u32_e32 v13, 29, v12
	v_bfe_u32 v11, v3, 2, 5
	v_lshlrev_b32_e32 v3, v13, v3
	v_sub_u32_e32 v12, 30, v12
	v_and_b32_e32 v3, 3, v3
	v_cmp_eq_u32_e32 vcc, 0, v11
	v_cndmask_b32_e32 v11, v11, v12, vcc
	v_cndmask_b32_e32 v3, v10, v3, vcc
	v_mov_b32_e32 v10, 0x37800000
	v_lshlrev_b32_e32 v3, 21, v3
	v_and_b32_e32 v1, 0x80000000, v1
	v_lshl_add_u32 v10, v11, 23, v10
	v_or3_b32 v1, v1, v10, v3
	v_cvt_f16_f32_e32 v1, v1
.LBB56_861:
	s_or_b64 exec, exec, s[56:57]
	s_mov_b64 s[0:1], 0
	s_branch .LBB56_867
.LBB56_862:
	s_mov_b64 s[56:57], -1
                                        ; implicit-def: $vgpr1
	s_branch .LBB56_873
.LBB56_863:
	s_or_saveexec_b64 s[56:57], s[56:57]
	v_mov_b32_e32 v1, s60
	s_xor_b64 exec, exec, s[56:57]
	s_cbranch_execz .LBB56_846
.LBB56_864:
	v_cmp_ne_u16_e32 vcc, 0, v3
	s_andn2_b64 s[0:1], s[0:1], exec
	s_and_b64 s[58:59], vcc, exec
	s_or_b64 s[0:1], s[0:1], s[58:59]
	v_mov_b32_e32 v1, v3
	s_or_b64 exec, exec, s[56:57]
	s_and_saveexec_b64 s[56:57], s[0:1]
	s_cbranch_execnz .LBB56_847
	s_branch .LBB56_848
.LBB56_865:
	s_mov_b64 s[0:1], -1
                                        ; implicit-def: $vgpr1
	s_branch .LBB56_870
.LBB56_866:
	s_mov_b64 s[0:1], -1
                                        ; implicit-def: $vgpr1
.LBB56_867:
	s_and_b64 vcc, exec, s[0:1]
	s_cbranch_vccz .LBB56_869
; %bb.868:
	global_load_ubyte v1, v[4:5], off
	s_mov_b32 s0, 0x7f800000
	s_waitcnt vmcnt(0)
	v_lshlrev_b32_e32 v1, 24, v1
	v_and_b32_e32 v3, 0x7f000000, v1
	v_ffbh_u32_e32 v10, v3
	v_min_u32_e32 v10, 32, v10
	v_sub_u32_e64 v10, v10, 4 clamp
	v_lshlrev_b32_e32 v12, v10, v3
	v_lshlrev_b32_e32 v10, 23, v10
	v_lshrrev_b32_e32 v12, 4, v12
	v_add_u32_e32 v11, 0x1000000, v3
	v_sub_u32_e32 v10, v12, v10
	v_ashrrev_i32_e32 v11, 8, v11
	v_add_u32_e32 v10, 0x3c000000, v10
	v_and_or_b32 v10, v11, s0, v10
	v_cmp_ne_u32_e32 vcc, 0, v3
	v_cndmask_b32_e32 v3, 0, v10, vcc
	s_brev_b32 s0, 1
	v_and_or_b32 v1, v1, s0, v3
	v_cvt_f16_f32_e32 v1, v1
.LBB56_869:
	s_mov_b64 s[0:1], 0
.LBB56_870:
	s_andn2_b64 vcc, exec, s[0:1]
	s_cbranch_vccnz .LBB56_872
; %bb.871:
	global_load_ubyte v1, v[4:5], off
	s_movk_i32 s0, 0x7f00
	s_brev_b32 s1, 16
	s_waitcnt vmcnt(0)
	v_lshlrev_b16_e32 v3, 8, v1
	v_lshlrev_b32_e32 v1, 25, v1
	v_lshrrev_b32_e32 v10, 4, v1
	v_and_or_b32 v11, v3, s0, 0.5
	v_or_b32_e32 v10, 0x70000000, v10
	v_add_f32_e32 v11, -0.5, v11
	v_mul_f32_e32 v10, 0x7800000, v10
	v_cmp_gt_u32_e32 vcc, s1, v1
	v_bfe_i32 v3, v3, 0, 16
	v_cndmask_b32_e32 v1, v10, v11, vcc
	s_brev_b32 s0, 1
	v_and_or_b32 v1, v3, s0, v1
	v_cvt_f16_f32_e32 v1, v1
.LBB56_872:
	s_mov_b64 s[56:57], 0
	s_mov_b64 s[0:1], -1
.LBB56_873:
	s_andn2_b64 vcc, exec, s[56:57]
	s_cbranch_vccnz .LBB56_886
; %bb.874:
	v_mov_b32_e32 v1, 14
	v_cmp_gt_i16_sdwa s[56:57], v9, v1 src0_sel:BYTE_0 src1_sel:DWORD
	s_and_b64 vcc, exec, s[56:57]
	s_cbranch_vccz .LBB56_877
; %bb.875:
	v_mov_b32_e32 v1, 15
	v_cmp_eq_u16_sdwa s[54:55], v9, v1 src0_sel:BYTE_0 src1_sel:DWORD
	s_and_b64 vcc, exec, s[54:55]
	s_cbranch_vccz .LBB56_880
; %bb.876:
	global_load_ushort v1, v[4:5], off
	s_mov_b64 s[0:1], -1
	s_mov_b64 s[54:55], 0
	s_waitcnt vmcnt(0)
	v_lshlrev_b32_e32 v1, 16, v1
	v_cvt_f16_f32_e32 v1, v1
	s_branch .LBB56_881
.LBB56_877:
	s_mov_b64 s[56:57], -1
                                        ; implicit-def: $vgpr1
	s_branch .LBB56_882
.LBB56_878:
	s_or_saveexec_b64 s[56:57], s[56:57]
	v_mov_b32_e32 v1, s60
	s_xor_b64 exec, exec, s[56:57]
	s_cbranch_execz .LBB56_859
.LBB56_879:
	v_cmp_ne_u16_e32 vcc, 0, v3
	s_andn2_b64 s[0:1], s[0:1], exec
	s_and_b64 s[58:59], vcc, exec
	s_or_b64 s[0:1], s[0:1], s[58:59]
	v_mov_b32_e32 v1, v3
	s_or_b64 exec, exec, s[56:57]
	s_and_saveexec_b64 s[56:57], s[0:1]
	s_cbranch_execnz .LBB56_860
	s_branch .LBB56_861
.LBB56_880:
	s_mov_b64 s[54:55], -1
                                        ; implicit-def: $vgpr1
.LBB56_881:
	s_mov_b64 s[56:57], 0
.LBB56_882:
	s_and_b64 vcc, exec, s[56:57]
	s_cbranch_vccz .LBB56_886
; %bb.883:
	v_mov_b32_e32 v1, 11
	v_cmp_eq_u16_sdwa s[54:55], v9, v1 src0_sel:BYTE_0 src1_sel:DWORD
	s_and_b64 vcc, exec, s[54:55]
	s_cbranch_vccz .LBB56_885
; %bb.884:
	global_load_ubyte v1, v[4:5], off
	v_mov_b32_e32 v3, 0x3c00
	s_mov_b64 s[0:1], -1
	s_mov_b64 s[54:55], 0
	s_waitcnt vmcnt(0)
	v_cmp_ne_u16_e32 vcc, 0, v1
	v_cndmask_b32_e32 v1, 0, v3, vcc
	s_branch .LBB56_886
.LBB56_885:
	s_mov_b64 s[54:55], -1
                                        ; implicit-def: $vgpr1
.LBB56_886:
	s_mov_b64 s[56:57], 0
.LBB56_887:
	s_and_b64 vcc, exec, s[56:57]
	s_cbranch_vccz .LBB56_936
; %bb.888:
	v_mov_b32_e32 v1, 5
	v_cmp_lt_i16_sdwa s[0:1], v9, v1 src0_sel:BYTE_0 src1_sel:DWORD
	s_and_b64 vcc, exec, s[0:1]
	s_cbranch_vccnz .LBB56_893
; %bb.889:
	v_mov_b32_e32 v1, 8
	v_cmp_lt_i16_sdwa s[0:1], v9, v1 src0_sel:BYTE_0 src1_sel:DWORD
	s_and_b64 vcc, exec, s[0:1]
	s_cbranch_vccnz .LBB56_894
	;; [unrolled: 5-line block ×3, first 2 shown]
; %bb.891:
	v_cmp_gt_i16_sdwa s[0:1], v9, v1 src0_sel:BYTE_0 src1_sel:DWORD
	s_and_b64 vcc, exec, s[0:1]
	s_cbranch_vccz .LBB56_896
; %bb.892:
	global_load_dwordx2 v[10:11], v[4:5], off
	s_mov_b64 s[0:1], 0
	s_waitcnt vmcnt(0)
	v_cvt_f32_f64_e32 v1, v[10:11]
	v_cvt_f16_f32_e32 v1, v1
	s_branch .LBB56_897
.LBB56_893:
	s_mov_b64 s[0:1], -1
                                        ; implicit-def: $vgpr1
	s_branch .LBB56_915
.LBB56_894:
	s_mov_b64 s[0:1], -1
                                        ; implicit-def: $vgpr1
	s_branch .LBB56_903
.LBB56_895:
	s_mov_b64 s[0:1], -1
                                        ; implicit-def: $vgpr1
	s_branch .LBB56_900
.LBB56_896:
	s_mov_b64 s[0:1], -1
                                        ; implicit-def: $vgpr1
.LBB56_897:
	s_andn2_b64 vcc, exec, s[0:1]
	s_cbranch_vccnz .LBB56_899
; %bb.898:
	global_load_dword v1, v[4:5], off
	s_waitcnt vmcnt(0)
	v_cvt_f16_f32_e32 v1, v1
.LBB56_899:
	s_mov_b64 s[0:1], 0
.LBB56_900:
	s_andn2_b64 vcc, exec, s[0:1]
	s_cbranch_vccnz .LBB56_902
; %bb.901:
	global_load_dword v1, v[4:5], off
.LBB56_902:
	s_mov_b64 s[0:1], 0
.LBB56_903:
	s_andn2_b64 vcc, exec, s[0:1]
	s_cbranch_vccnz .LBB56_914
; %bb.904:
	s_waitcnt vmcnt(0)
	v_mov_b32_e32 v1, 6
	v_cmp_lt_i16_sdwa s[0:1], v9, v1 src0_sel:BYTE_0 src1_sel:DWORD
	s_and_b64 vcc, exec, s[0:1]
	s_cbranch_vccnz .LBB56_907
; %bb.905:
	v_cmp_gt_i16_sdwa s[0:1], v9, v1 src0_sel:BYTE_0 src1_sel:DWORD
	s_and_b64 vcc, exec, s[0:1]
	s_cbranch_vccz .LBB56_908
; %bb.906:
	global_load_dwordx2 v[10:11], v[4:5], off
	s_mov_b64 s[0:1], 0
	s_waitcnt vmcnt(0)
	v_cvt_f32_f64_e32 v1, v[10:11]
	v_cvt_f16_f32_e32 v1, v1
	s_branch .LBB56_909
.LBB56_907:
	s_mov_b64 s[0:1], -1
                                        ; implicit-def: $vgpr1
	s_branch .LBB56_912
.LBB56_908:
	s_mov_b64 s[0:1], -1
                                        ; implicit-def: $vgpr1
.LBB56_909:
	s_andn2_b64 vcc, exec, s[0:1]
	s_cbranch_vccnz .LBB56_911
; %bb.910:
	global_load_dword v1, v[4:5], off
	s_waitcnt vmcnt(0)
	v_cvt_f16_f32_e32 v1, v1
.LBB56_911:
	s_mov_b64 s[0:1], 0
.LBB56_912:
	s_andn2_b64 vcc, exec, s[0:1]
	s_cbranch_vccnz .LBB56_914
; %bb.913:
	global_load_ushort v1, v[4:5], off
.LBB56_914:
	s_mov_b64 s[0:1], 0
.LBB56_915:
	s_andn2_b64 vcc, exec, s[0:1]
	s_cbranch_vccnz .LBB56_935
; %bb.916:
	s_waitcnt vmcnt(0)
	v_mov_b32_e32 v1, 2
	v_cmp_lt_i16_sdwa s[0:1], v9, v1 src0_sel:BYTE_0 src1_sel:DWORD
	s_and_b64 vcc, exec, s[0:1]
	s_cbranch_vccnz .LBB56_920
; %bb.917:
	v_mov_b32_e32 v1, 3
	v_cmp_lt_i16_sdwa s[0:1], v9, v1 src0_sel:BYTE_0 src1_sel:DWORD
	s_and_b64 vcc, exec, s[0:1]
	s_cbranch_vccnz .LBB56_921
; %bb.918:
	v_cmp_gt_i16_sdwa s[0:1], v9, v1 src0_sel:BYTE_0 src1_sel:DWORD
	s_and_b64 vcc, exec, s[0:1]
	s_cbranch_vccz .LBB56_922
; %bb.919:
	global_load_dwordx2 v[10:11], v[4:5], off
	s_mov_b64 s[0:1], 0
	s_waitcnt vmcnt(0)
	v_xor_b32_e32 v3, v10, v11
	v_ffbh_i32_e32 v1, v11
	v_ashrrev_i32_e32 v3, 31, v3
	v_add_u32_e32 v1, -1, v1
	v_add_u32_e32 v3, 32, v3
	v_min_u32_e32 v1, v1, v3
	v_lshlrev_b64 v[10:11], v1, v[10:11]
	v_min_u32_e32 v3, 1, v10
	v_or_b32_e32 v3, v11, v3
	v_cvt_f32_i32_e32 v3, v3
	v_sub_u32_e32 v1, 32, v1
	v_ldexp_f32 v1, v3, v1
	v_cvt_f16_f32_e32 v1, v1
	s_branch .LBB56_923
.LBB56_920:
	s_mov_b64 s[0:1], -1
                                        ; implicit-def: $vgpr1
	s_branch .LBB56_929
.LBB56_921:
	s_mov_b64 s[0:1], -1
                                        ; implicit-def: $vgpr1
	s_branch .LBB56_926
.LBB56_922:
	s_mov_b64 s[0:1], -1
                                        ; implicit-def: $vgpr1
.LBB56_923:
	s_andn2_b64 vcc, exec, s[0:1]
	s_cbranch_vccnz .LBB56_925
; %bb.924:
	global_load_dword v1, v[4:5], off
	s_waitcnt vmcnt(0)
	v_cvt_f32_i32_e32 v1, v1
	v_cvt_f16_f32_e32 v1, v1
.LBB56_925:
	s_mov_b64 s[0:1], 0
.LBB56_926:
	s_andn2_b64 vcc, exec, s[0:1]
	s_cbranch_vccnz .LBB56_928
; %bb.927:
	global_load_ushort v1, v[4:5], off
	s_waitcnt vmcnt(0)
	v_cvt_f16_i16_e32 v1, v1
.LBB56_928:
	s_mov_b64 s[0:1], 0
.LBB56_929:
	s_andn2_b64 vcc, exec, s[0:1]
	s_cbranch_vccnz .LBB56_935
; %bb.930:
	v_mov_b32_e32 v1, 0
	v_cmp_gt_i16_sdwa s[0:1], v9, v1 src0_sel:BYTE_0 src1_sel:DWORD
	s_and_b64 vcc, exec, s[0:1]
	s_cbranch_vccz .LBB56_932
; %bb.931:
	global_load_sbyte v1, v[4:5], off
	s_mov_b64 s[0:1], 0
	s_waitcnt vmcnt(0)
	v_cvt_f16_i16_e32 v1, v1
	s_branch .LBB56_933
.LBB56_932:
	s_mov_b64 s[0:1], -1
                                        ; implicit-def: $vgpr1
.LBB56_933:
	s_andn2_b64 vcc, exec, s[0:1]
	s_cbranch_vccnz .LBB56_935
; %bb.934:
	global_load_ubyte v1, v[4:5], off
	s_waitcnt vmcnt(0)
	v_cvt_f16_u16_e32 v1, v1
.LBB56_935:
	s_mov_b64 s[0:1], -1
.LBB56_936:
	s_andn2_b64 vcc, exec, s[0:1]
	s_cbranch_vccnz .LBB56_944
; %bb.937:
	v_mov_b32_e32 v3, s25
	v_add_co_u32_e32 v2, vcc, s24, v2
	v_mov_b32_e32 v4, 11
	v_addc_co_u32_e32 v3, vcc, 0, v3, vcc
	v_cmp_lt_i16_sdwa s[0:1], v7, v4 src0_sel:BYTE_0 src1_sel:DWORD
	s_and_b64 vcc, exec, s[0:1]
	s_cbranch_vccnz .LBB56_946
; %bb.938:
	v_mov_b32_e32 v4, 25
	v_cmp_gt_i16_sdwa s[0:1], v7, v4 src0_sel:BYTE_0 src1_sel:DWORD
	s_and_b64 vcc, exec, s[0:1]
	s_cbranch_vccz .LBB56_947
; %bb.939:
	v_mov_b32_e32 v4, 28
	v_cmp_gt_i16_sdwa s[0:1], v7, v4 src0_sel:BYTE_0 src1_sel:DWORD
	s_and_b64 vcc, exec, s[0:1]
	s_cbranch_vccz .LBB56_948
	;; [unrolled: 5-line block ×4, first 2 shown]
; %bb.942:
	v_mov_b32_e32 v4, 46
	v_cmp_eq_u16_sdwa s[0:1], v7, v4 src0_sel:BYTE_0 src1_sel:DWORD
	s_mov_b64 s[58:59], 0
	s_and_b64 vcc, exec, s[0:1]
	s_cbranch_vccz .LBB56_953
; %bb.943:
	global_load_dword v4, v[2:3], off
	s_mov_b64 s[0:1], -1
	s_mov_b64 s[56:57], 0
	s_waitcnt vmcnt(0)
	v_lshlrev_b32_e32 v4, 16, v4
	v_cvt_f16_f32_e32 v4, v4
	s_branch .LBB56_954
.LBB56_944:
	s_mov_b64 s[60:61], 0
	s_mov_b64 s[0:1], s[48:49]
	;; [unrolled: 1-line block ×3, first 2 shown]
.LBB56_945:
                                        ; implicit-def: $vgpr8
	s_branch .LBB56_1192
.LBB56_946:
	s_mov_b64 s[58:59], -1
	s_mov_b64 s[0:1], 0
                                        ; implicit-def: $vgpr4
	s_mov_b64 s[56:57], s[46:47]
	s_branch .LBB56_1019
.LBB56_947:
	s_mov_b64 s[58:59], -1
	s_mov_b64 s[0:1], 0
	s_mov_b64 s[56:57], s[46:47]
                                        ; implicit-def: $vgpr4
	s_branch .LBB56_983
.LBB56_948:
	s_mov_b64 s[58:59], -1
	s_mov_b64 s[0:1], 0
	s_mov_b64 s[56:57], s[46:47]
                                        ; implicit-def: $vgpr4
	s_branch .LBB56_964
.LBB56_949:
	s_mov_b64 s[58:59], -1
	s_mov_b64 s[0:1], 0
	s_mov_b64 s[56:57], s[46:47]
                                        ; implicit-def: $vgpr4
	s_branch .LBB56_959
.LBB56_950:
	s_mov_b64 s[58:59], -1
	s_mov_b64 s[0:1], 0
	s_mov_b64 s[56:57], s[46:47]
                                        ; implicit-def: $vgpr4
	s_branch .LBB56_954
.LBB56_951:
	s_or_saveexec_b64 s[54:55], s[54:55]
                                        ; implicit-def: $sgpr56
	s_xor_b64 exec, exec, s[54:55]
	s_cbranch_execz .LBB56_716
.LBB56_952:
	s_mov_b32 s56, 0x42800000
	v_add_f32_e64 v4, |v3|, s56
	v_and_b32_e32 v4, 0xff, v4
	v_cmp_ne_u32_e32 vcc, 0, v4
	s_andn2_b64 s[52:53], s[52:53], exec
	s_and_b64 s[58:59], vcc, exec
	s_mov_b32 s56, 0
	s_or_b64 s[52:53], s[52:53], s[58:59]
	s_or_b64 exec, exec, s[54:55]
	v_mov_b32_e32 v5, s56
	s_and_saveexec_b64 s[54:55], s[52:53]
	s_cbranch_execnz .LBB56_717
	s_branch .LBB56_718
.LBB56_953:
	s_mov_b64 s[56:57], -1
                                        ; implicit-def: $vgpr4
	s_mov_b64 s[0:1], 0
.LBB56_954:
	s_and_b64 vcc, exec, s[58:59]
	s_cbranch_vccz .LBB56_958
; %bb.955:
	v_mov_b32_e32 v4, 44
	v_cmp_eq_u16_sdwa s[56:57], v7, v4 src0_sel:BYTE_0 src1_sel:DWORD
	s_and_b64 vcc, exec, s[56:57]
	s_cbranch_vccz .LBB56_957
; %bb.956:
	global_load_ubyte v4, v[2:3], off
	s_movk_i32 s56, 0xff
	v_mov_b32_e32 v10, 0x7e00
	s_mov_b64 s[0:1], -1
	s_waitcnt vmcnt(0)
	v_lshlrev_b32_e32 v5, 23, v4
	v_cvt_f16_f32_e32 v5, v5
	v_cmp_ne_u32_e32 vcc, s56, v4
	s_mov_b64 s[56:57], 0
	v_cndmask_b32_e32 v5, v10, v5, vcc
	v_cmp_ne_u32_e32 vcc, 0, v4
	v_cndmask_b32_e32 v4, 0, v5, vcc
	s_branch .LBB56_958
.LBB56_957:
	s_mov_b64 s[56:57], -1
                                        ; implicit-def: $vgpr4
.LBB56_958:
	s_mov_b64 s[58:59], 0
.LBB56_959:
	s_and_b64 vcc, exec, s[58:59]
	s_cbranch_vccz .LBB56_963
; %bb.960:
	v_mov_b32_e32 v4, 29
	v_cmp_eq_u16_sdwa s[56:57], v7, v4 src0_sel:BYTE_0 src1_sel:DWORD
	s_and_b64 vcc, exec, s[56:57]
	s_cbranch_vccz .LBB56_962
; %bb.961:
	global_load_dwordx2 v[4:5], v[2:3], off
	s_mov_b64 s[0:1], -1
	s_mov_b64 s[56:57], 0
	s_mov_b64 s[58:59], 0
	s_waitcnt vmcnt(0)
	v_ffbh_u32_e32 v10, v5
	v_min_u32_e32 v10, 32, v10
	v_lshlrev_b64 v[4:5], v10, v[4:5]
	v_min_u32_e32 v4, 1, v4
	v_or_b32_e32 v4, v5, v4
	v_cvt_f32_u32_e32 v4, v4
	v_sub_u32_e32 v5, 32, v10
	v_ldexp_f32 v4, v4, v5
	v_cvt_f16_f32_e32 v4, v4
	s_branch .LBB56_964
.LBB56_962:
	s_mov_b64 s[56:57], -1
                                        ; implicit-def: $vgpr4
.LBB56_963:
	s_mov_b64 s[58:59], 0
.LBB56_964:
	s_and_b64 vcc, exec, s[58:59]
	s_cbranch_vccz .LBB56_982
; %bb.965:
	v_mov_b32_e32 v4, 27
	v_cmp_lt_i16_sdwa s[0:1], v7, v4 src0_sel:BYTE_0 src1_sel:DWORD
	s_and_b64 vcc, exec, s[0:1]
	s_cbranch_vccnz .LBB56_968
; %bb.966:
	v_cmp_gt_i16_sdwa s[0:1], v7, v4 src0_sel:BYTE_0 src1_sel:DWORD
	s_and_b64 vcc, exec, s[0:1]
	s_cbranch_vccz .LBB56_969
; %bb.967:
	global_load_dword v4, v[2:3], off
	s_mov_b64 s[0:1], 0
	s_waitcnt vmcnt(0)
	v_cvt_f32_u32_e32 v4, v4
	v_cvt_f16_f32_e32 v4, v4
	s_branch .LBB56_970
.LBB56_968:
	s_mov_b64 s[0:1], -1
                                        ; implicit-def: $vgpr4
	s_branch .LBB56_973
.LBB56_969:
	s_mov_b64 s[0:1], -1
                                        ; implicit-def: $vgpr4
.LBB56_970:
	s_andn2_b64 vcc, exec, s[0:1]
	s_cbranch_vccnz .LBB56_972
; %bb.971:
	global_load_ushort v4, v[2:3], off
	s_waitcnt vmcnt(0)
	v_cvt_f16_u16_e32 v4, v4
.LBB56_972:
	s_mov_b64 s[0:1], 0
.LBB56_973:
	s_andn2_b64 vcc, exec, s[0:1]
	s_cbranch_vccnz .LBB56_981
; %bb.974:
	global_load_ubyte v5, v[2:3], off
	s_movk_i32 s0, 0x7f
                                        ; implicit-def: $sgpr62
	s_waitcnt vmcnt(0)
	v_cmp_lt_i16_e32 vcc, s0, v5
	s_mov_b64 s[0:1], 0
	s_and_saveexec_b64 s[58:59], vcc
	s_xor_b64 s[58:59], exec, s[58:59]
	s_cbranch_execz .LBB56_995
; %bb.975:
	s_movk_i32 s0, 0x80
	v_cmp_eq_u16_e32 vcc, s0, v5
	s_mov_b64 s[0:1], -1
                                        ; implicit-def: $sgpr62
	s_and_saveexec_b64 s[60:61], vcc
; %bb.976:
	s_movk_i32 s62, 0x7e00
	s_xor_b64 s[0:1], exec, -1
; %bb.977:
	s_or_b64 exec, exec, s[60:61]
	s_and_b64 s[0:1], s[0:1], exec
	s_or_saveexec_b64 s[58:59], s[58:59]
	v_mov_b32_e32 v4, s62
	s_xor_b64 exec, exec, s[58:59]
	s_cbranch_execnz .LBB56_996
.LBB56_978:
	s_or_b64 exec, exec, s[58:59]
	s_and_saveexec_b64 s[58:59], s[0:1]
	s_cbranch_execz .LBB56_980
.LBB56_979:
	v_lshlrev_b32_e32 v4, 24, v5
	v_and_b32_e32 v5, 0xffff, v5
	v_and_b32_e32 v10, 7, v5
	v_ffbh_u32_e32 v12, v10
	v_min_u32_e32 v12, 32, v12
	v_subrev_u32_e32 v13, 28, v12
	v_bfe_u32 v11, v5, 3, 4
	v_lshlrev_b32_e32 v5, v13, v5
	v_sub_u32_e32 v12, 29, v12
	v_and_b32_e32 v5, 7, v5
	v_cmp_eq_u32_e32 vcc, 0, v11
	v_cndmask_b32_e32 v11, v11, v12, vcc
	v_cndmask_b32_e32 v5, v10, v5, vcc
	v_mov_b32_e32 v10, 0x3b800000
	v_lshlrev_b32_e32 v5, 20, v5
	v_and_b32_e32 v4, 0x80000000, v4
	v_lshl_add_u32 v10, v11, 23, v10
	v_or3_b32 v4, v4, v10, v5
	v_cvt_f16_f32_e32 v4, v4
.LBB56_980:
	s_or_b64 exec, exec, s[58:59]
.LBB56_981:
	s_mov_b64 s[0:1], -1
.LBB56_982:
	s_mov_b64 s[58:59], 0
.LBB56_983:
	s_and_b64 vcc, exec, s[58:59]
	s_cbranch_vccz .LBB56_1018
; %bb.984:
	v_mov_b32_e32 v4, 22
	v_cmp_gt_i16_sdwa s[58:59], v7, v4 src0_sel:BYTE_0 src1_sel:DWORD
	s_and_b64 vcc, exec, s[58:59]
	s_cbranch_vccz .LBB56_994
; %bb.985:
	v_mov_b32_e32 v4, 24
	v_cmp_lt_i16_sdwa s[0:1], v7, v4 src0_sel:BYTE_0 src1_sel:DWORD
	s_and_b64 vcc, exec, s[0:1]
	s_cbranch_vccnz .LBB56_997
; %bb.986:
	v_cmp_gt_i16_sdwa s[0:1], v7, v4 src0_sel:BYTE_0 src1_sel:DWORD
	s_and_b64 vcc, exec, s[0:1]
	s_cbranch_vccz .LBB56_998
; %bb.987:
	global_load_ubyte v5, v[2:3], off
	s_movk_i32 s0, 0x7f
                                        ; implicit-def: $sgpr62
	s_waitcnt vmcnt(0)
	v_cmp_lt_i16_e32 vcc, s0, v5
	s_mov_b64 s[0:1], 0
	s_and_saveexec_b64 s[58:59], vcc
	s_xor_b64 s[58:59], exec, s[58:59]
	s_cbranch_execz .LBB56_1010
; %bb.988:
	s_movk_i32 s0, 0x80
	v_cmp_eq_u16_e32 vcc, s0, v5
	s_mov_b64 s[0:1], -1
                                        ; implicit-def: $sgpr62
	s_and_saveexec_b64 s[60:61], vcc
; %bb.989:
	s_movk_i32 s62, 0x7e00
	s_xor_b64 s[0:1], exec, -1
; %bb.990:
	s_or_b64 exec, exec, s[60:61]
	s_and_b64 s[0:1], s[0:1], exec
	s_or_saveexec_b64 s[58:59], s[58:59]
	v_mov_b32_e32 v4, s62
	s_xor_b64 exec, exec, s[58:59]
	s_cbranch_execnz .LBB56_1011
.LBB56_991:
	s_or_b64 exec, exec, s[58:59]
	s_and_saveexec_b64 s[58:59], s[0:1]
	s_cbranch_execz .LBB56_993
.LBB56_992:
	v_lshlrev_b32_e32 v4, 24, v5
	v_and_b32_e32 v5, 0xffff, v5
	v_and_b32_e32 v10, 3, v5
	v_ffbh_u32_e32 v12, v10
	v_min_u32_e32 v12, 32, v12
	v_subrev_u32_e32 v13, 29, v12
	v_bfe_u32 v11, v5, 2, 5
	v_lshlrev_b32_e32 v5, v13, v5
	v_sub_u32_e32 v12, 30, v12
	v_and_b32_e32 v5, 3, v5
	v_cmp_eq_u32_e32 vcc, 0, v11
	v_cndmask_b32_e32 v11, v11, v12, vcc
	v_cndmask_b32_e32 v5, v10, v5, vcc
	v_mov_b32_e32 v10, 0x37800000
	v_lshlrev_b32_e32 v5, 21, v5
	v_and_b32_e32 v4, 0x80000000, v4
	v_lshl_add_u32 v10, v11, 23, v10
	v_or3_b32 v4, v4, v10, v5
	v_cvt_f16_f32_e32 v4, v4
.LBB56_993:
	s_or_b64 exec, exec, s[58:59]
	s_mov_b64 s[0:1], 0
	s_branch .LBB56_999
.LBB56_994:
	s_mov_b64 s[58:59], -1
                                        ; implicit-def: $vgpr4
	s_branch .LBB56_1005
.LBB56_995:
	s_or_saveexec_b64 s[58:59], s[58:59]
	v_mov_b32_e32 v4, s62
	s_xor_b64 exec, exec, s[58:59]
	s_cbranch_execz .LBB56_978
.LBB56_996:
	v_cmp_ne_u16_e32 vcc, 0, v5
	s_andn2_b64 s[0:1], s[0:1], exec
	s_and_b64 s[60:61], vcc, exec
	s_or_b64 s[0:1], s[0:1], s[60:61]
	v_mov_b32_e32 v4, v5
	s_or_b64 exec, exec, s[58:59]
	s_and_saveexec_b64 s[58:59], s[0:1]
	s_cbranch_execnz .LBB56_979
	s_branch .LBB56_980
.LBB56_997:
	s_mov_b64 s[0:1], -1
                                        ; implicit-def: $vgpr4
	s_branch .LBB56_1002
.LBB56_998:
	s_mov_b64 s[0:1], -1
                                        ; implicit-def: $vgpr4
.LBB56_999:
	s_and_b64 vcc, exec, s[0:1]
	s_cbranch_vccz .LBB56_1001
; %bb.1000:
	global_load_ubyte v4, v[2:3], off
	s_mov_b32 s0, 0x7f800000
	s_waitcnt vmcnt(0)
	v_lshlrev_b32_e32 v4, 24, v4
	v_and_b32_e32 v5, 0x7f000000, v4
	v_ffbh_u32_e32 v10, v5
	v_min_u32_e32 v10, 32, v10
	v_sub_u32_e64 v10, v10, 4 clamp
	v_lshlrev_b32_e32 v12, v10, v5
	v_lshlrev_b32_e32 v10, 23, v10
	v_lshrrev_b32_e32 v12, 4, v12
	v_add_u32_e32 v11, 0x1000000, v5
	v_sub_u32_e32 v10, v12, v10
	v_ashrrev_i32_e32 v11, 8, v11
	v_add_u32_e32 v10, 0x3c000000, v10
	v_and_or_b32 v10, v11, s0, v10
	v_cmp_ne_u32_e32 vcc, 0, v5
	v_cndmask_b32_e32 v5, 0, v10, vcc
	s_brev_b32 s0, 1
	v_and_or_b32 v4, v4, s0, v5
	v_cvt_f16_f32_e32 v4, v4
.LBB56_1001:
	s_mov_b64 s[0:1], 0
.LBB56_1002:
	s_andn2_b64 vcc, exec, s[0:1]
	s_cbranch_vccnz .LBB56_1004
; %bb.1003:
	global_load_ubyte v4, v[2:3], off
	s_movk_i32 s0, 0x7f00
	s_brev_b32 s1, 16
	s_waitcnt vmcnt(0)
	v_lshlrev_b16_e32 v5, 8, v4
	v_lshlrev_b32_e32 v4, 25, v4
	v_lshrrev_b32_e32 v10, 4, v4
	v_and_or_b32 v11, v5, s0, 0.5
	v_or_b32_e32 v10, 0x70000000, v10
	v_add_f32_e32 v11, -0.5, v11
	v_mul_f32_e32 v10, 0x7800000, v10
	v_cmp_gt_u32_e32 vcc, s1, v4
	v_bfe_i32 v5, v5, 0, 16
	v_cndmask_b32_e32 v4, v10, v11, vcc
	s_brev_b32 s0, 1
	v_and_or_b32 v4, v5, s0, v4
	v_cvt_f16_f32_e32 v4, v4
.LBB56_1004:
	s_mov_b64 s[58:59], 0
	s_mov_b64 s[0:1], -1
.LBB56_1005:
	s_andn2_b64 vcc, exec, s[58:59]
	s_cbranch_vccnz .LBB56_1018
; %bb.1006:
	v_mov_b32_e32 v4, 14
	v_cmp_gt_i16_sdwa s[58:59], v7, v4 src0_sel:BYTE_0 src1_sel:DWORD
	s_and_b64 vcc, exec, s[58:59]
	s_cbranch_vccz .LBB56_1009
; %bb.1007:
	v_mov_b32_e32 v4, 15
	v_cmp_eq_u16_sdwa s[56:57], v7, v4 src0_sel:BYTE_0 src1_sel:DWORD
	s_and_b64 vcc, exec, s[56:57]
	s_cbranch_vccz .LBB56_1012
; %bb.1008:
	global_load_ushort v4, v[2:3], off
	s_mov_b64 s[0:1], -1
	s_mov_b64 s[56:57], 0
	s_waitcnt vmcnt(0)
	v_lshlrev_b32_e32 v4, 16, v4
	v_cvt_f16_f32_e32 v4, v4
	s_branch .LBB56_1013
.LBB56_1009:
	s_mov_b64 s[58:59], -1
                                        ; implicit-def: $vgpr4
	s_branch .LBB56_1014
.LBB56_1010:
	s_or_saveexec_b64 s[58:59], s[58:59]
	v_mov_b32_e32 v4, s62
	s_xor_b64 exec, exec, s[58:59]
	s_cbranch_execz .LBB56_991
.LBB56_1011:
	v_cmp_ne_u16_e32 vcc, 0, v5
	s_andn2_b64 s[0:1], s[0:1], exec
	s_and_b64 s[60:61], vcc, exec
	s_or_b64 s[0:1], s[0:1], s[60:61]
	v_mov_b32_e32 v4, v5
	s_or_b64 exec, exec, s[58:59]
	s_and_saveexec_b64 s[58:59], s[0:1]
	s_cbranch_execnz .LBB56_992
	s_branch .LBB56_993
.LBB56_1012:
	s_mov_b64 s[56:57], -1
                                        ; implicit-def: $vgpr4
.LBB56_1013:
	s_mov_b64 s[58:59], 0
.LBB56_1014:
	s_and_b64 vcc, exec, s[58:59]
	s_cbranch_vccz .LBB56_1018
; %bb.1015:
	v_mov_b32_e32 v4, 11
	v_cmp_eq_u16_sdwa s[56:57], v7, v4 src0_sel:BYTE_0 src1_sel:DWORD
	s_and_b64 vcc, exec, s[56:57]
	s_cbranch_vccz .LBB56_1017
; %bb.1016:
	global_load_ubyte v4, v[2:3], off
	v_mov_b32_e32 v5, 0x3c00
	s_mov_b64 s[0:1], -1
	s_mov_b64 s[56:57], 0
	s_waitcnt vmcnt(0)
	v_cmp_ne_u16_e32 vcc, 0, v4
	v_cndmask_b32_e32 v4, 0, v5, vcc
	s_branch .LBB56_1018
.LBB56_1017:
	s_mov_b64 s[56:57], -1
                                        ; implicit-def: $vgpr4
.LBB56_1018:
	s_mov_b64 s[58:59], 0
.LBB56_1019:
	s_and_b64 vcc, exec, s[58:59]
	s_cbranch_vccz .LBB56_1068
; %bb.1020:
	v_mov_b32_e32 v4, 5
	v_cmp_lt_i16_sdwa s[0:1], v7, v4 src0_sel:BYTE_0 src1_sel:DWORD
	s_and_b64 vcc, exec, s[0:1]
	s_cbranch_vccnz .LBB56_1025
; %bb.1021:
	v_mov_b32_e32 v4, 8
	v_cmp_lt_i16_sdwa s[0:1], v7, v4 src0_sel:BYTE_0 src1_sel:DWORD
	s_and_b64 vcc, exec, s[0:1]
	s_cbranch_vccnz .LBB56_1026
	;; [unrolled: 5-line block ×3, first 2 shown]
; %bb.1023:
	v_cmp_gt_i16_sdwa s[0:1], v7, v4 src0_sel:BYTE_0 src1_sel:DWORD
	s_and_b64 vcc, exec, s[0:1]
	s_cbranch_vccz .LBB56_1028
; %bb.1024:
	global_load_dwordx2 v[4:5], v[2:3], off
	s_mov_b64 s[0:1], 0
	s_waitcnt vmcnt(0)
	v_cvt_f32_f64_e32 v4, v[4:5]
	v_cvt_f16_f32_e32 v4, v4
	s_branch .LBB56_1029
.LBB56_1025:
	s_mov_b64 s[0:1], -1
                                        ; implicit-def: $vgpr4
	s_branch .LBB56_1047
.LBB56_1026:
	s_mov_b64 s[0:1], -1
                                        ; implicit-def: $vgpr4
	s_branch .LBB56_1035
.LBB56_1027:
	s_mov_b64 s[0:1], -1
                                        ; implicit-def: $vgpr4
	s_branch .LBB56_1032
.LBB56_1028:
	s_mov_b64 s[0:1], -1
                                        ; implicit-def: $vgpr4
.LBB56_1029:
	s_andn2_b64 vcc, exec, s[0:1]
	s_cbranch_vccnz .LBB56_1031
; %bb.1030:
	global_load_dword v4, v[2:3], off
	s_waitcnt vmcnt(0)
	v_cvt_f16_f32_e32 v4, v4
.LBB56_1031:
	s_mov_b64 s[0:1], 0
.LBB56_1032:
	s_andn2_b64 vcc, exec, s[0:1]
	s_cbranch_vccnz .LBB56_1034
; %bb.1033:
	global_load_dword v4, v[2:3], off
.LBB56_1034:
	s_mov_b64 s[0:1], 0
.LBB56_1035:
	s_andn2_b64 vcc, exec, s[0:1]
	s_cbranch_vccnz .LBB56_1046
; %bb.1036:
	s_waitcnt vmcnt(0)
	v_mov_b32_e32 v4, 6
	v_cmp_lt_i16_sdwa s[0:1], v7, v4 src0_sel:BYTE_0 src1_sel:DWORD
	s_and_b64 vcc, exec, s[0:1]
	s_cbranch_vccnz .LBB56_1039
; %bb.1037:
	v_cmp_gt_i16_sdwa s[0:1], v7, v4 src0_sel:BYTE_0 src1_sel:DWORD
	s_and_b64 vcc, exec, s[0:1]
	s_cbranch_vccz .LBB56_1040
; %bb.1038:
	global_load_dwordx2 v[4:5], v[2:3], off
	s_mov_b64 s[0:1], 0
	s_waitcnt vmcnt(0)
	v_cvt_f32_f64_e32 v4, v[4:5]
	v_cvt_f16_f32_e32 v4, v4
	s_branch .LBB56_1041
.LBB56_1039:
	s_mov_b64 s[0:1], -1
                                        ; implicit-def: $vgpr4
	s_branch .LBB56_1044
.LBB56_1040:
	s_mov_b64 s[0:1], -1
                                        ; implicit-def: $vgpr4
.LBB56_1041:
	s_andn2_b64 vcc, exec, s[0:1]
	s_cbranch_vccnz .LBB56_1043
; %bb.1042:
	global_load_dword v4, v[2:3], off
	s_waitcnt vmcnt(0)
	v_cvt_f16_f32_e32 v4, v4
.LBB56_1043:
	s_mov_b64 s[0:1], 0
.LBB56_1044:
	s_andn2_b64 vcc, exec, s[0:1]
	s_cbranch_vccnz .LBB56_1046
; %bb.1045:
	global_load_ushort v4, v[2:3], off
.LBB56_1046:
	s_mov_b64 s[0:1], 0
.LBB56_1047:
	s_andn2_b64 vcc, exec, s[0:1]
	s_cbranch_vccnz .LBB56_1067
; %bb.1048:
	s_waitcnt vmcnt(0)
	v_mov_b32_e32 v4, 2
	v_cmp_lt_i16_sdwa s[0:1], v7, v4 src0_sel:BYTE_0 src1_sel:DWORD
	s_and_b64 vcc, exec, s[0:1]
	s_cbranch_vccnz .LBB56_1052
; %bb.1049:
	v_mov_b32_e32 v4, 3
	v_cmp_lt_i16_sdwa s[0:1], v7, v4 src0_sel:BYTE_0 src1_sel:DWORD
	s_and_b64 vcc, exec, s[0:1]
	s_cbranch_vccnz .LBB56_1053
; %bb.1050:
	v_cmp_gt_i16_sdwa s[0:1], v7, v4 src0_sel:BYTE_0 src1_sel:DWORD
	s_and_b64 vcc, exec, s[0:1]
	s_cbranch_vccz .LBB56_1054
; %bb.1051:
	global_load_dwordx2 v[4:5], v[2:3], off
	s_mov_b64 s[0:1], 0
	s_waitcnt vmcnt(0)
	v_xor_b32_e32 v11, v4, v5
	v_ffbh_i32_e32 v10, v5
	v_ashrrev_i32_e32 v11, 31, v11
	v_add_u32_e32 v10, -1, v10
	v_add_u32_e32 v11, 32, v11
	v_min_u32_e32 v10, v10, v11
	v_lshlrev_b64 v[4:5], v10, v[4:5]
	v_min_u32_e32 v4, 1, v4
	v_or_b32_e32 v4, v5, v4
	v_cvt_f32_i32_e32 v4, v4
	v_sub_u32_e32 v5, 32, v10
	v_ldexp_f32 v4, v4, v5
	v_cvt_f16_f32_e32 v4, v4
	s_branch .LBB56_1055
.LBB56_1052:
	s_mov_b64 s[0:1], -1
                                        ; implicit-def: $vgpr4
	s_branch .LBB56_1061
.LBB56_1053:
	s_mov_b64 s[0:1], -1
                                        ; implicit-def: $vgpr4
	s_branch .LBB56_1058
.LBB56_1054:
	s_mov_b64 s[0:1], -1
                                        ; implicit-def: $vgpr4
.LBB56_1055:
	s_andn2_b64 vcc, exec, s[0:1]
	s_cbranch_vccnz .LBB56_1057
; %bb.1056:
	global_load_dword v4, v[2:3], off
	s_waitcnt vmcnt(0)
	v_cvt_f32_i32_e32 v4, v4
	v_cvt_f16_f32_e32 v4, v4
.LBB56_1057:
	s_mov_b64 s[0:1], 0
.LBB56_1058:
	s_andn2_b64 vcc, exec, s[0:1]
	s_cbranch_vccnz .LBB56_1060
; %bb.1059:
	global_load_ushort v4, v[2:3], off
	s_waitcnt vmcnt(0)
	v_cvt_f16_i16_e32 v4, v4
.LBB56_1060:
	s_mov_b64 s[0:1], 0
.LBB56_1061:
	s_andn2_b64 vcc, exec, s[0:1]
	s_cbranch_vccnz .LBB56_1067
; %bb.1062:
	v_mov_b32_e32 v4, 0
	v_cmp_gt_i16_sdwa s[0:1], v7, v4 src0_sel:BYTE_0 src1_sel:DWORD
	s_and_b64 vcc, exec, s[0:1]
	s_cbranch_vccz .LBB56_1064
; %bb.1063:
	global_load_sbyte v4, v[2:3], off
	s_mov_b64 s[0:1], 0
	s_waitcnt vmcnt(0)
	v_cvt_f16_i16_e32 v4, v4
	s_branch .LBB56_1065
.LBB56_1064:
	s_mov_b64 s[0:1], -1
                                        ; implicit-def: $vgpr4
.LBB56_1065:
	s_andn2_b64 vcc, exec, s[0:1]
	s_cbranch_vccnz .LBB56_1067
; %bb.1066:
	global_load_ubyte v2, v[2:3], off
	s_waitcnt vmcnt(0)
	v_cvt_f16_u16_e32 v4, v2
.LBB56_1067:
	s_mov_b64 s[0:1], -1
.LBB56_1068:
	s_andn2_b64 vcc, exec, s[0:1]
	s_cbranch_vccnz .LBB56_1076
; %bb.1069:
	s_waitcnt vmcnt(0)
	v_mul_f16_e32 v2, v1, v4
	v_cmp_lt_f16_e32 vcc, 0, v1
	v_cndmask_b32_e32 v2, v2, v1, vcc
	v_mov_b32_e32 v1, s9
	v_add_co_u32_e32 v0, vcc, s8, v0
	v_mov_b32_e32 v3, 11
	v_addc_co_u32_e32 v1, vcc, 0, v1, vcc
	v_cmp_lt_i16_sdwa s[0:1], v6, v3 src0_sel:BYTE_0 src1_sel:DWORD
	s_and_b64 vcc, exec, s[0:1]
	s_cbranch_vccnz .LBB56_1077
; %bb.1070:
	v_mov_b32_e32 v3, 25
	v_cmp_gt_i16_sdwa s[0:1], v6, v3 src0_sel:BYTE_0 src1_sel:DWORD
	s_and_b64 vcc, exec, s[0:1]
	s_cbranch_vccz .LBB56_1078
; %bb.1071:
	v_mov_b32_e32 v3, 28
	v_cmp_gt_i16_sdwa s[0:1], v6, v3 src0_sel:BYTE_0 src1_sel:DWORD
	s_and_b64 vcc, exec, s[0:1]
	s_cbranch_vccz .LBB56_1079
	;; [unrolled: 5-line block ×4, first 2 shown]
; %bb.1074:
	v_mov_b32_e32 v3, 46
	v_cmp_eq_u16_sdwa s[58:59], v6, v3 src0_sel:BYTE_0 src1_sel:DWORD
	s_mov_b64 s[60:61], 0
	s_mov_b64 s[0:1], -1
	s_and_b64 vcc, exec, s[58:59]
	s_mov_b64 s[58:59], 0
	s_cbranch_vccz .LBB56_1082
; %bb.1075:
	v_cvt_f32_f16_e32 v3, v2
	s_movk_i32 s0, 0x7fff
	v_mov_b32_e32 v4, 0x7fc0
	v_cmp_o_f16_e32 vcc, v2, v2
	v_bfe_u32 v5, v3, 16, 1
	v_add3_u32 v3, v3, v5, s0
	v_lshrrev_b32_e32 v3, 16, v3
	v_cndmask_b32_e32 v3, v4, v3, vcc
	global_store_dword v[0:1], v3, off
	s_mov_b64 s[58:59], -1
	s_mov_b64 s[0:1], 0
	s_branch .LBB56_1082
.LBB56_1076:
	s_mov_b64 s[60:61], 0
                                        ; implicit-def: $vgpr8
	s_mov_b64 s[0:1], s[48:49]
	s_branch .LBB56_1192
.LBB56_1077:
	s_mov_b64 s[60:61], -1
	s_mov_b64 s[58:59], 0
	s_mov_b64 s[0:1], s[48:49]
	s_branch .LBB56_1151
.LBB56_1078:
	s_mov_b64 s[60:61], -1
	s_mov_b64 s[58:59], 0
	s_mov_b64 s[0:1], s[48:49]
	s_branch .LBB56_1109
.LBB56_1079:
	s_mov_b64 s[60:61], -1
	s_mov_b64 s[58:59], 0
	s_mov_b64 s[0:1], s[48:49]
	s_branch .LBB56_1092
.LBB56_1080:
	s_mov_b64 s[60:61], -1
	s_mov_b64 s[58:59], 0
	s_mov_b64 s[0:1], s[48:49]
	s_branch .LBB56_1088
.LBB56_1081:
	s_mov_b64 s[60:61], -1
	s_mov_b64 s[58:59], 0
	s_mov_b64 s[0:1], s[48:49]
.LBB56_1082:
	s_and_b64 vcc, exec, s[60:61]
	s_cbranch_vccz .LBB56_1087
; %bb.1083:
	v_mov_b32_e32 v3, 44
	v_cmp_eq_u16_sdwa s[60:61], v6, v3 src0_sel:BYTE_0 src1_sel:DWORD
	s_mov_b64 s[0:1], -1
	s_and_b64 vcc, exec, s[60:61]
	s_cbranch_vccz .LBB56_1087
; %bb.1084:
	v_cvt_f32_f16_e32 v3, v2
	s_movk_i32 s0, 0xff
	v_mov_b32_e32 v5, 0xff
	v_bfe_u32 v4, v3, 23, 8
	v_cmp_ne_u32_e32 vcc, s0, v4
	s_and_saveexec_b64 s[58:59], vcc
; %bb.1085:
	s_mov_b32 s0, 0x3fffff
	v_lshrrev_b32_e32 v5, 23, v3
	v_and_b32_e32 v10, 0x400000, v3
	v_and_or_b32 v3, v3, s0, v4
	v_cmp_ne_u32_e32 vcc, 0, v10
	v_cmp_ne_u32_e64 s[0:1], 0, v3
	s_and_b64 s[0:1], vcc, s[0:1]
	v_cndmask_b32_e64 v3, 0, 1, s[0:1]
	v_add_u32_e32 v5, v5, v3
; %bb.1086:
	s_or_b64 exec, exec, s[58:59]
	s_mov_b64 s[58:59], -1
	s_mov_b64 s[0:1], 0
	global_store_byte v[0:1], v5, off
.LBB56_1087:
	s_mov_b64 s[60:61], 0
.LBB56_1088:
	s_and_b64 vcc, exec, s[60:61]
	s_cbranch_vccz .LBB56_1091
; %bb.1089:
	v_mov_b32_e32 v3, 29
	v_cmp_eq_u16_sdwa s[60:61], v6, v3 src0_sel:BYTE_0 src1_sel:DWORD
	s_mov_b64 s[0:1], -1
	s_and_b64 vcc, exec, s[60:61]
	s_cbranch_vccz .LBB56_1091
; %bb.1090:
	v_cvt_f32_f16_e32 v3, v2
	v_mov_b32_e32 v5, 0
	s_mov_b64 s[58:59], -1
	s_mov_b64 s[0:1], 0
	v_cvt_u32_f32_e32 v4, v3
	s_mov_b64 s[60:61], 0
	global_store_dwordx2 v[0:1], v[4:5], off
	s_branch .LBB56_1092
.LBB56_1091:
	s_mov_b64 s[60:61], 0
.LBB56_1092:
	s_and_b64 vcc, exec, s[60:61]
	s_cbranch_vccz .LBB56_1108
; %bb.1093:
	v_mov_b32_e32 v3, 27
	v_cmp_lt_i16_sdwa s[60:61], v6, v3 src0_sel:BYTE_0 src1_sel:DWORD
	s_mov_b64 s[58:59], -1
	s_and_b64 vcc, exec, s[60:61]
	s_cbranch_vccnz .LBB56_1099
; %bb.1094:
	v_cmp_gt_i16_sdwa s[60:61], v6, v3 src0_sel:BYTE_0 src1_sel:DWORD
	s_and_b64 vcc, exec, s[60:61]
	s_cbranch_vccz .LBB56_1096
; %bb.1095:
	v_cvt_f32_f16_e32 v3, v2
	s_mov_b64 s[58:59], 0
	v_cvt_u32_f32_e32 v3, v3
	global_store_dword v[0:1], v3, off
.LBB56_1096:
	s_andn2_b64 vcc, exec, s[58:59]
	s_cbranch_vccnz .LBB56_1098
; %bb.1097:
	v_cvt_u16_f16_e32 v3, v2
	global_store_short v[0:1], v3, off
.LBB56_1098:
	s_mov_b64 s[58:59], 0
.LBB56_1099:
	s_andn2_b64 vcc, exec, s[58:59]
	s_cbranch_vccnz .LBB56_1107
; %bb.1100:
	v_cvt_f32_f16_e32 v3, v2
	s_mov_b32 s58, 0x43800000
	v_mov_b32_e32 v5, 0x80
	v_and_b32_e32 v4, 0x7fffffff, v3
	v_cmp_gt_u32_e32 vcc, s58, v4
	s_and_saveexec_b64 s[58:59], vcc
	s_cbranch_execz .LBB56_1106
; %bb.1101:
	s_mov_b32 s60, 0x3bffffff
	v_cmp_lt_u32_e32 vcc, s60, v4
	s_mov_b64 s[60:61], 0
                                        ; implicit-def: $vgpr4
	s_and_saveexec_b64 s[62:63], vcc
	s_xor_b64 s[62:63], exec, s[62:63]
	s_cbranch_execz .LBB56_1219
; %bb.1102:
	v_bfe_u32 v4, v3, 20, 1
	s_mov_b32 s64, 0x487ffff
	v_add3_u32 v4, v3, v4, s64
	s_mov_b64 s[60:61], exec
	v_lshrrev_b32_e32 v4, 20, v4
	s_or_saveexec_b64 s[62:63], s[62:63]
                                        ; implicit-def: $sgpr64
	s_xor_b64 exec, exec, s[62:63]
	s_cbranch_execnz .LBB56_1220
.LBB56_1103:
	s_or_b64 exec, exec, s[62:63]
	v_mov_b32_e32 v5, s64
	s_and_saveexec_b64 s[62:63], s[60:61]
.LBB56_1104:
	v_lshrrev_b32_e32 v3, 24, v3
	s_movk_i32 s60, 0x80
	v_and_or_b32 v5, v3, s60, v4
.LBB56_1105:
	s_or_b64 exec, exec, s[62:63]
.LBB56_1106:
	s_or_b64 exec, exec, s[58:59]
	global_store_byte v[0:1], v5, off
.LBB56_1107:
	s_mov_b64 s[58:59], -1
.LBB56_1108:
	s_mov_b64 s[60:61], 0
.LBB56_1109:
	s_and_b64 vcc, exec, s[60:61]
	s_cbranch_vccz .LBB56_1150
; %bb.1110:
	v_mov_b32_e32 v3, 22
	v_cmp_gt_i16_sdwa s[62:63], v6, v3 src0_sel:BYTE_0 src1_sel:DWORD
	s_mov_b64 s[60:61], -1
	s_and_b64 vcc, exec, s[62:63]
	s_cbranch_vccz .LBB56_1142
; %bb.1111:
	v_mov_b32_e32 v3, 24
	v_cmp_lt_i16_sdwa s[60:61], v6, v3 src0_sel:BYTE_0 src1_sel:DWORD
	s_mov_b64 s[58:59], -1
	s_and_b64 vcc, exec, s[60:61]
	s_cbranch_vccnz .LBB56_1131
; %bb.1112:
	v_cmp_gt_i16_sdwa s[60:61], v6, v3 src0_sel:BYTE_0 src1_sel:DWORD
	s_and_b64 vcc, exec, s[60:61]
	s_cbranch_vccz .LBB56_1120
; %bb.1113:
	v_cvt_f32_f16_e32 v3, v2
	s_mov_b32 s58, 0x47800000
	v_mov_b32_e32 v5, 0x80
	v_and_b32_e32 v4, 0x7fffffff, v3
	v_cmp_gt_u32_e32 vcc, s58, v4
	s_and_saveexec_b64 s[58:59], vcc
	s_cbranch_execz .LBB56_1119
; %bb.1114:
	s_mov_b32 s60, 0x37ffffff
	v_cmp_lt_u32_e32 vcc, s60, v4
	s_mov_b64 s[60:61], 0
                                        ; implicit-def: $vgpr4
	s_and_saveexec_b64 s[62:63], vcc
	s_xor_b64 s[62:63], exec, s[62:63]
	s_cbranch_execz .LBB56_2281
; %bb.1115:
	v_bfe_u32 v4, v3, 21, 1
	s_mov_b32 s64, 0x88fffff
	v_add3_u32 v4, v3, v4, s64
	s_mov_b64 s[60:61], exec
	v_lshrrev_b32_e32 v4, 21, v4
	s_or_saveexec_b64 s[62:63], s[62:63]
                                        ; implicit-def: $sgpr64
	s_xor_b64 exec, exec, s[62:63]
	s_cbranch_execnz .LBB56_2282
.LBB56_1116:
	s_or_b64 exec, exec, s[62:63]
	v_mov_b32_e32 v5, s64
	s_and_saveexec_b64 s[62:63], s[60:61]
.LBB56_1117:
	v_lshrrev_b32_e32 v3, 24, v3
	s_movk_i32 s60, 0x80
	v_and_or_b32 v5, v3, s60, v4
.LBB56_1118:
	s_or_b64 exec, exec, s[62:63]
.LBB56_1119:
	s_or_b64 exec, exec, s[58:59]
	s_mov_b64 s[58:59], 0
	global_store_byte v[0:1], v5, off
.LBB56_1120:
	s_and_b64 vcc, exec, s[58:59]
	s_cbranch_vccz .LBB56_1130
; %bb.1121:
	v_cvt_f32_f16_e32 v3, v2
	s_mov_b32 s58, 0x43f00000
                                        ; implicit-def: $vgpr4
	v_and_b32_e32 v5, 0x7fffffff, v3
	v_cmp_gt_u32_e32 vcc, s58, v5
	s_and_saveexec_b64 s[58:59], vcc
	s_xor_b64 s[58:59], exec, s[58:59]
	s_cbranch_execz .LBB56_1127
; %bb.1122:
	s_mov_b32 s60, 0x3c7fffff
	v_cmp_lt_u32_e32 vcc, s60, v5
                                        ; implicit-def: $vgpr4
	s_and_saveexec_b64 s[60:61], vcc
	s_xor_b64 s[60:61], exec, s[60:61]
; %bb.1123:
	v_bfe_u32 v4, v3, 20, 1
	s_mov_b32 s62, 0x407ffff
	v_add3_u32 v4, v3, v4, s62
	v_lshrrev_b32_e32 v5, 20, v4
	v_and_b32_e32 v4, 0xff00000, v4
	s_mov_b32 s62, 0x7f00000
	v_mov_b32_e32 v10, 0x7e
	v_cmp_ne_u32_e32 vcc, s62, v4
	v_cndmask_b32_e32 v4, v10, v5, vcc
; %bb.1124:
	s_andn2_saveexec_b64 s[60:61], s[60:61]
; %bb.1125:
	s_mov_b32 s62, 0x46800000
	v_add_f32_e64 v4, |v3|, s62
; %bb.1126:
	s_or_b64 exec, exec, s[60:61]
                                        ; implicit-def: $vgpr5
.LBB56_1127:
	s_andn2_saveexec_b64 s[58:59], s[58:59]
; %bb.1128:
	s_mov_b32 s60, 0x7f800000
	v_mov_b32_e32 v4, 0x7e
	v_mov_b32_e32 v10, 0x7f
	v_cmp_lt_u32_e32 vcc, s60, v5
	v_cndmask_b32_e32 v4, v4, v10, vcc
; %bb.1129:
	s_or_b64 exec, exec, s[58:59]
	v_lshrrev_b32_e32 v3, 24, v3
	s_movk_i32 s58, 0x80
	v_and_or_b32 v3, v3, s58, v4
	global_store_byte v[0:1], v3, off
.LBB56_1130:
	s_mov_b64 s[58:59], 0
.LBB56_1131:
	s_andn2_b64 vcc, exec, s[58:59]
	s_cbranch_vccnz .LBB56_1141
; %bb.1132:
	v_cvt_f32_f16_e32 v3, v2
	s_mov_b32 s58, 0x47800000
                                        ; implicit-def: $vgpr4
	v_and_b32_e32 v5, 0x7fffffff, v3
	v_cmp_gt_u32_e32 vcc, s58, v5
	s_and_saveexec_b64 s[58:59], vcc
	s_xor_b64 s[58:59], exec, s[58:59]
	s_cbranch_execz .LBB56_1138
; %bb.1133:
	s_mov_b32 s60, 0x387fffff
	v_cmp_lt_u32_e32 vcc, s60, v5
                                        ; implicit-def: $vgpr4
	s_and_saveexec_b64 s[60:61], vcc
	s_xor_b64 s[60:61], exec, s[60:61]
; %bb.1134:
	v_bfe_u32 v4, v3, 21, 1
	s_mov_b32 s62, 0x80fffff
	v_add3_u32 v4, v3, v4, s62
	v_lshrrev_b32_e32 v4, 21, v4
; %bb.1135:
	s_andn2_saveexec_b64 s[60:61], s[60:61]
; %bb.1136:
	s_mov_b32 s62, 0x43000000
	v_add_f32_e64 v4, |v3|, s62
; %bb.1137:
	s_or_b64 exec, exec, s[60:61]
                                        ; implicit-def: $vgpr5
.LBB56_1138:
	s_andn2_saveexec_b64 s[58:59], s[58:59]
; %bb.1139:
	s_mov_b32 s60, 0x7f800000
	v_mov_b32_e32 v4, 0x7c
	v_mov_b32_e32 v10, 0x7f
	v_cmp_lt_u32_e32 vcc, s60, v5
	v_cndmask_b32_e32 v4, v4, v10, vcc
; %bb.1140:
	s_or_b64 exec, exec, s[58:59]
	v_lshrrev_b32_e32 v3, 24, v3
	s_movk_i32 s58, 0x80
	v_and_or_b32 v3, v3, s58, v4
	global_store_byte v[0:1], v3, off
.LBB56_1141:
	s_mov_b64 s[60:61], 0
	s_mov_b64 s[58:59], -1
.LBB56_1142:
	s_andn2_b64 vcc, exec, s[60:61]
	s_cbranch_vccnz .LBB56_1150
; %bb.1143:
	v_mov_b32_e32 v3, 14
	v_cmp_gt_i16_sdwa s[62:63], v6, v3 src0_sel:BYTE_0 src1_sel:DWORD
	s_mov_b64 s[60:61], -1
	s_and_b64 vcc, exec, s[62:63]
	s_cbranch_vccz .LBB56_1147
; %bb.1144:
	v_mov_b32_e32 v3, 15
	v_cmp_eq_u16_sdwa s[60:61], v6, v3 src0_sel:BYTE_0 src1_sel:DWORD
	s_mov_b64 s[0:1], -1
	s_and_b64 vcc, exec, s[60:61]
	s_cbranch_vccz .LBB56_1146
; %bb.1145:
	v_cvt_f32_f16_e32 v3, v2
	s_movk_i32 s0, 0x7fff
	v_mov_b32_e32 v4, 0x7fc0
	v_cmp_o_f16_e32 vcc, v2, v2
	v_bfe_u32 v5, v3, 16, 1
	v_add3_u32 v3, v3, v5, s0
	v_lshrrev_b32_e32 v3, 16, v3
	v_cndmask_b32_e32 v3, v4, v3, vcc
	global_store_short v[0:1], v3, off
	s_mov_b64 s[58:59], -1
	s_mov_b64 s[0:1], 0
.LBB56_1146:
	s_mov_b64 s[60:61], 0
.LBB56_1147:
	s_and_b64 vcc, exec, s[60:61]
	s_cbranch_vccz .LBB56_1150
; %bb.1148:
	v_mov_b32_e32 v3, 11
	v_cmp_eq_u16_sdwa s[60:61], v6, v3 src0_sel:BYTE_0 src1_sel:DWORD
	s_mov_b64 s[0:1], -1
	s_and_b64 vcc, exec, s[60:61]
	s_cbranch_vccz .LBB56_1150
; %bb.1149:
	v_and_b32_e32 v3, 0x7fff, v2
	v_cmp_ne_u16_e32 vcc, 0, v3
	v_cndmask_b32_e64 v3, 0, 1, vcc
	s_mov_b64 s[58:59], -1
	s_mov_b64 s[0:1], 0
	global_store_byte v[0:1], v3, off
.LBB56_1150:
	s_mov_b64 s[60:61], 0
.LBB56_1151:
	s_and_b64 vcc, exec, s[60:61]
	s_cbranch_vccz .LBB56_1190
; %bb.1152:
	v_mov_b32_e32 v3, 5
	v_cmp_lt_i16_sdwa s[60:61], v6, v3 src0_sel:BYTE_0 src1_sel:DWORD
	s_mov_b64 s[58:59], -1
	s_and_b64 vcc, exec, s[60:61]
	s_cbranch_vccnz .LBB56_1173
; %bb.1153:
	v_mov_b32_e32 v3, 8
	v_cmp_lt_i16_sdwa s[60:61], v6, v3 src0_sel:BYTE_0 src1_sel:DWORD
	s_and_b64 vcc, exec, s[60:61]
	s_cbranch_vccnz .LBB56_1163
; %bb.1154:
	v_mov_b32_e32 v3, 9
	v_cmp_lt_i16_sdwa s[60:61], v6, v3 src0_sel:BYTE_0 src1_sel:DWORD
	s_and_b64 vcc, exec, s[60:61]
	s_cbranch_vccnz .LBB56_1160
; %bb.1155:
	v_cmp_gt_i16_sdwa s[60:61], v6, v3 src0_sel:BYTE_0 src1_sel:DWORD
	s_and_b64 vcc, exec, s[60:61]
	s_cbranch_vccz .LBB56_1157
; %bb.1156:
	v_cvt_f32_f16_e32 v3, v2
	v_mov_b32_e32 v12, 0
	v_mov_b32_e32 v13, v12
	s_mov_b64 s[58:59], 0
	v_cvt_f64_f32_e32 v[10:11], v3
	global_store_dwordx4 v[0:1], v[10:13], off
.LBB56_1157:
	s_andn2_b64 vcc, exec, s[58:59]
	s_cbranch_vccnz .LBB56_1159
; %bb.1158:
	v_cvt_f32_f16_e32 v4, v2
	v_mov_b32_e32 v5, 0
	global_store_dwordx2 v[0:1], v[4:5], off
.LBB56_1159:
	s_mov_b64 s[58:59], 0
.LBB56_1160:
	s_andn2_b64 vcc, exec, s[58:59]
	s_cbranch_vccnz .LBB56_1162
; %bb.1161:
	v_and_b32_e32 v3, 0xffff, v2
	global_store_dword v[0:1], v3, off
.LBB56_1162:
	s_mov_b64 s[58:59], 0
.LBB56_1163:
	s_andn2_b64 vcc, exec, s[58:59]
	s_cbranch_vccnz .LBB56_1172
; %bb.1164:
	v_mov_b32_e32 v3, 6
	v_cmp_lt_i16_sdwa s[60:61], v6, v3 src0_sel:BYTE_0 src1_sel:DWORD
	s_mov_b64 s[58:59], -1
	s_and_b64 vcc, exec, s[60:61]
	s_cbranch_vccnz .LBB56_1170
; %bb.1165:
	v_cmp_gt_i16_sdwa s[60:61], v6, v3 src0_sel:BYTE_0 src1_sel:DWORD
	s_and_b64 vcc, exec, s[60:61]
	s_cbranch_vccz .LBB56_1167
; %bb.1166:
	v_cvt_f32_f16_e32 v3, v2
	s_mov_b64 s[58:59], 0
	v_cvt_f64_f32_e32 v[4:5], v3
	global_store_dwordx2 v[0:1], v[4:5], off
.LBB56_1167:
	s_andn2_b64 vcc, exec, s[58:59]
	s_cbranch_vccnz .LBB56_1169
; %bb.1168:
	v_cvt_f32_f16_e32 v3, v2
	global_store_dword v[0:1], v3, off
.LBB56_1169:
	s_mov_b64 s[58:59], 0
.LBB56_1170:
	s_andn2_b64 vcc, exec, s[58:59]
	s_cbranch_vccnz .LBB56_1172
; %bb.1171:
	global_store_short v[0:1], v2, off
.LBB56_1172:
	s_mov_b64 s[58:59], 0
.LBB56_1173:
	s_andn2_b64 vcc, exec, s[58:59]
	s_cbranch_vccnz .LBB56_1189
; %bb.1174:
	v_mov_b32_e32 v3, 2
	v_cmp_lt_i16_sdwa s[60:61], v6, v3 src0_sel:BYTE_0 src1_sel:DWORD
	s_mov_b64 s[58:59], -1
	s_and_b64 vcc, exec, s[60:61]
	s_cbranch_vccnz .LBB56_1184
; %bb.1175:
	v_mov_b32_e32 v3, 3
	v_cmp_lt_i16_sdwa s[60:61], v6, v3 src0_sel:BYTE_0 src1_sel:DWORD
	s_and_b64 vcc, exec, s[60:61]
	s_cbranch_vccnz .LBB56_1181
; %bb.1176:
	v_cmp_gt_i16_sdwa s[60:61], v6, v3 src0_sel:BYTE_0 src1_sel:DWORD
	s_and_b64 vcc, exec, s[60:61]
	s_cbranch_vccz .LBB56_1178
; %bb.1177:
	v_cvt_f32_f16_e32 v3, v2
	s_mov_b64 s[58:59], 0
	v_cvt_i32_f32_e32 v4, v3
	v_ashrrev_i32_e32 v5, 31, v4
	global_store_dwordx2 v[0:1], v[4:5], off
.LBB56_1178:
	s_andn2_b64 vcc, exec, s[58:59]
	s_cbranch_vccnz .LBB56_1180
; %bb.1179:
	v_cvt_f32_f16_e32 v3, v2
	v_cvt_i32_f32_e32 v3, v3
	global_store_dword v[0:1], v3, off
.LBB56_1180:
	s_mov_b64 s[58:59], 0
.LBB56_1181:
	s_andn2_b64 vcc, exec, s[58:59]
	s_cbranch_vccnz .LBB56_1183
; %bb.1182:
	v_cvt_i16_f16_e32 v3, v2
	global_store_short v[0:1], v3, off
.LBB56_1183:
	s_mov_b64 s[58:59], 0
.LBB56_1184:
	s_andn2_b64 vcc, exec, s[58:59]
	s_cbranch_vccnz .LBB56_1189
; %bb.1185:
	v_mov_b32_e32 v3, 0
	v_cmp_gt_i16_sdwa s[60:61], v6, v3 src0_sel:BYTE_0 src1_sel:DWORD
	s_mov_b64 s[58:59], -1
	s_and_b64 vcc, exec, s[60:61]
	s_cbranch_vccz .LBB56_1187
; %bb.1186:
	v_cvt_i16_f16_e32 v3, v2
	s_mov_b64 s[58:59], 0
	global_store_byte v[0:1], v3, off
.LBB56_1187:
	s_andn2_b64 vcc, exec, s[58:59]
	s_cbranch_vccnz .LBB56_1189
; %bb.1188:
	v_cvt_f32_f16_e32 v2, v2
	v_cvt_i32_f32_e32 v2, v2
	global_store_byte v[0:1], v2, off
.LBB56_1189:
	s_mov_b64 s[58:59], -1
.LBB56_1190:
	s_andn2_b64 vcc, exec, s[58:59]
	s_cbranch_vccnz .LBB56_1214
; %bb.1191:
	v_add_u32_e32 v8, 0x80, v8
	s_mov_b64 s[60:61], -1
.LBB56_1192:
	s_andn2_b64 s[58:59], s[48:49], exec
	s_and_b64 s[0:1], s[0:1], exec
	s_or_b64 s[58:59], s[58:59], s[0:1]
	s_andn2_b64 s[0:1], s[46:47], exec
	s_and_b64 s[56:57], s[56:57], exec
	s_or_b64 s[56:57], s[0:1], s[56:57]
	;; [unrolled: 3-line block ×3, first 2 shown]
	s_orn2_b64 s[64:65], s[60:61], exec
.LBB56_1193:
	s_or_b64 exec, exec, s[52:53]
	s_mov_b64 s[60:61], 0
	s_mov_b64 s[54:55], 0
	;; [unrolled: 1-line block ×3, first 2 shown]
                                        ; implicit-def: $vgpr3
                                        ; implicit-def: $vgpr4_vgpr5
                                        ; implicit-def: $vgpr2
                                        ; implicit-def: $vgpr0
                                        ; implicit-def: $vgpr1
	s_and_saveexec_b64 s[52:53], s[64:65]
	s_cbranch_execz .LBB56_1287
; %bb.1194:
	v_cmp_gt_i32_e32 vcc, s66, v8
	s_mov_b64 s[64:65], s[0:1]
	s_mov_b64 s[66:67], 0
                                        ; implicit-def: $vgpr3
                                        ; implicit-def: $vgpr4_vgpr5
                                        ; implicit-def: $vgpr2
                                        ; implicit-def: $vgpr0
                                        ; implicit-def: $vgpr1
	s_and_saveexec_b64 s[54:55], vcc
	s_cbranch_execz .LBB56_1286
; %bb.1195:
	s_andn2_b64 vcc, exec, s[20:21]
	s_cbranch_vccnz .LBB56_1202
; %bb.1196:
	s_andn2_b64 vcc, exec, s[34:35]
	v_mov_b32_e32 v2, 0
	s_waitcnt vmcnt(0)
	v_mov_b32_e32 v4, 0
	v_mov_b32_e32 v0, 0
	s_cbranch_vccnz .LBB56_1201
; %bb.1197:
	s_add_i32 s34, s69, 1
	s_and_b32 s60, s34, 30
	s_add_u32 s34, s2, 0xffffffec
	s_addc_u32 s35, s3, -1
	v_mov_b32_e32 v0, 0
	v_mov_b32_e32 v1, v8
	;; [unrolled: 1-line block ×4, first 2 shown]
.LBB56_1198:                            ; =>This Inner Loop Header: Depth=1
	s_mov_b64 s[62:63], s[34:35]
	s_load_dwordx4 s[64:67], s[62:63], 0x18
	s_load_dwordx2 s[70:71], s[62:63], 0x28
	s_load_dwordx2 s[76:77], s[62:63], 0xe8
	s_load_dwordx4 s[72:75], s[62:63], 0xd8
	s_add_u32 s34, s62, 24
	s_waitcnt lgkmcnt(0)
	v_mul_hi_u32 v3, s65, v1
	v_add_u32_e32 v3, v1, v3
	v_lshrrev_b32_e32 v3, s66, v3
	v_mul_lo_u32 v5, v3, s64
	v_mul_hi_u32 v10, s70, v3
	v_sub_u32_e32 v1, v1, v5
	v_add_u32_e32 v5, v3, v10
	v_mul_lo_u32 v10, v1, s72
	v_mul_lo_u32 v11, v1, s73
	;; [unrolled: 1-line block ×3, first 2 shown]
	v_lshrrev_b32_e32 v1, s71, v5
	v_mul_lo_u32 v5, v1, s67
	v_sub_u32_e32 v3, v3, v5
	s_addc_u32 s35, s63, 0
	s_add_i32 s60, s60, -2
	v_mul_lo_u32 v5, v3, s75
	v_mul_lo_u32 v13, v3, s76
	;; [unrolled: 1-line block ×3, first 2 shown]
	s_cmp_eq_u32 s60, 0
	v_add3_u32 v0, v10, v0, v5
	v_add3_u32 v2, v12, v2, v3
	;; [unrolled: 1-line block ×3, first 2 shown]
	s_cbranch_scc0 .LBB56_1198
; %bb.1199:
	s_bitcmp1_b32 s69, 0
	s_cselect_b64 s[60:61], -1, 0
	s_and_b64 vcc, exec, s[60:61]
	s_cbranch_vccnz .LBB56_1201
; %bb.1200:
	s_load_dwordx2 s[60:61], s[34:35], 0x18
	s_load_dword s62, s[34:35], 0x20
	s_load_dword s63, s[34:35], 0xe0
	s_nop 0
	s_load_dwordx2 s[34:35], s[34:35], 0xd8
	s_waitcnt lgkmcnt(0)
	v_mul_hi_u32 v3, s61, v1
	v_add_u32_e32 v3, v1, v3
	v_lshrrev_b32_e32 v3, s62, v3
	v_mul_lo_u32 v3, v3, s60
	v_sub_u32_e32 v3, v1, v3
	v_mad_u64_u32 v[0:1], s[60:61], v3, s34, v[0:1]
	v_mad_u64_u32 v[4:5], s[34:35], v3, s35, v[4:5]
	;; [unrolled: 1-line block ×3, first 2 shown]
.LBB56_1201:
	s_mov_b64 s[34:35], 0
	s_branch .LBB56_1203
.LBB56_1202:
	s_mov_b64 s[34:35], -1
                                        ; implicit-def: $vgpr2
                                        ; implicit-def: $vgpr4
                                        ; implicit-def: $vgpr0
.LBB56_1203:
	s_andn2_b64 vcc, exec, s[34:35]
	s_cbranch_vccnz .LBB56_1206
; %bb.1204:
	s_waitcnt lgkmcnt(0)
	v_mul_hi_u32 v0, s17, v8
	v_add_u32_e32 v0, v8, v0
	s_waitcnt vmcnt(0)
	v_lshrrev_b32_e32 v1, s18, v0
	v_mul_lo_u32 v0, v1, s16
	v_sub_u32_e32 v3, v8, v0
	v_mul_lo_u32 v0, v3, s12
	v_mul_lo_u32 v2, v3, s14
	s_andn2_b64 vcc, exec, s[30:31]
	v_mul_lo_u32 v4, v3, s13
	s_cbranch_vccnz .LBB56_1206
; %bb.1205:
	v_mul_hi_u32 v3, s28, v1
	v_add_u32_e32 v3, v1, v3
	v_lshrrev_b32_e32 v3, s29, v3
	v_mul_lo_u32 v3, v3, s19
	v_sub_u32_e32 v3, v1, v3
	v_mad_u64_u32 v[0:1], s[12:13], v3, s15, v[0:1]
	v_mad_u64_u32 v[4:5], s[12:13], v3, s26, v[4:5]
	;; [unrolled: 1-line block ×3, first 2 shown]
.LBB56_1206:
	s_waitcnt vmcnt(0) lgkmcnt(0)
	v_mov_b32_e32 v1, s11
	v_add_co_u32_e32 v4, vcc, s10, v4
	v_addc_co_u32_e32 v5, vcc, 0, v1, vcc
	v_and_b32_e32 v3, 0xff, v9
	v_cmp_gt_i16_e32 vcc, 11, v3
	s_cbranch_vccnz .LBB56_1213
; %bb.1207:
	v_cmp_lt_i16_e32 vcc, 25, v3
	s_mov_b64 s[12:13], 0
	s_cbranch_vccz .LBB56_1215
; %bb.1208:
	v_cmp_lt_i16_e32 vcc, 28, v3
	s_cbranch_vccz .LBB56_1216
; %bb.1209:
	v_cmp_lt_i16_e32 vcc, 43, v3
	;; [unrolled: 3-line block ×3, first 2 shown]
	s_cbranch_vccz .LBB56_1218
; %bb.1211:
	v_cmp_eq_u16_e32 vcc, 46, v3
	s_mov_b64 s[16:17], 0
	s_cbranch_vccz .LBB56_1221
; %bb.1212:
	global_load_dword v1, v[4:5], off
	s_mov_b64 s[10:11], 0
	s_mov_b64 s[14:15], -1
	s_waitcnt vmcnt(0)
	v_lshlrev_b32_e32 v1, 16, v1
	v_cvt_f16_f32_e32 v1, v1
	s_branch .LBB56_1222
.LBB56_1213:
	s_mov_b64 s[16:17], -1
	s_mov_b64 s[14:15], 0
	s_mov_b64 s[12:13], 0
	;; [unrolled: 1-line block ×3, first 2 shown]
                                        ; implicit-def: $vgpr1
	s_branch .LBB56_1285
.LBB56_1214:
	s_mov_b64 s[60:61], 0
	s_branch .LBB56_945
.LBB56_1215:
	s_mov_b64 s[16:17], -1
	s_mov_b64 s[14:15], 0
	s_mov_b64 s[10:11], s[0:1]
                                        ; implicit-def: $vgpr1
	s_branch .LBB56_1251
.LBB56_1216:
	s_mov_b64 s[16:17], -1
	s_mov_b64 s[14:15], 0
	s_mov_b64 s[10:11], s[0:1]
                                        ; implicit-def: $vgpr1
	s_branch .LBB56_1232
.LBB56_1217:
	s_mov_b64 s[16:17], -1
	s_mov_b64 s[14:15], 0
	s_mov_b64 s[10:11], s[0:1]
                                        ; implicit-def: $vgpr1
	s_branch .LBB56_1227
.LBB56_1218:
	s_mov_b64 s[16:17], -1
	s_mov_b64 s[14:15], 0
	s_mov_b64 s[10:11], s[0:1]
                                        ; implicit-def: $vgpr1
	s_branch .LBB56_1222
.LBB56_1219:
	s_or_saveexec_b64 s[62:63], s[62:63]
                                        ; implicit-def: $sgpr64
	s_xor_b64 exec, exec, s[62:63]
	s_cbranch_execz .LBB56_1103
.LBB56_1220:
	s_mov_b32 s64, 0x46000000
	v_add_f32_e64 v4, |v3|, s64
	v_and_b32_e32 v4, 0xff, v4
	v_cmp_ne_u32_e32 vcc, 0, v4
	s_andn2_b64 s[60:61], s[60:61], exec
	s_and_b64 s[70:71], vcc, exec
	s_mov_b32 s64, 0
	s_or_b64 s[60:61], s[60:61], s[70:71]
	s_or_b64 exec, exec, s[62:63]
	v_mov_b32_e32 v5, s64
	s_and_saveexec_b64 s[62:63], s[60:61]
	s_cbranch_execnz .LBB56_1104
	s_branch .LBB56_1105
.LBB56_1221:
	s_mov_b64 s[10:11], -1
                                        ; implicit-def: $vgpr1
	s_mov_b64 s[14:15], 0
.LBB56_1222:
	s_and_b64 vcc, exec, s[16:17]
	s_cbranch_vccz .LBB56_1226
; %bb.1223:
	v_cmp_eq_u16_e32 vcc, 44, v3
	s_cbranch_vccz .LBB56_1225
; %bb.1224:
	global_load_ubyte v1, v[4:5], off
	s_movk_i32 s14, 0xff
	v_mov_b32_e32 v9, 0x7e00
	s_mov_b64 s[10:11], 0
	s_waitcnt vmcnt(0)
	v_lshlrev_b32_e32 v8, 23, v1
	v_cvt_f16_f32_e32 v8, v8
	v_cmp_ne_u32_e32 vcc, s14, v1
	s_mov_b64 s[14:15], -1
	v_cndmask_b32_e32 v8, v9, v8, vcc
	v_cmp_ne_u32_e32 vcc, 0, v1
	v_cndmask_b32_e32 v1, 0, v8, vcc
	s_branch .LBB56_1226
.LBB56_1225:
	s_mov_b64 s[10:11], -1
                                        ; implicit-def: $vgpr1
.LBB56_1226:
	s_mov_b64 s[16:17], 0
.LBB56_1227:
	s_and_b64 vcc, exec, s[16:17]
	s_cbranch_vccz .LBB56_1231
; %bb.1228:
	v_cmp_eq_u16_e32 vcc, 29, v3
	s_cbranch_vccz .LBB56_1230
; %bb.1229:
	global_load_dwordx2 v[8:9], v[4:5], off
	s_mov_b64 s[10:11], 0
	s_mov_b64 s[14:15], -1
	s_mov_b64 s[16:17], 0
	s_waitcnt vmcnt(0)
	v_ffbh_u32_e32 v1, v9
	v_min_u32_e32 v1, 32, v1
	v_lshlrev_b64 v[8:9], v1, v[8:9]
	v_min_u32_e32 v8, 1, v8
	v_or_b32_e32 v8, v9, v8
	v_cvt_f32_u32_e32 v8, v8
	v_sub_u32_e32 v1, 32, v1
	v_ldexp_f32 v1, v8, v1
	v_cvt_f16_f32_e32 v1, v1
	s_branch .LBB56_1232
.LBB56_1230:
	s_mov_b64 s[10:11], -1
                                        ; implicit-def: $vgpr1
.LBB56_1231:
	s_mov_b64 s[16:17], 0
.LBB56_1232:
	s_and_b64 vcc, exec, s[16:17]
	s_cbranch_vccz .LBB56_1250
; %bb.1233:
	v_cmp_gt_i16_e32 vcc, 27, v3
	s_cbranch_vccnz .LBB56_1236
; %bb.1234:
	v_cmp_lt_i16_e32 vcc, 27, v3
	s_cbranch_vccz .LBB56_1237
; %bb.1235:
	global_load_dword v1, v[4:5], off
	s_mov_b64 s[14:15], 0
	s_waitcnt vmcnt(0)
	v_cvt_f32_u32_e32 v1, v1
	v_cvt_f16_f32_e32 v1, v1
	s_branch .LBB56_1238
.LBB56_1236:
	s_mov_b64 s[14:15], -1
                                        ; implicit-def: $vgpr1
	s_branch .LBB56_1241
.LBB56_1237:
	s_mov_b64 s[14:15], -1
                                        ; implicit-def: $vgpr1
.LBB56_1238:
	s_andn2_b64 vcc, exec, s[14:15]
	s_cbranch_vccnz .LBB56_1240
; %bb.1239:
	global_load_ushort v1, v[4:5], off
	s_waitcnt vmcnt(0)
	v_cvt_f16_u16_e32 v1, v1
.LBB56_1240:
	s_mov_b64 s[14:15], 0
.LBB56_1241:
	s_andn2_b64 vcc, exec, s[14:15]
	s_cbranch_vccnz .LBB56_1249
; %bb.1242:
	global_load_ubyte v8, v[4:5], off
	s_movk_i32 s14, 0x7f
                                        ; implicit-def: $sgpr26
	s_waitcnt vmcnt(0)
	v_cmp_lt_i16_e32 vcc, s14, v8
	s_mov_b64 s[14:15], 0
	s_and_saveexec_b64 s[16:17], vcc
	s_xor_b64 s[16:17], exec, s[16:17]
	s_cbranch_execz .LBB56_1263
; %bb.1243:
	s_movk_i32 s14, 0x80
	v_cmp_eq_u16_e32 vcc, s14, v8
	s_mov_b64 s[14:15], -1
                                        ; implicit-def: $sgpr26
	s_and_saveexec_b64 s[18:19], vcc
; %bb.1244:
	s_movk_i32 s26, 0x7e00
	s_xor_b64 s[14:15], exec, -1
; %bb.1245:
	s_or_b64 exec, exec, s[18:19]
	s_and_b64 s[14:15], s[14:15], exec
	s_or_saveexec_b64 s[16:17], s[16:17]
	v_mov_b32_e32 v1, s26
	s_xor_b64 exec, exec, s[16:17]
	s_cbranch_execnz .LBB56_1264
.LBB56_1246:
	s_or_b64 exec, exec, s[16:17]
	s_and_saveexec_b64 s[16:17], s[14:15]
	s_cbranch_execz .LBB56_1248
.LBB56_1247:
	v_lshlrev_b32_e32 v1, 24, v8
	v_and_b32_e32 v8, 0xffff, v8
	v_and_b32_e32 v9, 7, v8
	v_ffbh_u32_e32 v11, v9
	v_min_u32_e32 v11, 32, v11
	v_subrev_u32_e32 v12, 28, v11
	v_bfe_u32 v10, v8, 3, 4
	v_lshlrev_b32_e32 v8, v12, v8
	v_sub_u32_e32 v11, 29, v11
	v_and_b32_e32 v8, 7, v8
	v_cmp_eq_u32_e32 vcc, 0, v10
	v_cndmask_b32_e32 v10, v10, v11, vcc
	v_cndmask_b32_e32 v8, v9, v8, vcc
	v_mov_b32_e32 v9, 0x3b800000
	v_lshlrev_b32_e32 v8, 20, v8
	v_and_b32_e32 v1, 0x80000000, v1
	v_lshl_add_u32 v9, v10, 23, v9
	v_or3_b32 v1, v1, v9, v8
	v_cvt_f16_f32_e32 v1, v1
.LBB56_1248:
	s_or_b64 exec, exec, s[16:17]
.LBB56_1249:
	s_mov_b64 s[14:15], -1
.LBB56_1250:
	s_mov_b64 s[16:17], 0
.LBB56_1251:
	s_and_b64 vcc, exec, s[16:17]
	s_cbranch_vccz .LBB56_1284
; %bb.1252:
	v_cmp_lt_i16_e32 vcc, 22, v3
	s_cbranch_vccz .LBB56_1262
; %bb.1253:
	v_cmp_gt_i16_e32 vcc, 24, v3
	s_cbranch_vccnz .LBB56_1265
; %bb.1254:
	v_cmp_lt_i16_e32 vcc, 24, v3
	s_cbranch_vccz .LBB56_1266
; %bb.1255:
	global_load_ubyte v8, v[4:5], off
	s_movk_i32 s12, 0x7f
                                        ; implicit-def: $sgpr18
	s_waitcnt vmcnt(0)
	v_cmp_lt_i16_e32 vcc, s12, v8
	s_mov_b64 s[12:13], 0
	s_and_saveexec_b64 s[14:15], vcc
	s_xor_b64 s[14:15], exec, s[14:15]
	s_cbranch_execz .LBB56_1278
; %bb.1256:
	s_movk_i32 s12, 0x80
	v_cmp_eq_u16_e32 vcc, s12, v8
	s_mov_b64 s[12:13], -1
                                        ; implicit-def: $sgpr18
	s_and_saveexec_b64 s[16:17], vcc
; %bb.1257:
	s_movk_i32 s18, 0x7e00
	s_xor_b64 s[12:13], exec, -1
; %bb.1258:
	s_or_b64 exec, exec, s[16:17]
	s_and_b64 s[12:13], s[12:13], exec
	s_or_saveexec_b64 s[14:15], s[14:15]
	v_mov_b32_e32 v1, s18
	s_xor_b64 exec, exec, s[14:15]
	s_cbranch_execnz .LBB56_1279
.LBB56_1259:
	s_or_b64 exec, exec, s[14:15]
	s_and_saveexec_b64 s[14:15], s[12:13]
	s_cbranch_execz .LBB56_1261
.LBB56_1260:
	v_lshlrev_b32_e32 v1, 24, v8
	v_and_b32_e32 v8, 0xffff, v8
	v_and_b32_e32 v9, 3, v8
	v_ffbh_u32_e32 v11, v9
	v_min_u32_e32 v11, 32, v11
	v_subrev_u32_e32 v12, 29, v11
	v_bfe_u32 v10, v8, 2, 5
	v_lshlrev_b32_e32 v8, v12, v8
	v_sub_u32_e32 v11, 30, v11
	v_and_b32_e32 v8, 3, v8
	v_cmp_eq_u32_e32 vcc, 0, v10
	v_cndmask_b32_e32 v10, v10, v11, vcc
	v_cndmask_b32_e32 v8, v9, v8, vcc
	v_mov_b32_e32 v9, 0x37800000
	v_lshlrev_b32_e32 v8, 21, v8
	v_and_b32_e32 v1, 0x80000000, v1
	v_lshl_add_u32 v9, v10, 23, v9
	v_or3_b32 v1, v1, v9, v8
	v_cvt_f16_f32_e32 v1, v1
.LBB56_1261:
	s_or_b64 exec, exec, s[14:15]
	s_mov_b64 s[12:13], 0
	s_branch .LBB56_1267
.LBB56_1262:
	s_mov_b64 s[12:13], -1
                                        ; implicit-def: $vgpr1
	s_branch .LBB56_1273
.LBB56_1263:
	s_or_saveexec_b64 s[16:17], s[16:17]
	v_mov_b32_e32 v1, s26
	s_xor_b64 exec, exec, s[16:17]
	s_cbranch_execz .LBB56_1246
.LBB56_1264:
	v_cmp_ne_u16_e32 vcc, 0, v8
	s_andn2_b64 s[14:15], s[14:15], exec
	s_and_b64 s[18:19], vcc, exec
	s_or_b64 s[14:15], s[14:15], s[18:19]
	v_mov_b32_e32 v1, v8
	s_or_b64 exec, exec, s[16:17]
	s_and_saveexec_b64 s[16:17], s[14:15]
	s_cbranch_execnz .LBB56_1247
	s_branch .LBB56_1248
.LBB56_1265:
	s_mov_b64 s[12:13], -1
                                        ; implicit-def: $vgpr1
	s_branch .LBB56_1270
.LBB56_1266:
	s_mov_b64 s[12:13], -1
                                        ; implicit-def: $vgpr1
.LBB56_1267:
	s_and_b64 vcc, exec, s[12:13]
	s_cbranch_vccz .LBB56_1269
; %bb.1268:
	global_load_ubyte v1, v[4:5], off
	s_mov_b32 s12, 0x7f800000
	s_waitcnt vmcnt(0)
	v_lshlrev_b32_e32 v1, 24, v1
	v_and_b32_e32 v8, 0x7f000000, v1
	v_ffbh_u32_e32 v9, v8
	v_min_u32_e32 v9, 32, v9
	v_sub_u32_e64 v9, v9, 4 clamp
	v_lshlrev_b32_e32 v11, v9, v8
	v_lshlrev_b32_e32 v9, 23, v9
	v_lshrrev_b32_e32 v11, 4, v11
	v_add_u32_e32 v10, 0x1000000, v8
	v_sub_u32_e32 v9, v11, v9
	v_ashrrev_i32_e32 v10, 8, v10
	v_add_u32_e32 v9, 0x3c000000, v9
	v_and_or_b32 v9, v10, s12, v9
	v_cmp_ne_u32_e32 vcc, 0, v8
	v_cndmask_b32_e32 v8, 0, v9, vcc
	s_brev_b32 s12, 1
	v_and_or_b32 v1, v1, s12, v8
	v_cvt_f16_f32_e32 v1, v1
.LBB56_1269:
	s_mov_b64 s[12:13], 0
.LBB56_1270:
	s_andn2_b64 vcc, exec, s[12:13]
	s_cbranch_vccnz .LBB56_1272
; %bb.1271:
	global_load_ubyte v1, v[4:5], off
	s_movk_i32 s12, 0x7f00
	s_brev_b32 s13, 16
	s_waitcnt vmcnt(0)
	v_lshlrev_b16_e32 v8, 8, v1
	v_lshlrev_b32_e32 v1, 25, v1
	v_lshrrev_b32_e32 v9, 4, v1
	v_and_or_b32 v10, v8, s12, 0.5
	v_or_b32_e32 v9, 0x70000000, v9
	v_add_f32_e32 v10, -0.5, v10
	v_mul_f32_e32 v9, 0x7800000, v9
	v_cmp_gt_u32_e32 vcc, s13, v1
	v_bfe_i32 v8, v8, 0, 16
	v_cndmask_b32_e32 v1, v9, v10, vcc
	s_brev_b32 s12, 1
	v_and_or_b32 v1, v8, s12, v1
	v_cvt_f16_f32_e32 v1, v1
.LBB56_1272:
	s_mov_b64 s[12:13], 0
	s_mov_b64 s[14:15], -1
.LBB56_1273:
	s_andn2_b64 vcc, exec, s[12:13]
	s_mov_b64 s[12:13], 0
	s_cbranch_vccnz .LBB56_1284
; %bb.1274:
	v_cmp_lt_i16_e32 vcc, 14, v3
	s_cbranch_vccz .LBB56_1277
; %bb.1275:
	v_cmp_eq_u16_e32 vcc, 15, v3
	s_cbranch_vccz .LBB56_1280
; %bb.1276:
	global_load_ushort v1, v[4:5], off
	s_mov_b64 s[10:11], 0
	s_mov_b64 s[14:15], -1
	s_waitcnt vmcnt(0)
	v_lshlrev_b32_e32 v1, 16, v1
	v_cvt_f16_f32_e32 v1, v1
	s_branch .LBB56_1281
.LBB56_1277:
	s_mov_b64 s[16:17], -1
                                        ; implicit-def: $vgpr1
	s_branch .LBB56_1282
.LBB56_1278:
	s_or_saveexec_b64 s[14:15], s[14:15]
	v_mov_b32_e32 v1, s18
	s_xor_b64 exec, exec, s[14:15]
	s_cbranch_execz .LBB56_1259
.LBB56_1279:
	v_cmp_ne_u16_e32 vcc, 0, v8
	s_andn2_b64 s[12:13], s[12:13], exec
	s_and_b64 s[16:17], vcc, exec
	s_or_b64 s[12:13], s[12:13], s[16:17]
	v_mov_b32_e32 v1, v8
	s_or_b64 exec, exec, s[14:15]
	s_and_saveexec_b64 s[14:15], s[12:13]
	s_cbranch_execnz .LBB56_1260
	s_branch .LBB56_1261
.LBB56_1280:
	s_mov_b64 s[10:11], -1
                                        ; implicit-def: $vgpr1
.LBB56_1281:
	s_mov_b64 s[16:17], 0
.LBB56_1282:
	s_and_b64 vcc, exec, s[16:17]
	s_cbranch_vccz .LBB56_1284
; %bb.1283:
	v_cmp_ne_u16_e32 vcc, 11, v3
	s_andn2_b64 s[10:11], s[10:11], exec
	s_and_b64 s[16:17], vcc, exec
	s_mov_b64 s[12:13], -1
	s_or_b64 s[10:11], s[10:11], s[16:17]
                                        ; implicit-def: $vgpr1
.LBB56_1284:
	s_mov_b64 s[16:17], 0
.LBB56_1285:
	s_and_b64 s[60:61], s[12:13], exec
	s_andn2_b64 s[12:13], s[0:1], exec
	s_and_b64 s[10:11], s[10:11], exec
	s_and_b64 s[62:63], s[14:15], exec
	;; [unrolled: 1-line block ×3, first 2 shown]
	s_or_b64 s[64:65], s[12:13], s[10:11]
.LBB56_1286:
	s_or_b64 exec, exec, s[54:55]
	s_andn2_b64 s[0:1], s[0:1], exec
	s_waitcnt lgkmcnt(0)
	s_and_b64 s[10:11], s[64:65], exec
	s_and_b64 s[62:63], s[62:63], exec
	;; [unrolled: 1-line block ×4, first 2 shown]
	s_or_b64 s[0:1], s[0:1], s[10:11]
.LBB56_1287:
	s_or_b64 exec, exec, s[52:53]
	s_waitcnt lgkmcnt(0)
	s_andn2_b64 s[10:11], s[48:49], exec
	s_and_b64 s[12:13], s[58:59], exec
	s_or_b64 s[48:49], s[10:11], s[12:13]
	s_andn2_b64 s[10:11], s[46:47], exec
	s_and_b64 s[12:13], s[56:57], exec
	s_or_b64 s[46:47], s[10:11], s[12:13]
	s_andn2_b64 s[10:11], s[44:45], exec
	s_and_b64 s[0:1], s[0:1], exec
	s_and_b64 s[56:57], s[62:63], exec
	;; [unrolled: 1-line block ×4, first 2 shown]
	s_or_b64 s[44:45], s[10:11], s[0:1]
.LBB56_1288:
	s_or_b64 exec, exec, s[50:51]
	s_andn2_b64 s[0:1], s[36:37], exec
	s_waitcnt lgkmcnt(0)
	s_and_b64 s[10:11], s[48:49], exec
	s_or_b64 s[36:37], s[0:1], s[10:11]
	s_andn2_b64 s[0:1], s[38:39], exec
	s_and_b64 s[10:11], s[46:47], exec
	s_or_b64 s[38:39], s[0:1], s[10:11]
	s_andn2_b64 s[0:1], s[40:41], exec
	s_and_b64 s[10:11], s[44:45], exec
	s_and_b64 s[48:49], s[56:57], exec
	;; [unrolled: 1-line block ×4, first 2 shown]
	s_or_b64 s[40:41], s[0:1], s[10:11]
	s_or_b64 exec, exec, s[42:43]
	s_mov_b64 s[10:11], 0
	s_and_saveexec_b64 s[0:1], s[40:41]
	s_cbranch_execz .LBB56_403
.LBB56_1289:
	s_mov_b64 s[10:11], exec
	s_andn2_b64 s[46:47], s[46:47], exec
	s_trap 2
                                        ; implicit-def: $vgpr1
	s_or_b64 exec, exec, s[0:1]
	s_and_saveexec_b64 s[0:1], s[46:47]
	s_xor_b64 s[0:1], exec, s[0:1]
	s_cbranch_execnz .LBB56_404
.LBB56_1290:
	s_or_b64 exec, exec, s[0:1]
	s_and_saveexec_b64 s[0:1], s[50:51]
	s_cbranch_execz .LBB56_1336
.LBB56_1291:
	v_cmp_gt_i16_e32 vcc, 5, v3
	s_cbranch_vccnz .LBB56_1296
; %bb.1292:
	v_cmp_gt_i16_e32 vcc, 8, v3
	s_cbranch_vccnz .LBB56_1297
; %bb.1293:
	;; [unrolled: 3-line block ×3, first 2 shown]
	v_cmp_lt_i16_e32 vcc, 9, v3
	s_cbranch_vccz .LBB56_1299
; %bb.1295:
	s_waitcnt vmcnt(0)
	global_load_dwordx2 v[8:9], v[4:5], off
	s_mov_b64 s[12:13], 0
	s_waitcnt vmcnt(0)
	v_cvt_f32_f64_e32 v1, v[8:9]
	v_cvt_f16_f32_e32 v1, v1
	s_branch .LBB56_1300
.LBB56_1296:
                                        ; implicit-def: $vgpr1
	s_branch .LBB56_1317
.LBB56_1297:
                                        ; implicit-def: $vgpr1
	s_branch .LBB56_1306
.LBB56_1298:
	s_mov_b64 s[12:13], -1
                                        ; implicit-def: $vgpr1
	s_branch .LBB56_1303
.LBB56_1299:
	s_mov_b64 s[12:13], -1
                                        ; implicit-def: $vgpr1
.LBB56_1300:
	s_andn2_b64 vcc, exec, s[12:13]
	s_cbranch_vccnz .LBB56_1302
; %bb.1301:
	s_waitcnt vmcnt(0)
	global_load_dword v1, v[4:5], off
	s_waitcnt vmcnt(0)
	v_cvt_f16_f32_e32 v1, v1
.LBB56_1302:
	s_mov_b64 s[12:13], 0
.LBB56_1303:
	s_andn2_b64 vcc, exec, s[12:13]
	s_cbranch_vccnz .LBB56_1305
; %bb.1304:
	s_waitcnt vmcnt(0)
	global_load_dword v1, v[4:5], off
.LBB56_1305:
	s_cbranch_execnz .LBB56_1316
.LBB56_1306:
	v_cmp_gt_i16_e32 vcc, 6, v3
	s_cbranch_vccnz .LBB56_1309
; %bb.1307:
	v_cmp_lt_i16_e32 vcc, 6, v3
	s_cbranch_vccz .LBB56_1310
; %bb.1308:
	s_waitcnt vmcnt(0)
	global_load_dwordx2 v[8:9], v[4:5], off
	s_mov_b64 s[12:13], 0
	s_waitcnt vmcnt(0)
	v_cvt_f32_f64_e32 v1, v[8:9]
	v_cvt_f16_f32_e32 v1, v1
	s_branch .LBB56_1311
.LBB56_1309:
	s_mov_b64 s[12:13], -1
                                        ; implicit-def: $vgpr1
	s_branch .LBB56_1314
.LBB56_1310:
	s_mov_b64 s[12:13], -1
                                        ; implicit-def: $vgpr1
.LBB56_1311:
	s_andn2_b64 vcc, exec, s[12:13]
	s_cbranch_vccnz .LBB56_1313
; %bb.1312:
	s_waitcnt vmcnt(0)
	global_load_dword v1, v[4:5], off
	s_waitcnt vmcnt(0)
	v_cvt_f16_f32_e32 v1, v1
.LBB56_1313:
	s_mov_b64 s[12:13], 0
.LBB56_1314:
	s_andn2_b64 vcc, exec, s[12:13]
	s_cbranch_vccnz .LBB56_1316
; %bb.1315:
	s_waitcnt vmcnt(0)
	global_load_ushort v1, v[4:5], off
.LBB56_1316:
	s_cbranch_execnz .LBB56_1335
.LBB56_1317:
	v_cmp_gt_i16_e32 vcc, 2, v3
	s_cbranch_vccnz .LBB56_1321
; %bb.1318:
	v_cmp_gt_i16_e32 vcc, 3, v3
	s_cbranch_vccnz .LBB56_1322
; %bb.1319:
	v_cmp_lt_i16_e32 vcc, 3, v3
	s_cbranch_vccz .LBB56_1323
; %bb.1320:
	s_waitcnt vmcnt(0)
	global_load_dwordx2 v[8:9], v[4:5], off
	s_mov_b64 s[12:13], 0
	s_waitcnt vmcnt(0)
	v_xor_b32_e32 v10, v8, v9
	v_ffbh_i32_e32 v1, v9
	v_ashrrev_i32_e32 v10, 31, v10
	v_add_u32_e32 v1, -1, v1
	v_add_u32_e32 v10, 32, v10
	v_min_u32_e32 v1, v1, v10
	v_lshlrev_b64 v[8:9], v1, v[8:9]
	v_min_u32_e32 v8, 1, v8
	v_or_b32_e32 v8, v9, v8
	v_cvt_f32_i32_e32 v8, v8
	v_sub_u32_e32 v1, 32, v1
	v_ldexp_f32 v1, v8, v1
	v_cvt_f16_f32_e32 v1, v1
	s_branch .LBB56_1324
.LBB56_1321:
                                        ; implicit-def: $vgpr1
	s_branch .LBB56_1330
.LBB56_1322:
	s_mov_b64 s[12:13], -1
                                        ; implicit-def: $vgpr1
	s_branch .LBB56_1327
.LBB56_1323:
	s_mov_b64 s[12:13], -1
                                        ; implicit-def: $vgpr1
.LBB56_1324:
	s_andn2_b64 vcc, exec, s[12:13]
	s_cbranch_vccnz .LBB56_1326
; %bb.1325:
	s_waitcnt vmcnt(0)
	global_load_dword v1, v[4:5], off
	s_waitcnt vmcnt(0)
	v_cvt_f32_i32_e32 v1, v1
	v_cvt_f16_f32_e32 v1, v1
.LBB56_1326:
	s_mov_b64 s[12:13], 0
.LBB56_1327:
	s_andn2_b64 vcc, exec, s[12:13]
	s_cbranch_vccnz .LBB56_1329
; %bb.1328:
	s_waitcnt vmcnt(0)
	global_load_ushort v1, v[4:5], off
	s_waitcnt vmcnt(0)
	v_cvt_f16_i16_e32 v1, v1
.LBB56_1329:
	s_cbranch_execnz .LBB56_1335
.LBB56_1330:
	v_cmp_lt_i16_e32 vcc, 0, v3
	s_cbranch_vccz .LBB56_1332
; %bb.1331:
	s_waitcnt vmcnt(0)
	global_load_sbyte v1, v[4:5], off
	s_mov_b64 s[12:13], 0
	s_waitcnt vmcnt(0)
	v_cvt_f16_i16_e32 v1, v1
	s_branch .LBB56_1333
.LBB56_1332:
	s_mov_b64 s[12:13], -1
                                        ; implicit-def: $vgpr1
.LBB56_1333:
	s_andn2_b64 vcc, exec, s[12:13]
	s_cbranch_vccnz .LBB56_1335
; %bb.1334:
	s_waitcnt vmcnt(0)
	global_load_ubyte v1, v[4:5], off
	s_waitcnt vmcnt(0)
	v_cvt_f16_u16_e32 v1, v1
.LBB56_1335:
	s_or_b64 s[48:49], s[48:49], exec
.LBB56_1336:
	s_or_b64 exec, exec, s[0:1]
	s_mov_b64 s[14:15], 0
	s_mov_b64 s[18:19], 0
	;; [unrolled: 1-line block ×3, first 2 shown]
                                        ; implicit-def: $vgpr3
                                        ; implicit-def: $vgpr4_vgpr5
                                        ; implicit-def: $vgpr8
	s_and_saveexec_b64 s[0:1], s[48:49]
	s_cbranch_execz .LBB56_1344
; %bb.1337:
	v_mov_b32_e32 v3, s25
	s_waitcnt vmcnt(0)
	v_add_co_u32_e32 v4, vcc, s24, v2
	v_addc_co_u32_e32 v5, vcc, 0, v3, vcc
	v_and_b32_e32 v3, 0xff, v7
	v_cmp_gt_i16_e32 vcc, 11, v3
	s_cbranch_vccnz .LBB56_1347
; %bb.1338:
	v_cmp_lt_i16_e32 vcc, 25, v3
	s_cbranch_vccz .LBB56_1348
; %bb.1339:
	v_cmp_lt_i16_e32 vcc, 28, v3
	s_cbranch_vccz .LBB56_1349
	;; [unrolled: 3-line block ×4, first 2 shown]
; %bb.1342:
	v_cmp_eq_u16_e32 vcc, 46, v3
	s_cbranch_vccz .LBB56_1352
; %bb.1343:
	global_load_dword v2, v[4:5], off
	s_mov_b64 s[12:13], 0
	s_mov_b64 s[16:17], -1
	s_waitcnt vmcnt(0)
	v_lshlrev_b32_e32 v2, 16, v2
	v_cvt_f16_f32_e32 v8, v2
	s_branch .LBB56_1354
.LBB56_1344:
	s_or_b64 exec, exec, s[0:1]
	s_and_saveexec_b64 s[0:1], s[38:39]
	s_cbranch_execnz .LBB56_1417
.LBB56_1345:
	s_or_b64 exec, exec, s[0:1]
	s_and_saveexec_b64 s[0:1], s[14:15]
	s_xor_b64 s[0:1], exec, s[0:1]
	s_cbranch_execz .LBB56_1418
.LBB56_1346:
	s_waitcnt vmcnt(0)
	global_load_ubyte v2, v[4:5], off
	v_mov_b32_e32 v7, 0x3c00
	s_or_b64 s[16:17], s[16:17], exec
	s_waitcnt vmcnt(0)
	v_cmp_ne_u16_e32 vcc, 0, v2
	v_cndmask_b32_e32 v8, 0, v7, vcc
	s_or_b64 exec, exec, s[0:1]
	s_and_saveexec_b64 s[0:1], s[18:19]
	s_cbranch_execz .LBB56_1464
	s_branch .LBB56_1419
.LBB56_1347:
	s_mov_b64 s[18:19], -1
                                        ; implicit-def: $vgpr8
	s_mov_b64 s[12:13], s[38:39]
	s_branch .LBB56_1416
.LBB56_1348:
	s_mov_b64 s[12:13], s[38:39]
                                        ; implicit-def: $vgpr8
	s_cbranch_execnz .LBB56_1383
	s_branch .LBB56_1415
.LBB56_1349:
	s_mov_b64 s[18:19], -1
	s_mov_b64 s[12:13], s[38:39]
                                        ; implicit-def: $vgpr8
	s_branch .LBB56_1364
.LBB56_1350:
	s_mov_b64 s[18:19], -1
	s_mov_b64 s[12:13], s[38:39]
                                        ; implicit-def: $vgpr8
	s_branch .LBB56_1359
.LBB56_1351:
	s_mov_b64 s[18:19], -1
	s_mov_b64 s[12:13], s[38:39]
	s_branch .LBB56_1353
.LBB56_1352:
	s_mov_b64 s[12:13], -1
.LBB56_1353:
                                        ; implicit-def: $vgpr8
.LBB56_1354:
	s_and_b64 vcc, exec, s[18:19]
	s_cbranch_vccz .LBB56_1358
; %bb.1355:
	v_cmp_eq_u16_e32 vcc, 44, v3
	s_cbranch_vccz .LBB56_1357
; %bb.1356:
	global_load_ubyte v2, v[4:5], off
	s_movk_i32 s16, 0xff
	v_mov_b32_e32 v8, 0x7e00
	s_mov_b64 s[12:13], 0
	s_waitcnt vmcnt(0)
	v_lshlrev_b32_e32 v7, 23, v2
	v_cvt_f16_f32_e32 v7, v7
	v_cmp_ne_u32_e32 vcc, s16, v2
	s_mov_b64 s[16:17], -1
	v_cndmask_b32_e32 v7, v8, v7, vcc
	v_cmp_ne_u32_e32 vcc, 0, v2
	v_cndmask_b32_e32 v8, 0, v7, vcc
	s_branch .LBB56_1358
.LBB56_1357:
	s_mov_b64 s[12:13], -1
                                        ; implicit-def: $vgpr8
.LBB56_1358:
	s_mov_b64 s[18:19], 0
.LBB56_1359:
	s_and_b64 vcc, exec, s[18:19]
	s_cbranch_vccz .LBB56_1363
; %bb.1360:
	v_cmp_eq_u16_e32 vcc, 29, v3
	s_cbranch_vccz .LBB56_1362
; %bb.1361:
	global_load_dwordx2 v[8:9], v[4:5], off
	s_mov_b64 s[12:13], 0
	s_mov_b64 s[16:17], -1
	s_mov_b64 s[18:19], 0
	s_waitcnt vmcnt(0)
	v_ffbh_u32_e32 v2, v9
	v_min_u32_e32 v2, 32, v2
	v_lshlrev_b64 v[8:9], v2, v[8:9]
	v_min_u32_e32 v7, 1, v8
	v_or_b32_e32 v7, v9, v7
	v_cvt_f32_u32_e32 v7, v7
	v_sub_u32_e32 v2, 32, v2
	v_ldexp_f32 v2, v7, v2
	v_cvt_f16_f32_e32 v8, v2
	s_branch .LBB56_1364
.LBB56_1362:
	s_mov_b64 s[12:13], -1
                                        ; implicit-def: $vgpr8
.LBB56_1363:
	s_mov_b64 s[18:19], 0
.LBB56_1364:
	s_and_b64 vcc, exec, s[18:19]
	s_cbranch_vccz .LBB56_1382
; %bb.1365:
	v_cmp_gt_i16_e32 vcc, 27, v3
	s_cbranch_vccnz .LBB56_1368
; %bb.1366:
	v_cmp_lt_i16_e32 vcc, 27, v3
	s_cbranch_vccz .LBB56_1369
; %bb.1367:
	global_load_dword v2, v[4:5], off
	s_mov_b64 s[16:17], 0
	s_waitcnt vmcnt(0)
	v_cvt_f32_u32_e32 v2, v2
	v_cvt_f16_f32_e32 v8, v2
	s_branch .LBB56_1370
.LBB56_1368:
	s_mov_b64 s[16:17], -1
                                        ; implicit-def: $vgpr8
	s_branch .LBB56_1373
.LBB56_1369:
	s_mov_b64 s[16:17], -1
                                        ; implicit-def: $vgpr8
.LBB56_1370:
	s_andn2_b64 vcc, exec, s[16:17]
	s_cbranch_vccnz .LBB56_1372
; %bb.1371:
	global_load_ushort v2, v[4:5], off
	s_waitcnt vmcnt(0)
	v_cvt_f16_u16_e32 v8, v2
.LBB56_1372:
	s_mov_b64 s[16:17], 0
.LBB56_1373:
	s_andn2_b64 vcc, exec, s[16:17]
	s_cbranch_vccnz .LBB56_1381
; %bb.1374:
	global_load_ubyte v2, v[4:5], off
	s_movk_i32 s16, 0x7f
                                        ; implicit-def: $sgpr26
	s_waitcnt vmcnt(0)
	v_cmp_lt_i16_e32 vcc, s16, v2
	s_mov_b64 s[16:17], 0
	s_and_saveexec_b64 s[18:19], vcc
	s_xor_b64 s[18:19], exec, s[18:19]
	s_cbranch_execz .LBB56_1394
; %bb.1375:
	s_movk_i32 s16, 0x80
	v_cmp_eq_u16_e32 vcc, s16, v2
	s_mov_b64 s[16:17], -1
                                        ; implicit-def: $sgpr26
	s_and_saveexec_b64 s[24:25], vcc
; %bb.1376:
	s_movk_i32 s26, 0x7e00
	s_xor_b64 s[16:17], exec, -1
; %bb.1377:
	s_or_b64 exec, exec, s[24:25]
	s_and_b64 s[16:17], s[16:17], exec
	s_or_saveexec_b64 s[18:19], s[18:19]
	v_mov_b32_e32 v8, s26
	s_xor_b64 exec, exec, s[18:19]
	s_cbranch_execnz .LBB56_1395
.LBB56_1378:
	s_or_b64 exec, exec, s[18:19]
	s_and_saveexec_b64 s[18:19], s[16:17]
	s_cbranch_execz .LBB56_1380
.LBB56_1379:
	v_lshlrev_b32_e32 v7, 24, v2
	v_and_b32_e32 v2, 0xffff, v2
	v_and_b32_e32 v8, 7, v2
	v_ffbh_u32_e32 v10, v8
	v_min_u32_e32 v10, 32, v10
	v_subrev_u32_e32 v11, 28, v10
	v_bfe_u32 v9, v2, 3, 4
	v_lshlrev_b32_e32 v2, v11, v2
	v_sub_u32_e32 v10, 29, v10
	v_and_b32_e32 v2, 7, v2
	v_cmp_eq_u32_e32 vcc, 0, v9
	v_cndmask_b32_e32 v9, v9, v10, vcc
	v_cndmask_b32_e32 v2, v8, v2, vcc
	v_mov_b32_e32 v8, 0x3b800000
	v_lshlrev_b32_e32 v2, 20, v2
	v_and_b32_e32 v7, 0x80000000, v7
	v_lshl_add_u32 v8, v9, 23, v8
	v_or3_b32 v2, v7, v8, v2
	v_cvt_f16_f32_e32 v8, v2
.LBB56_1380:
	s_or_b64 exec, exec, s[18:19]
.LBB56_1381:
	s_mov_b64 s[16:17], -1
.LBB56_1382:
	s_branch .LBB56_1415
.LBB56_1383:
	v_cmp_lt_i16_e32 vcc, 22, v3
	s_cbranch_vccz .LBB56_1393
; %bb.1384:
	v_cmp_gt_i16_e32 vcc, 24, v3
	s_cbranch_vccnz .LBB56_1396
; %bb.1385:
	v_cmp_lt_i16_e32 vcc, 24, v3
	s_cbranch_vccz .LBB56_1397
; %bb.1386:
	global_load_ubyte v2, v[4:5], off
	s_movk_i32 s14, 0x7f
                                        ; implicit-def: $sgpr24
	s_waitcnt vmcnt(0)
	v_cmp_lt_i16_e32 vcc, s14, v2
	s_mov_b64 s[14:15], 0
	s_and_saveexec_b64 s[16:17], vcc
	s_xor_b64 s[16:17], exec, s[16:17]
	s_cbranch_execz .LBB56_1409
; %bb.1387:
	s_movk_i32 s14, 0x80
	v_cmp_eq_u16_e32 vcc, s14, v2
	s_mov_b64 s[14:15], -1
                                        ; implicit-def: $sgpr24
	s_and_saveexec_b64 s[18:19], vcc
; %bb.1388:
	s_movk_i32 s24, 0x7e00
	s_xor_b64 s[14:15], exec, -1
; %bb.1389:
	s_or_b64 exec, exec, s[18:19]
	s_and_b64 s[14:15], s[14:15], exec
	s_or_saveexec_b64 s[16:17], s[16:17]
	v_mov_b32_e32 v8, s24
	s_xor_b64 exec, exec, s[16:17]
	s_cbranch_execnz .LBB56_1410
.LBB56_1390:
	s_or_b64 exec, exec, s[16:17]
	s_and_saveexec_b64 s[16:17], s[14:15]
	s_cbranch_execz .LBB56_1392
.LBB56_1391:
	v_lshlrev_b32_e32 v7, 24, v2
	v_and_b32_e32 v2, 0xffff, v2
	v_and_b32_e32 v8, 3, v2
	v_ffbh_u32_e32 v10, v8
	v_min_u32_e32 v10, 32, v10
	v_subrev_u32_e32 v11, 29, v10
	v_bfe_u32 v9, v2, 2, 5
	v_lshlrev_b32_e32 v2, v11, v2
	v_sub_u32_e32 v10, 30, v10
	v_and_b32_e32 v2, 3, v2
	v_cmp_eq_u32_e32 vcc, 0, v9
	v_cndmask_b32_e32 v9, v9, v10, vcc
	v_cndmask_b32_e32 v2, v8, v2, vcc
	v_mov_b32_e32 v8, 0x37800000
	v_lshlrev_b32_e32 v2, 21, v2
	v_and_b32_e32 v7, 0x80000000, v7
	v_lshl_add_u32 v8, v9, 23, v8
	v_or3_b32 v2, v7, v8, v2
	v_cvt_f16_f32_e32 v8, v2
.LBB56_1392:
	s_or_b64 exec, exec, s[16:17]
	s_mov_b64 s[14:15], 0
	s_branch .LBB56_1398
.LBB56_1393:
	s_mov_b64 s[14:15], -1
                                        ; implicit-def: $vgpr8
	s_branch .LBB56_1404
.LBB56_1394:
	s_or_saveexec_b64 s[18:19], s[18:19]
	v_mov_b32_e32 v8, s26
	s_xor_b64 exec, exec, s[18:19]
	s_cbranch_execz .LBB56_1378
.LBB56_1395:
	v_cmp_ne_u16_e32 vcc, 0, v2
	s_andn2_b64 s[16:17], s[16:17], exec
	s_and_b64 s[24:25], vcc, exec
	s_or_b64 s[16:17], s[16:17], s[24:25]
	v_mov_b32_e32 v8, v2
	s_or_b64 exec, exec, s[18:19]
	s_and_saveexec_b64 s[18:19], s[16:17]
	s_cbranch_execnz .LBB56_1379
	s_branch .LBB56_1380
.LBB56_1396:
	s_mov_b64 s[14:15], -1
                                        ; implicit-def: $vgpr8
	s_branch .LBB56_1401
.LBB56_1397:
	s_mov_b64 s[14:15], -1
                                        ; implicit-def: $vgpr8
.LBB56_1398:
	s_and_b64 vcc, exec, s[14:15]
	s_cbranch_vccz .LBB56_1400
; %bb.1399:
	global_load_ubyte v2, v[4:5], off
	s_mov_b32 s14, 0x7f800000
	s_waitcnt vmcnt(0)
	v_lshlrev_b32_e32 v2, 24, v2
	v_and_b32_e32 v7, 0x7f000000, v2
	v_ffbh_u32_e32 v8, v7
	v_min_u32_e32 v8, 32, v8
	v_sub_u32_e64 v8, v8, 4 clamp
	v_lshlrev_b32_e32 v10, v8, v7
	v_lshlrev_b32_e32 v8, 23, v8
	v_lshrrev_b32_e32 v10, 4, v10
	v_add_u32_e32 v9, 0x1000000, v7
	v_sub_u32_e32 v8, v10, v8
	v_ashrrev_i32_e32 v9, 8, v9
	v_add_u32_e32 v8, 0x3c000000, v8
	v_and_or_b32 v8, v9, s14, v8
	v_cmp_ne_u32_e32 vcc, 0, v7
	v_cndmask_b32_e32 v7, 0, v8, vcc
	s_brev_b32 s14, 1
	v_and_or_b32 v2, v2, s14, v7
	v_cvt_f16_f32_e32 v8, v2
.LBB56_1400:
	s_mov_b64 s[14:15], 0
.LBB56_1401:
	s_andn2_b64 vcc, exec, s[14:15]
	s_cbranch_vccnz .LBB56_1403
; %bb.1402:
	global_load_ubyte v2, v[4:5], off
	s_movk_i32 s14, 0x7f00
	s_brev_b32 s15, 16
	s_waitcnt vmcnt(0)
	v_lshlrev_b16_e32 v7, 8, v2
	v_lshlrev_b32_e32 v2, 25, v2
	v_lshrrev_b32_e32 v8, 4, v2
	v_and_or_b32 v9, v7, s14, 0.5
	v_or_b32_e32 v8, 0x70000000, v8
	v_add_f32_e32 v9, -0.5, v9
	v_mul_f32_e32 v8, 0x7800000, v8
	v_cmp_gt_u32_e32 vcc, s15, v2
	v_bfe_i32 v7, v7, 0, 16
	v_cndmask_b32_e32 v2, v8, v9, vcc
	s_brev_b32 s14, 1
	v_and_or_b32 v2, v7, s14, v2
	v_cvt_f16_f32_e32 v8, v2
.LBB56_1403:
	s_mov_b64 s[14:15], 0
	s_mov_b64 s[16:17], -1
.LBB56_1404:
	s_andn2_b64 vcc, exec, s[14:15]
	s_mov_b64 s[14:15], 0
	s_cbranch_vccnz .LBB56_1415
; %bb.1405:
	v_cmp_lt_i16_e32 vcc, 14, v3
	s_cbranch_vccz .LBB56_1408
; %bb.1406:
	v_cmp_eq_u16_e32 vcc, 15, v3
	s_cbranch_vccz .LBB56_1411
; %bb.1407:
	global_load_ushort v2, v[4:5], off
	s_mov_b64 s[12:13], 0
	s_mov_b64 s[16:17], -1
	s_waitcnt vmcnt(0)
	v_lshlrev_b32_e32 v2, 16, v2
	v_cvt_f16_f32_e32 v8, v2
	s_branch .LBB56_1412
.LBB56_1408:
	s_mov_b64 s[18:19], -1
                                        ; implicit-def: $vgpr8
	s_branch .LBB56_1413
.LBB56_1409:
	s_or_saveexec_b64 s[16:17], s[16:17]
	v_mov_b32_e32 v8, s24
	s_xor_b64 exec, exec, s[16:17]
	s_cbranch_execz .LBB56_1390
.LBB56_1410:
	v_cmp_ne_u16_e32 vcc, 0, v2
	s_andn2_b64 s[14:15], s[14:15], exec
	s_and_b64 s[18:19], vcc, exec
	s_or_b64 s[14:15], s[14:15], s[18:19]
	v_mov_b32_e32 v8, v2
	s_or_b64 exec, exec, s[16:17]
	s_and_saveexec_b64 s[16:17], s[14:15]
	s_cbranch_execnz .LBB56_1391
	s_branch .LBB56_1392
.LBB56_1411:
	s_mov_b64 s[12:13], -1
                                        ; implicit-def: $vgpr8
.LBB56_1412:
	s_mov_b64 s[18:19], 0
.LBB56_1413:
	s_and_b64 vcc, exec, s[18:19]
	s_cbranch_vccz .LBB56_1415
; %bb.1414:
	v_cmp_ne_u16_e32 vcc, 11, v3
	s_andn2_b64 s[12:13], s[12:13], exec
	s_and_b64 s[18:19], vcc, exec
	s_mov_b64 s[14:15], -1
	s_or_b64 s[12:13], s[12:13], s[18:19]
                                        ; implicit-def: $vgpr8
.LBB56_1415:
	s_mov_b64 s[18:19], 0
.LBB56_1416:
	s_andn2_b64 s[24:25], s[38:39], exec
	s_and_b64 s[12:13], s[12:13], exec
	s_and_b64 s[16:17], s[16:17], exec
	;; [unrolled: 1-line block ×4, first 2 shown]
	s_or_b64 s[38:39], s[24:25], s[12:13]
	s_or_b64 exec, exec, s[0:1]
	s_and_saveexec_b64 s[0:1], s[38:39]
	s_cbranch_execz .LBB56_1345
.LBB56_1417:
	s_or_b64 s[10:11], s[10:11], exec
	s_andn2_b64 s[14:15], s[14:15], exec
	s_trap 2
                                        ; implicit-def: $vgpr8
	s_or_b64 exec, exec, s[0:1]
	s_and_saveexec_b64 s[0:1], s[14:15]
	s_xor_b64 s[0:1], exec, s[0:1]
	s_cbranch_execnz .LBB56_1346
.LBB56_1418:
	s_or_b64 exec, exec, s[0:1]
	s_and_saveexec_b64 s[0:1], s[18:19]
	s_cbranch_execz .LBB56_1464
.LBB56_1419:
	v_cmp_gt_i16_e32 vcc, 5, v3
	s_cbranch_vccnz .LBB56_1424
; %bb.1420:
	v_cmp_gt_i16_e32 vcc, 8, v3
	s_cbranch_vccnz .LBB56_1425
; %bb.1421:
	;; [unrolled: 3-line block ×3, first 2 shown]
	v_cmp_lt_i16_e32 vcc, 9, v3
	s_cbranch_vccz .LBB56_1427
; %bb.1423:
	s_waitcnt vmcnt(0)
	global_load_dwordx2 v[8:9], v[4:5], off
	s_mov_b64 s[12:13], 0
	s_waitcnt vmcnt(0)
	v_cvt_f32_f64_e32 v2, v[8:9]
	v_cvt_f16_f32_e32 v8, v2
	s_branch .LBB56_1428
.LBB56_1424:
                                        ; implicit-def: $vgpr8
	s_branch .LBB56_1445
.LBB56_1425:
                                        ; implicit-def: $vgpr8
	s_branch .LBB56_1434
.LBB56_1426:
	s_mov_b64 s[12:13], -1
                                        ; implicit-def: $vgpr8
	s_branch .LBB56_1431
.LBB56_1427:
	s_mov_b64 s[12:13], -1
                                        ; implicit-def: $vgpr8
.LBB56_1428:
	s_andn2_b64 vcc, exec, s[12:13]
	s_cbranch_vccnz .LBB56_1430
; %bb.1429:
	s_waitcnt vmcnt(0)
	global_load_dword v2, v[4:5], off
	s_waitcnt vmcnt(0)
	v_cvt_f16_f32_e32 v8, v2
.LBB56_1430:
	s_mov_b64 s[12:13], 0
.LBB56_1431:
	s_andn2_b64 vcc, exec, s[12:13]
	s_cbranch_vccnz .LBB56_1433
; %bb.1432:
	s_waitcnt vmcnt(0)
	global_load_dword v8, v[4:5], off
.LBB56_1433:
	s_cbranch_execnz .LBB56_1444
.LBB56_1434:
	v_cmp_gt_i16_e32 vcc, 6, v3
	s_cbranch_vccnz .LBB56_1437
; %bb.1435:
	v_cmp_lt_i16_e32 vcc, 6, v3
	s_cbranch_vccz .LBB56_1438
; %bb.1436:
	s_waitcnt vmcnt(0)
	global_load_dwordx2 v[8:9], v[4:5], off
	s_mov_b64 s[12:13], 0
	s_waitcnt vmcnt(0)
	v_cvt_f32_f64_e32 v2, v[8:9]
	v_cvt_f16_f32_e32 v8, v2
	s_branch .LBB56_1439
.LBB56_1437:
	s_mov_b64 s[12:13], -1
                                        ; implicit-def: $vgpr8
	s_branch .LBB56_1442
.LBB56_1438:
	s_mov_b64 s[12:13], -1
                                        ; implicit-def: $vgpr8
.LBB56_1439:
	s_andn2_b64 vcc, exec, s[12:13]
	s_cbranch_vccnz .LBB56_1441
; %bb.1440:
	s_waitcnt vmcnt(0)
	global_load_dword v2, v[4:5], off
	s_waitcnt vmcnt(0)
	v_cvt_f16_f32_e32 v8, v2
.LBB56_1441:
	s_mov_b64 s[12:13], 0
.LBB56_1442:
	s_andn2_b64 vcc, exec, s[12:13]
	s_cbranch_vccnz .LBB56_1444
; %bb.1443:
	s_waitcnt vmcnt(0)
	global_load_ushort v8, v[4:5], off
.LBB56_1444:
	s_cbranch_execnz .LBB56_1463
.LBB56_1445:
	v_cmp_gt_i16_e32 vcc, 2, v3
	s_cbranch_vccnz .LBB56_1449
; %bb.1446:
	v_cmp_gt_i16_e32 vcc, 3, v3
	s_cbranch_vccnz .LBB56_1450
; %bb.1447:
	v_cmp_lt_i16_e32 vcc, 3, v3
	s_cbranch_vccz .LBB56_1451
; %bb.1448:
	s_waitcnt vmcnt(0)
	global_load_dwordx2 v[8:9], v[4:5], off
	s_mov_b64 s[12:13], 0
	s_waitcnt vmcnt(0)
	v_xor_b32_e32 v7, v8, v9
	v_ffbh_i32_e32 v2, v9
	v_ashrrev_i32_e32 v7, 31, v7
	v_add_u32_e32 v2, -1, v2
	v_add_u32_e32 v7, 32, v7
	v_min_u32_e32 v2, v2, v7
	v_lshlrev_b64 v[8:9], v2, v[8:9]
	v_min_u32_e32 v7, 1, v8
	v_or_b32_e32 v7, v9, v7
	v_cvt_f32_i32_e32 v7, v7
	v_sub_u32_e32 v2, 32, v2
	v_ldexp_f32 v2, v7, v2
	v_cvt_f16_f32_e32 v8, v2
	s_branch .LBB56_1452
.LBB56_1449:
                                        ; implicit-def: $vgpr8
	s_branch .LBB56_1458
.LBB56_1450:
	s_mov_b64 s[12:13], -1
                                        ; implicit-def: $vgpr8
	s_branch .LBB56_1455
.LBB56_1451:
	s_mov_b64 s[12:13], -1
                                        ; implicit-def: $vgpr8
.LBB56_1452:
	s_andn2_b64 vcc, exec, s[12:13]
	s_cbranch_vccnz .LBB56_1454
; %bb.1453:
	s_waitcnt vmcnt(0)
	global_load_dword v2, v[4:5], off
	s_waitcnt vmcnt(0)
	v_cvt_f32_i32_e32 v2, v2
	v_cvt_f16_f32_e32 v8, v2
.LBB56_1454:
	s_mov_b64 s[12:13], 0
.LBB56_1455:
	s_andn2_b64 vcc, exec, s[12:13]
	s_cbranch_vccnz .LBB56_1457
; %bb.1456:
	s_waitcnt vmcnt(0)
	global_load_ushort v2, v[4:5], off
	s_waitcnt vmcnt(0)
	v_cvt_f16_i16_e32 v8, v2
.LBB56_1457:
	s_cbranch_execnz .LBB56_1463
.LBB56_1458:
	v_cmp_lt_i16_e32 vcc, 0, v3
	s_cbranch_vccz .LBB56_1460
; %bb.1459:
	s_waitcnt vmcnt(0)
	global_load_sbyte v2, v[4:5], off
	s_mov_b64 s[12:13], 0
	s_waitcnt vmcnt(0)
	v_cvt_f16_i16_e32 v8, v2
	s_branch .LBB56_1461
.LBB56_1460:
	s_mov_b64 s[12:13], -1
                                        ; implicit-def: $vgpr8
.LBB56_1461:
	s_andn2_b64 vcc, exec, s[12:13]
	s_cbranch_vccnz .LBB56_1463
; %bb.1462:
	s_waitcnt vmcnt(0)
	global_load_ubyte v2, v[4:5], off
	s_waitcnt vmcnt(0)
	v_cvt_f16_u16_e32 v8, v2
.LBB56_1463:
	s_or_b64 s[16:17], s[16:17], exec
.LBB56_1464:
	s_or_b64 exec, exec, s[0:1]
	s_mov_b64 s[18:19], 0
	s_mov_b64 s[14:15], 0
                                        ; implicit-def: $vgpr5
                                        ; implicit-def: $vgpr2_vgpr3
                                        ; implicit-def: $vgpr4
	s_and_saveexec_b64 s[12:13], s[16:17]
	s_cbranch_execz .LBB56_1482
; %bb.1465:
	s_waitcnt vmcnt(0)
	v_mul_f16_e32 v2, v1, v8
	v_cmp_lt_f16_e32 vcc, 0, v1
	v_cndmask_b32_e32 v4, v2, v1, vcc
	v_mov_b32_e32 v1, s9
	v_add_co_u32_e32 v2, vcc, s8, v0
	v_addc_co_u32_e32 v3, vcc, 0, v1, vcc
	v_and_b32_e32 v5, 0xff, v6
	v_cmp_gt_i16_e32 vcc, 11, v5
	s_cbranch_vccnz .LBB56_1485
; %bb.1466:
	v_cmp_lt_i16_e32 vcc, 25, v5
	s_mov_b64 s[14:15], -1
	s_mov_b64 s[0:1], s[36:37]
	s_cbranch_vccz .LBB56_1503
; %bb.1467:
	v_cmp_lt_i16_e32 vcc, 28, v5
	s_mov_b64 s[8:9], -1
	s_mov_b64 s[0:1], s[36:37]
	s_cbranch_vccz .LBB56_1487
; %bb.1468:
	v_cmp_lt_i16_e32 vcc, 43, v5
	s_mov_b64 s[0:1], s[36:37]
	s_cbranch_vccz .LBB56_1479
; %bb.1469:
	v_cmp_lt_i16_e32 vcc, 45, v5
	s_mov_b64 s[0:1], s[36:37]
	s_cbranch_vccz .LBB56_1473
; %bb.1470:
	v_cmp_eq_u16_e32 vcc, 46, v5
	s_mov_b64 s[0:1], -1
	s_cbranch_vccz .LBB56_1472
; %bb.1471:
	v_cvt_f32_f16_e32 v0, v4
	s_movk_i32 s0, 0x7fff
	v_mov_b32_e32 v1, 0x7fc0
	v_cmp_o_f16_e32 vcc, v4, v4
	v_bfe_u32 v6, v0, 16, 1
	v_add3_u32 v0, v0, v6, s0
	v_lshrrev_b32_e32 v0, 16, v0
	v_cndmask_b32_e32 v0, v1, v0, vcc
	global_store_dword v[2:3], v0, off
	s_mov_b64 s[0:1], 0
.LBB56_1472:
	s_mov_b64 s[8:9], 0
.LBB56_1473:
	s_and_b64 vcc, exec, s[8:9]
	s_cbranch_vccz .LBB56_1478
; %bb.1474:
	v_cmp_eq_u16_e32 vcc, 44, v5
	s_mov_b64 s[0:1], -1
	s_cbranch_vccz .LBB56_1478
; %bb.1475:
	v_cvt_f32_f16_e32 v0, v4
	s_movk_i32 s0, 0xff
	v_mov_b32_e32 v6, 0xff
	v_bfe_u32 v1, v0, 23, 8
	v_cmp_ne_u32_e32 vcc, s0, v1
	s_and_saveexec_b64 s[8:9], vcc
; %bb.1476:
	s_mov_b32 s0, 0x3fffff
	v_lshrrev_b32_e32 v6, 23, v0
	v_and_b32_e32 v7, 0x400000, v0
	v_and_or_b32 v0, v0, s0, v1
	v_cmp_ne_u32_e32 vcc, 0, v7
	v_cmp_ne_u32_e64 s[0:1], 0, v0
	s_and_b64 s[0:1], vcc, s[0:1]
	v_cndmask_b32_e64 v0, 0, 1, s[0:1]
	v_add_u32_e32 v6, v6, v0
; %bb.1477:
	s_or_b64 exec, exec, s[8:9]
	s_mov_b64 s[0:1], 0
	global_store_byte v[2:3], v6, off
.LBB56_1478:
	s_mov_b64 s[8:9], 0
.LBB56_1479:
	s_and_b64 vcc, exec, s[8:9]
	s_cbranch_vccz .LBB56_1486
; %bb.1480:
	v_cmp_eq_u16_e32 vcc, 29, v5
	s_mov_b64 s[0:1], -1
	s_cbranch_vccz .LBB56_1486
; %bb.1481:
	v_cvt_f32_f16_e32 v0, v4
	v_mov_b32_e32 v1, 0
	s_mov_b64 s[0:1], 0
	s_mov_b64 s[8:9], 0
	v_cvt_u32_f32_e32 v0, v0
	global_store_dwordx2 v[2:3], v[0:1], off
	s_branch .LBB56_1487
.LBB56_1482:
	s_or_b64 exec, exec, s[12:13]
	s_and_saveexec_b64 s[0:1], s[36:37]
	s_cbranch_execnz .LBB56_1545
.LBB56_1483:
	s_or_b64 exec, exec, s[0:1]
	s_and_saveexec_b64 s[0:1], s[18:19]
	s_xor_b64 s[0:1], exec, s[0:1]
	s_cbranch_execz .LBB56_1546
.LBB56_1484:
	s_waitcnt vmcnt(0)
	v_and_b32_e32 v0, 0x7fff, v4
	v_cmp_ne_u16_e32 vcc, 0, v0
	v_cndmask_b32_e64 v0, 0, 1, vcc
	global_store_byte v[2:3], v0, off
	s_or_b64 exec, exec, s[0:1]
	s_and_saveexec_b64 s[0:1], s[14:15]
	s_xor_b64 s[0:1], exec, s[0:1]
	s_cbranch_execz .LBB56_1584
	s_branch .LBB56_1547
.LBB56_1485:
	s_mov_b64 s[16:17], 0
	s_mov_b64 s[8:9], -1
	s_mov_b64 s[0:1], s[36:37]
	s_branch .LBB56_1544
.LBB56_1486:
	s_mov_b64 s[8:9], 0
.LBB56_1487:
	s_and_b64 vcc, exec, s[8:9]
	s_cbranch_vccz .LBB56_1502
; %bb.1488:
	v_cmp_gt_i16_e32 vcc, 27, v5
	s_mov_b64 s[8:9], -1
	s_cbranch_vccnz .LBB56_1494
; %bb.1489:
	v_cmp_lt_i16_e32 vcc, 27, v5
	s_cbranch_vccz .LBB56_1491
; %bb.1490:
	v_cvt_f32_f16_e32 v0, v4
	s_mov_b64 s[8:9], 0
	v_cvt_u32_f32_e32 v0, v0
	global_store_dword v[2:3], v0, off
.LBB56_1491:
	s_andn2_b64 vcc, exec, s[8:9]
	s_cbranch_vccnz .LBB56_1493
; %bb.1492:
	v_cvt_u16_f16_e32 v0, v4
	global_store_short v[2:3], v0, off
.LBB56_1493:
	s_mov_b64 s[8:9], 0
.LBB56_1494:
	s_andn2_b64 vcc, exec, s[8:9]
	s_cbranch_vccnz .LBB56_1502
; %bb.1495:
	v_cvt_f32_f16_e32 v0, v4
	s_mov_b32 s8, 0x43800000
	v_mov_b32_e32 v6, 0x80
	v_and_b32_e32 v1, 0x7fffffff, v0
	v_cmp_gt_u32_e32 vcc, s8, v1
	s_and_saveexec_b64 s[8:9], vcc
	s_cbranch_execz .LBB56_1501
; %bb.1496:
	s_mov_b32 s14, 0x3bffffff
	v_cmp_lt_u32_e32 vcc, s14, v1
	s_mov_b64 s[14:15], 0
                                        ; implicit-def: $vgpr1
	s_and_saveexec_b64 s[16:17], vcc
	s_xor_b64 s[16:17], exec, s[16:17]
	s_cbranch_execz .LBB56_1639
; %bb.1497:
	v_bfe_u32 v1, v0, 20, 1
	s_mov_b32 s18, 0x487ffff
	v_add3_u32 v1, v0, v1, s18
	s_mov_b64 s[14:15], exec
	v_lshrrev_b32_e32 v1, 20, v1
	s_or_saveexec_b64 s[16:17], s[16:17]
                                        ; implicit-def: $sgpr18
	s_xor_b64 exec, exec, s[16:17]
	s_cbranch_execnz .LBB56_1640
.LBB56_1498:
	s_or_b64 exec, exec, s[16:17]
	v_mov_b32_e32 v6, s18
	s_and_saveexec_b64 s[16:17], s[14:15]
.LBB56_1499:
	v_lshrrev_b32_e32 v0, 24, v0
	s_movk_i32 s14, 0x80
	v_and_or_b32 v6, v0, s14, v1
.LBB56_1500:
	s_or_b64 exec, exec, s[16:17]
.LBB56_1501:
	s_or_b64 exec, exec, s[8:9]
	global_store_byte v[2:3], v6, off
.LBB56_1502:
	s_mov_b64 s[14:15], 0
.LBB56_1503:
	s_mov_b64 s[8:9], 0
	s_and_b64 vcc, exec, s[14:15]
	s_cbranch_vccz .LBB56_1543
; %bb.1504:
	v_cmp_lt_i16_e32 vcc, 22, v5
	s_mov_b64 s[14:15], -1
	s_cbranch_vccz .LBB56_1536
; %bb.1505:
	v_cmp_gt_i16_e32 vcc, 24, v5
	s_cbranch_vccnz .LBB56_1525
; %bb.1506:
	v_cmp_lt_i16_e32 vcc, 24, v5
	s_cbranch_vccz .LBB56_1514
; %bb.1507:
	v_cvt_f32_f16_e32 v0, v4
	s_mov_b32 s14, 0x47800000
	v_mov_b32_e32 v6, 0x80
	v_and_b32_e32 v1, 0x7fffffff, v0
	v_cmp_gt_u32_e32 vcc, s14, v1
	s_and_saveexec_b64 s[14:15], vcc
	s_cbranch_execz .LBB56_1513
; %bb.1508:
	s_mov_b32 s16, 0x37ffffff
	v_cmp_lt_u32_e32 vcc, s16, v1
	s_mov_b64 s[16:17], 0
                                        ; implicit-def: $vgpr1
	s_and_saveexec_b64 s[18:19], vcc
	s_xor_b64 s[18:19], exec, s[18:19]
	s_cbranch_execz .LBB56_1764
; %bb.1509:
	v_bfe_u32 v1, v0, 21, 1
	s_mov_b32 s24, 0x88fffff
	v_add3_u32 v1, v0, v1, s24
	s_mov_b64 s[16:17], exec
	v_lshrrev_b32_e32 v1, 21, v1
	s_or_saveexec_b64 s[18:19], s[18:19]
                                        ; implicit-def: $sgpr24
	s_xor_b64 exec, exec, s[18:19]
	s_cbranch_execnz .LBB56_1765
.LBB56_1510:
	s_or_b64 exec, exec, s[18:19]
	v_mov_b32_e32 v6, s24
	s_and_saveexec_b64 s[18:19], s[16:17]
.LBB56_1511:
	v_lshrrev_b32_e32 v0, 24, v0
	s_movk_i32 s16, 0x80
	v_and_or_b32 v6, v0, s16, v1
.LBB56_1512:
	s_or_b64 exec, exec, s[18:19]
.LBB56_1513:
	s_or_b64 exec, exec, s[14:15]
	s_mov_b64 s[14:15], 0
	global_store_byte v[2:3], v6, off
.LBB56_1514:
	s_and_b64 vcc, exec, s[14:15]
	s_cbranch_vccz .LBB56_1524
; %bb.1515:
	v_cvt_f32_f16_e32 v0, v4
	s_mov_b32 s14, 0x43f00000
                                        ; implicit-def: $vgpr1
	v_and_b32_e32 v6, 0x7fffffff, v0
	v_cmp_gt_u32_e32 vcc, s14, v6
	s_and_saveexec_b64 s[14:15], vcc
	s_xor_b64 s[14:15], exec, s[14:15]
	s_cbranch_execz .LBB56_1521
; %bb.1516:
	s_mov_b32 s16, 0x3c7fffff
	v_cmp_lt_u32_e32 vcc, s16, v6
                                        ; implicit-def: $vgpr1
	s_and_saveexec_b64 s[16:17], vcc
	s_xor_b64 s[16:17], exec, s[16:17]
; %bb.1517:
	v_bfe_u32 v1, v0, 20, 1
	s_mov_b32 s18, 0x407ffff
	v_add3_u32 v1, v0, v1, s18
	v_lshrrev_b32_e32 v6, 20, v1
	v_and_b32_e32 v1, 0xff00000, v1
	s_mov_b32 s18, 0x7f00000
	v_mov_b32_e32 v7, 0x7e
	v_cmp_ne_u32_e32 vcc, s18, v1
	v_cndmask_b32_e32 v1, v7, v6, vcc
; %bb.1518:
	s_andn2_saveexec_b64 s[16:17], s[16:17]
; %bb.1519:
	s_mov_b32 s18, 0x46800000
	v_add_f32_e64 v1, |v0|, s18
; %bb.1520:
	s_or_b64 exec, exec, s[16:17]
                                        ; implicit-def: $vgpr6
.LBB56_1521:
	s_andn2_saveexec_b64 s[14:15], s[14:15]
; %bb.1522:
	s_mov_b32 s16, 0x7f800000
	v_mov_b32_e32 v1, 0x7e
	v_mov_b32_e32 v7, 0x7f
	v_cmp_lt_u32_e32 vcc, s16, v6
	v_cndmask_b32_e32 v1, v1, v7, vcc
; %bb.1523:
	s_or_b64 exec, exec, s[14:15]
	v_lshrrev_b32_e32 v0, 24, v0
	s_movk_i32 s14, 0x80
	v_and_or_b32 v0, v0, s14, v1
	global_store_byte v[2:3], v0, off
.LBB56_1524:
	s_mov_b64 s[14:15], 0
.LBB56_1525:
	s_andn2_b64 vcc, exec, s[14:15]
	s_cbranch_vccnz .LBB56_1535
; %bb.1526:
	v_cvt_f32_f16_e32 v0, v4
	s_mov_b32 s14, 0x47800000
                                        ; implicit-def: $vgpr1
	v_and_b32_e32 v6, 0x7fffffff, v0
	v_cmp_gt_u32_e32 vcc, s14, v6
	s_and_saveexec_b64 s[14:15], vcc
	s_xor_b64 s[14:15], exec, s[14:15]
	s_cbranch_execz .LBB56_1532
; %bb.1527:
	s_mov_b32 s16, 0x387fffff
	v_cmp_lt_u32_e32 vcc, s16, v6
                                        ; implicit-def: $vgpr1
	s_and_saveexec_b64 s[16:17], vcc
	s_xor_b64 s[16:17], exec, s[16:17]
; %bb.1528:
	v_bfe_u32 v1, v0, 21, 1
	s_mov_b32 s18, 0x80fffff
	v_add3_u32 v1, v0, v1, s18
	v_lshrrev_b32_e32 v1, 21, v1
; %bb.1529:
	s_andn2_saveexec_b64 s[16:17], s[16:17]
; %bb.1530:
	s_mov_b32 s18, 0x43000000
	v_add_f32_e64 v1, |v0|, s18
; %bb.1531:
	s_or_b64 exec, exec, s[16:17]
                                        ; implicit-def: $vgpr6
.LBB56_1532:
	s_andn2_saveexec_b64 s[14:15], s[14:15]
; %bb.1533:
	s_mov_b32 s16, 0x7f800000
	v_mov_b32_e32 v1, 0x7c
	v_mov_b32_e32 v7, 0x7f
	v_cmp_lt_u32_e32 vcc, s16, v6
	v_cndmask_b32_e32 v1, v1, v7, vcc
; %bb.1534:
	s_or_b64 exec, exec, s[14:15]
	v_lshrrev_b32_e32 v0, 24, v0
	s_movk_i32 s14, 0x80
	v_and_or_b32 v0, v0, s14, v1
	global_store_byte v[2:3], v0, off
.LBB56_1535:
	s_mov_b64 s[14:15], 0
.LBB56_1536:
	s_andn2_b64 vcc, exec, s[14:15]
	s_mov_b64 s[16:17], 0
	s_cbranch_vccnz .LBB56_1544
; %bb.1537:
	v_cmp_lt_i16_e32 vcc, 14, v5
	s_mov_b64 s[14:15], -1
	s_cbranch_vccz .LBB56_1541
; %bb.1538:
	v_cmp_eq_u16_e32 vcc, 15, v5
	s_mov_b64 s[0:1], -1
	s_cbranch_vccz .LBB56_1540
; %bb.1539:
	v_cvt_f32_f16_e32 v0, v4
	s_movk_i32 s0, 0x7fff
	v_mov_b32_e32 v1, 0x7fc0
	v_cmp_o_f16_e32 vcc, v4, v4
	v_bfe_u32 v6, v0, 16, 1
	v_add3_u32 v0, v0, v6, s0
	v_lshrrev_b32_e32 v0, 16, v0
	v_cndmask_b32_e32 v0, v1, v0, vcc
	global_store_short v[2:3], v0, off
	s_mov_b64 s[0:1], 0
.LBB56_1540:
	s_mov_b64 s[14:15], 0
.LBB56_1541:
	s_and_b64 vcc, exec, s[14:15]
	s_cbranch_vccz .LBB56_1544
; %bb.1542:
	v_cmp_ne_u16_e32 vcc, 11, v5
	s_andn2_b64 s[0:1], s[0:1], exec
	s_and_b64 s[14:15], vcc, exec
	s_mov_b64 s[16:17], -1
	s_or_b64 s[0:1], s[0:1], s[14:15]
	s_branch .LBB56_1544
.LBB56_1543:
	s_mov_b64 s[16:17], 0
.LBB56_1544:
	s_and_b64 s[14:15], s[8:9], exec
	s_andn2_b64 s[8:9], s[36:37], exec
	s_and_b64 s[0:1], s[0:1], exec
	s_and_b64 s[18:19], s[16:17], exec
	s_or_b64 s[36:37], s[8:9], s[0:1]
	s_or_b64 exec, exec, s[12:13]
	s_and_saveexec_b64 s[0:1], s[36:37]
	s_cbranch_execz .LBB56_1483
.LBB56_1545:
	s_or_b64 s[10:11], s[10:11], exec
	s_andn2_b64 s[18:19], s[18:19], exec
	s_trap 2
	s_or_b64 exec, exec, s[0:1]
	s_and_saveexec_b64 s[0:1], s[18:19]
	s_xor_b64 s[0:1], exec, s[0:1]
	s_cbranch_execnz .LBB56_1484
.LBB56_1546:
	s_or_b64 exec, exec, s[0:1]
	s_and_saveexec_b64 s[0:1], s[14:15]
	s_xor_b64 s[0:1], exec, s[0:1]
	s_cbranch_execz .LBB56_1584
.LBB56_1547:
	v_cmp_gt_i16_e32 vcc, 5, v5
	s_mov_b64 s[8:9], -1
	s_cbranch_vccnz .LBB56_1568
; %bb.1548:
	v_cmp_gt_i16_e32 vcc, 8, v5
	s_cbranch_vccnz .LBB56_1558
; %bb.1549:
	v_cmp_gt_i16_e32 vcc, 9, v5
	s_cbranch_vccnz .LBB56_1555
; %bb.1550:
	v_cmp_lt_i16_e32 vcc, 9, v5
	s_cbranch_vccz .LBB56_1552
; %bb.1551:
	s_waitcnt vmcnt(0)
	v_cvt_f32_f16_e32 v0, v4
	v_mov_b32_e32 v8, 0
	v_mov_b32_e32 v9, v8
	s_mov_b64 s[8:9], 0
	v_cvt_f64_f32_e32 v[6:7], v0
	global_store_dwordx4 v[2:3], v[6:9], off
.LBB56_1552:
	s_andn2_b64 vcc, exec, s[8:9]
	s_cbranch_vccnz .LBB56_1554
; %bb.1553:
	s_waitcnt vmcnt(0)
	v_cvt_f32_f16_e32 v0, v4
	v_mov_b32_e32 v1, 0
	global_store_dwordx2 v[2:3], v[0:1], off
.LBB56_1554:
	s_mov_b64 s[8:9], 0
.LBB56_1555:
	s_andn2_b64 vcc, exec, s[8:9]
	s_cbranch_vccnz .LBB56_1557
; %bb.1556:
	s_waitcnt vmcnt(0)
	v_and_b32_e32 v0, 0xffff, v4
	global_store_dword v[2:3], v0, off
.LBB56_1557:
	s_mov_b64 s[8:9], 0
.LBB56_1558:
	s_andn2_b64 vcc, exec, s[8:9]
	s_cbranch_vccnz .LBB56_1567
; %bb.1559:
	v_cmp_gt_i16_e32 vcc, 6, v5
	s_mov_b64 s[8:9], -1
	s_cbranch_vccnz .LBB56_1565
; %bb.1560:
	v_cmp_lt_i16_e32 vcc, 6, v5
	s_cbranch_vccz .LBB56_1562
; %bb.1561:
	s_waitcnt vmcnt(0)
	v_cvt_f32_f16_e32 v0, v4
	s_mov_b64 s[8:9], 0
	v_cvt_f64_f32_e32 v[0:1], v0
	global_store_dwordx2 v[2:3], v[0:1], off
.LBB56_1562:
	s_andn2_b64 vcc, exec, s[8:9]
	s_cbranch_vccnz .LBB56_1564
; %bb.1563:
	s_waitcnt vmcnt(0)
	v_cvt_f32_f16_e32 v0, v4
	global_store_dword v[2:3], v0, off
.LBB56_1564:
	s_mov_b64 s[8:9], 0
.LBB56_1565:
	s_andn2_b64 vcc, exec, s[8:9]
	s_cbranch_vccnz .LBB56_1567
; %bb.1566:
	s_waitcnt vmcnt(0)
	global_store_short v[2:3], v4, off
.LBB56_1567:
	s_mov_b64 s[8:9], 0
.LBB56_1568:
	s_andn2_b64 vcc, exec, s[8:9]
	s_cbranch_vccnz .LBB56_1584
; %bb.1569:
	v_cmp_gt_i16_e32 vcc, 2, v5
	s_mov_b64 s[8:9], -1
	s_cbranch_vccnz .LBB56_1579
; %bb.1570:
	v_cmp_gt_i16_e32 vcc, 3, v5
	s_cbranch_vccnz .LBB56_1576
; %bb.1571:
	v_cmp_lt_i16_e32 vcc, 3, v5
	s_cbranch_vccz .LBB56_1573
; %bb.1572:
	s_waitcnt vmcnt(0)
	v_cvt_f32_f16_e32 v0, v4
	s_mov_b64 s[8:9], 0
	v_cvt_i32_f32_e32 v0, v0
	v_ashrrev_i32_e32 v1, 31, v0
	global_store_dwordx2 v[2:3], v[0:1], off
.LBB56_1573:
	s_andn2_b64 vcc, exec, s[8:9]
	s_cbranch_vccnz .LBB56_1575
; %bb.1574:
	s_waitcnt vmcnt(0)
	v_cvt_f32_f16_e32 v0, v4
	v_cvt_i32_f32_e32 v0, v0
	global_store_dword v[2:3], v0, off
.LBB56_1575:
	s_mov_b64 s[8:9], 0
.LBB56_1576:
	s_andn2_b64 vcc, exec, s[8:9]
	s_cbranch_vccnz .LBB56_1578
; %bb.1577:
	s_waitcnt vmcnt(0)
	v_cvt_i16_f16_e32 v0, v4
	global_store_short v[2:3], v0, off
.LBB56_1578:
	s_mov_b64 s[8:9], 0
.LBB56_1579:
	s_andn2_b64 vcc, exec, s[8:9]
	s_cbranch_vccnz .LBB56_1584
; %bb.1580:
	v_cmp_lt_i16_e32 vcc, 0, v5
	s_mov_b64 s[8:9], -1
	s_cbranch_vccz .LBB56_1582
; %bb.1581:
	s_waitcnt vmcnt(0)
	v_cvt_i16_f16_e32 v0, v4
	s_mov_b64 s[8:9], 0
	global_store_byte v[2:3], v0, off
.LBB56_1582:
	s_andn2_b64 vcc, exec, s[8:9]
	s_cbranch_vccnz .LBB56_1584
; %bb.1583:
	s_waitcnt vmcnt(0)
	v_cvt_f32_f16_e32 v0, v4
	v_cvt_i32_f32_e32 v0, v0
	global_store_byte v[2:3], v0, off
.LBB56_1584:
	s_or_b64 exec, exec, s[0:1]
	s_and_b64 s[12:13], s[10:11], exec
                                        ; implicit-def: $vgpr24
                                        ; implicit-def: $vgpr8
.LBB56_1585:
	s_or_saveexec_b64 s[14:15], s[22:23]
	s_mov_b64 s[0:1], 0
                                        ; implicit-def: $vgpr0_vgpr1
                                        ; implicit-def: $vgpr3
                                        ; implicit-def: $vgpr2
	s_xor_b64 exec, exec, s[14:15]
	s_cbranch_execz .LBB56_3115
; %bb.1586:
	v_cndmask_b32_e64 v0, 0, 1, s[20:21]
	v_cmp_ne_u32_e64 s[0:1], 1, v0
	s_andn2_b64 vcc, exec, s[20:21]
	s_cbranch_vccnz .LBB56_1592
; %bb.1587:
	s_cmp_lg_u32 s33, 0
	v_mov_b32_e32 v20, 0
	v_mov_b32_e32 v22, 0
	;; [unrolled: 1-line block ×3, first 2 shown]
	s_cbranch_scc0 .LBB56_1593
; %bb.1588:
	s_min_u32 s8, s68, 15
	s_add_i32 s6, s8, 1
	s_and_b32 s9, s6, 30
	s_add_u32 s6, s2, 0xffffffec
	s_addc_u32 s7, s3, -1
	v_mov_b32_e32 v6, 0
	s_waitcnt vmcnt(0)
	v_mov_b32_e32 v0, v8
	v_mov_b32_e32 v22, 0
	;; [unrolled: 1-line block ×3, first 2 shown]
.LBB56_1589:                            ; =>This Inner Loop Header: Depth=1
	s_mov_b64 s[10:11], s[6:7]
	s_load_dwordx4 s[16:19], s[10:11], 0x18
	s_load_dwordx2 s[24:25], s[10:11], 0x28
	s_load_dwordx2 s[26:27], s[10:11], 0xe8
	s_load_dwordx4 s[20:23], s[10:11], 0xd8
	s_add_u32 s6, s10, 24
	s_waitcnt lgkmcnt(0)
	v_mul_hi_u32 v1, s17, v0
	v_add_u32_e32 v1, v0, v1
	v_lshrrev_b32_e32 v1, s18, v1
	v_mul_lo_u32 v2, v1, s16
	v_mul_hi_u32 v3, s24, v1
	v_sub_u32_e32 v0, v0, v2
	v_add_u32_e32 v2, v1, v3
	v_mul_lo_u32 v3, v0, s20
	v_mul_lo_u32 v4, v0, s21
	;; [unrolled: 1-line block ×3, first 2 shown]
	v_lshrrev_b32_e32 v0, s25, v2
	v_mul_lo_u32 v2, v0, s19
	v_sub_u32_e32 v1, v1, v2
	s_addc_u32 s7, s11, 0
	s_add_i32 s9, s9, -2
	v_mul_lo_u32 v2, v1, s23
	v_mul_lo_u32 v7, v1, s26
	;; [unrolled: 1-line block ×3, first 2 shown]
	s_cmp_lg_u32 s9, 0
	v_add3_u32 v6, v3, v6, v2
	v_add3_u32 v20, v5, v20, v1
	;; [unrolled: 1-line block ×3, first 2 shown]
	s_cbranch_scc1 .LBB56_1589
; %bb.1590:
	s_bitcmp1_b32 s8, 0
	s_cselect_b64 s[8:9], -1, 0
	s_and_b64 vcc, exec, s[8:9]
	s_cbranch_vccnz .LBB56_1593
; %bb.1591:
	s_load_dwordx2 s[8:9], s[6:7], 0x18
	s_load_dword s16, s[6:7], 0x20
	s_load_dword s17, s[6:7], 0xe0
	s_load_dwordx2 s[10:11], s[6:7], 0xd8
	s_waitcnt lgkmcnt(0)
	v_mul_hi_u32 v1, s9, v0
	v_add_u32_e32 v1, v0, v1
	v_lshrrev_b32_e32 v1, s16, v1
	v_mul_lo_u32 v1, v1, s8
	v_sub_u32_e32 v0, v0, v1
	v_mad_u64_u32 v[6:7], s[6:7], v0, s10, v[6:7]
	v_mad_u64_u32 v[22:23], s[6:7], v0, s11, v[22:23]
	;; [unrolled: 1-line block ×3, first 2 shown]
	s_cbranch_execz .LBB56_1594
	s_branch .LBB56_1596
.LBB56_1592:
                                        ; implicit-def: $vgpr20
                                        ; implicit-def: $vgpr22
                                        ; implicit-def: $vgpr6
	s_branch .LBB56_1594
.LBB56_1593:
	s_cbranch_execnz .LBB56_1596
.LBB56_1594:
	s_load_dwordx4 s[8:11], s[2:3], 0x4
	s_load_dwordx4 s[16:19], s[2:3], 0xc4
	s_cmp_lt_u32 s33, 2
	s_waitcnt vmcnt(0) lgkmcnt(0)
	v_mul_hi_u32 v0, s9, v8
	v_add_u32_e32 v0, v8, v0
	v_lshrrev_b32_e32 v0, s10, v0
	v_mul_lo_u32 v1, v0, s8
	v_sub_u32_e32 v1, v8, v1
	v_mul_lo_u32 v6, v1, s16
	v_mul_lo_u32 v20, v1, s18
	;; [unrolled: 1-line block ×3, first 2 shown]
	s_cbranch_scc1 .LBB56_1596
; %bb.1595:
	s_load_dwordx4 s[8:11], s[2:3], 0x10
	s_load_dwordx4 s[16:19], s[2:3], 0xd0
	s_waitcnt lgkmcnt(0)
	v_mul_hi_u32 v1, s9, v0
	v_add_u32_e32 v1, v0, v1
	v_lshrrev_b32_e32 v1, s10, v1
	v_mul_lo_u32 v1, v1, s8
	v_sub_u32_e32 v0, v0, v1
	v_mad_u64_u32 v[6:7], s[6:7], v0, s16, v[6:7]
	v_mad_u64_u32 v[22:23], s[6:7], v0, s17, v[22:23]
	;; [unrolled: 1-line block ×3, first 2 shown]
.LBB56_1596:
	s_and_b64 vcc, exec, s[0:1]
	s_waitcnt vmcnt(0)
	v_add_u32_e32 v0, 0x80, v8
	s_cbranch_vccnz .LBB56_1602
; %bb.1597:
	s_cmp_lg_u32 s33, 0
	v_mov_b32_e32 v16, 0
	v_mov_b32_e32 v18, 0
	v_mov_b32_e32 v4, 0
	s_cbranch_scc0 .LBB56_1603
; %bb.1598:
	s_min_u32 s8, s68, 15
	s_add_i32 s6, s8, 1
	s_and_b32 s9, s6, 30
	s_add_u32 s6, s2, 0xffffffec
	s_addc_u32 s7, s3, -1
	v_mov_b32_e32 v4, 0
	v_mov_b32_e32 v1, v0
	v_mov_b32_e32 v18, 0
	v_mov_b32_e32 v16, 0
.LBB56_1599:                            ; =>This Inner Loop Header: Depth=1
	s_mov_b64 s[10:11], s[6:7]
	s_load_dwordx4 s[16:19], s[10:11], 0x18
	s_load_dwordx2 s[24:25], s[10:11], 0x28
	s_load_dwordx2 s[26:27], s[10:11], 0xe8
	s_load_dwordx4 s[20:23], s[10:11], 0xd8
	s_add_u32 s6, s10, 24
	s_waitcnt lgkmcnt(0)
	v_mul_hi_u32 v2, s17, v1
	v_add_u32_e32 v2, v1, v2
	v_lshrrev_b32_e32 v2, s18, v2
	v_mul_lo_u32 v3, v2, s16
	v_mul_hi_u32 v5, s24, v2
	v_sub_u32_e32 v1, v1, v3
	v_add_u32_e32 v3, v2, v5
	v_mul_lo_u32 v5, v1, s20
	v_mul_lo_u32 v7, v1, s21
	;; [unrolled: 1-line block ×3, first 2 shown]
	v_lshrrev_b32_e32 v1, s25, v3
	v_mul_lo_u32 v3, v1, s19
	v_sub_u32_e32 v2, v2, v3
	s_addc_u32 s7, s11, 0
	s_add_i32 s9, s9, -2
	v_mul_lo_u32 v3, v2, s23
	v_mul_lo_u32 v10, v2, s26
	;; [unrolled: 1-line block ×3, first 2 shown]
	s_cmp_lg_u32 s9, 0
	v_add3_u32 v4, v5, v4, v3
	v_add3_u32 v16, v9, v16, v2
	;; [unrolled: 1-line block ×3, first 2 shown]
	s_cbranch_scc1 .LBB56_1599
; %bb.1600:
	s_bitcmp1_b32 s8, 0
	s_cselect_b64 s[8:9], -1, 0
	s_and_b64 vcc, exec, s[8:9]
	s_cbranch_vccnz .LBB56_1603
; %bb.1601:
	s_load_dwordx2 s[8:9], s[6:7], 0x18
	s_load_dword s16, s[6:7], 0x20
	s_load_dword s17, s[6:7], 0xe0
	s_load_dwordx2 s[10:11], s[6:7], 0xd8
	s_waitcnt lgkmcnt(0)
	v_mul_hi_u32 v2, s9, v1
	v_add_u32_e32 v2, v1, v2
	v_lshrrev_b32_e32 v2, s16, v2
	v_mul_lo_u32 v2, v2, s8
	v_sub_u32_e32 v1, v1, v2
	v_mad_u64_u32 v[4:5], s[6:7], v1, s10, v[4:5]
	v_mad_u64_u32 v[18:19], s[6:7], v1, s11, v[18:19]
	;; [unrolled: 1-line block ×3, first 2 shown]
	s_cbranch_execz .LBB56_1604
	s_branch .LBB56_1606
.LBB56_1602:
                                        ; implicit-def: $vgpr16
                                        ; implicit-def: $vgpr18
                                        ; implicit-def: $vgpr4
	s_branch .LBB56_1604
.LBB56_1603:
	s_cbranch_execnz .LBB56_1606
.LBB56_1604:
	s_load_dwordx4 s[8:11], s[2:3], 0x4
	s_load_dwordx4 s[16:19], s[2:3], 0xc4
	s_cmp_lt_u32 s33, 2
	s_waitcnt lgkmcnt(0)
	v_mul_hi_u32 v1, s9, v0
	v_add_u32_e32 v1, v0, v1
	v_lshrrev_b32_e32 v1, s10, v1
	v_mul_lo_u32 v2, v1, s8
	v_sub_u32_e32 v0, v0, v2
	v_mul_lo_u32 v4, v0, s16
	v_mul_lo_u32 v16, v0, s18
	;; [unrolled: 1-line block ×3, first 2 shown]
	s_cbranch_scc1 .LBB56_1606
; %bb.1605:
	s_load_dwordx4 s[8:11], s[2:3], 0x10
	s_load_dwordx4 s[16:19], s[2:3], 0xd0
	s_waitcnt lgkmcnt(0)
	v_mul_hi_u32 v0, s9, v1
	v_add_u32_e32 v0, v1, v0
	v_lshrrev_b32_e32 v0, s10, v0
	v_mul_lo_u32 v0, v0, s8
	v_sub_u32_e32 v0, v1, v0
	v_mad_u64_u32 v[4:5], s[6:7], v0, s16, v[4:5]
	v_mad_u64_u32 v[18:19], s[6:7], v0, s17, v[18:19]
	;; [unrolled: 1-line block ×3, first 2 shown]
.LBB56_1606:
	s_and_b64 vcc, exec, s[0:1]
	v_add_u32_e32 v0, 0x100, v8
	s_cbranch_vccnz .LBB56_1612
; %bb.1607:
	s_cmp_lg_u32 s33, 0
	v_mov_b32_e32 v12, 0
	v_mov_b32_e32 v14, 0
	;; [unrolled: 1-line block ×3, first 2 shown]
	s_cbranch_scc0 .LBB56_1613
; %bb.1608:
	s_min_u32 s8, s68, 15
	s_add_i32 s6, s8, 1
	s_and_b32 s9, s6, 30
	s_add_u32 s6, s2, 0xffffffec
	s_addc_u32 s7, s3, -1
	v_mov_b32_e32 v2, 0
	v_mov_b32_e32 v1, v0
	v_mov_b32_e32 v14, 0
	v_mov_b32_e32 v12, 0
.LBB56_1609:                            ; =>This Inner Loop Header: Depth=1
	s_mov_b64 s[10:11], s[6:7]
	s_load_dwordx4 s[16:19], s[10:11], 0x18
	s_load_dwordx2 s[24:25], s[10:11], 0x28
	s_load_dwordx2 s[26:27], s[10:11], 0xe8
	s_load_dwordx4 s[20:23], s[10:11], 0xd8
	s_add_u32 s6, s10, 24
	s_waitcnt lgkmcnt(0)
	v_mul_hi_u32 v3, s17, v1
	v_add_u32_e32 v3, v1, v3
	v_lshrrev_b32_e32 v3, s18, v3
	v_mul_lo_u32 v5, v3, s16
	v_mul_hi_u32 v7, s24, v3
	v_sub_u32_e32 v1, v1, v5
	v_add_u32_e32 v5, v3, v7
	v_mul_lo_u32 v7, v1, s20
	v_mul_lo_u32 v8, v1, s21
	;; [unrolled: 1-line block ×3, first 2 shown]
	v_lshrrev_b32_e32 v1, s25, v5
	v_mul_lo_u32 v5, v1, s19
	v_sub_u32_e32 v3, v3, v5
	s_addc_u32 s7, s11, 0
	s_add_i32 s9, s9, -2
	v_mul_lo_u32 v5, v3, s23
	v_mul_lo_u32 v10, v3, s26
	;; [unrolled: 1-line block ×3, first 2 shown]
	s_cmp_lg_u32 s9, 0
	v_add3_u32 v2, v7, v2, v5
	v_add3_u32 v12, v9, v12, v3
	;; [unrolled: 1-line block ×3, first 2 shown]
	s_cbranch_scc1 .LBB56_1609
; %bb.1610:
	s_bitcmp1_b32 s8, 0
	s_cselect_b64 s[8:9], -1, 0
	s_and_b64 vcc, exec, s[8:9]
	s_cbranch_vccnz .LBB56_1613
; %bb.1611:
	s_load_dwordx2 s[8:9], s[6:7], 0x18
	s_load_dword s16, s[6:7], 0x20
	s_load_dword s17, s[6:7], 0xe0
	s_load_dwordx2 s[10:11], s[6:7], 0xd8
	s_waitcnt lgkmcnt(0)
	v_mul_hi_u32 v3, s9, v1
	v_add_u32_e32 v3, v1, v3
	v_lshrrev_b32_e32 v3, s16, v3
	v_mul_lo_u32 v3, v3, s8
	v_sub_u32_e32 v1, v1, v3
	v_mad_u64_u32 v[2:3], s[6:7], v1, s10, v[2:3]
	v_mad_u64_u32 v[14:15], s[6:7], v1, s11, v[14:15]
	;; [unrolled: 1-line block ×3, first 2 shown]
	s_cbranch_execz .LBB56_1614
	s_branch .LBB56_1616
.LBB56_1612:
                                        ; implicit-def: $vgpr12
                                        ; implicit-def: $vgpr14
                                        ; implicit-def: $vgpr2
	s_branch .LBB56_1614
.LBB56_1613:
	s_cbranch_execnz .LBB56_1616
.LBB56_1614:
	s_load_dwordx4 s[8:11], s[2:3], 0x4
	s_load_dwordx4 s[16:19], s[2:3], 0xc4
	s_cmp_lt_u32 s33, 2
	s_waitcnt lgkmcnt(0)
	v_mul_hi_u32 v1, s9, v0
	v_add_u32_e32 v1, v0, v1
	v_lshrrev_b32_e32 v1, s10, v1
	v_mul_lo_u32 v2, v1, s8
	v_sub_u32_e32 v0, v0, v2
	v_mul_lo_u32 v2, v0, s16
	v_mul_lo_u32 v12, v0, s18
	;; [unrolled: 1-line block ×3, first 2 shown]
	s_cbranch_scc1 .LBB56_1616
; %bb.1615:
	s_load_dwordx4 s[8:11], s[2:3], 0x10
	s_load_dwordx4 s[16:19], s[2:3], 0xd0
	s_waitcnt lgkmcnt(0)
	v_mul_hi_u32 v0, s9, v1
	v_add_u32_e32 v0, v1, v0
	v_lshrrev_b32_e32 v0, s10, v0
	v_mul_lo_u32 v0, v0, s8
	v_sub_u32_e32 v0, v1, v0
	v_mad_u64_u32 v[2:3], s[6:7], v0, s16, v[2:3]
	v_mad_u64_u32 v[14:15], s[6:7], v0, s17, v[14:15]
	;; [unrolled: 1-line block ×3, first 2 shown]
.LBB56_1616:
	s_and_b64 vcc, exec, s[0:1]
	s_cbranch_vccnz .LBB56_1622
; %bb.1617:
	s_cmp_lg_u32 s33, 0
	v_mov_b32_e32 v8, 0
	v_mov_b32_e32 v10, 0
	;; [unrolled: 1-line block ×3, first 2 shown]
	s_cbranch_scc0 .LBB56_1623
; %bb.1618:
	s_min_u32 s6, s68, 15
	s_add_i32 s0, s6, 1
	s_and_b32 s7, s0, 30
	s_add_u32 s0, s2, 0xffffffec
	s_addc_u32 s1, s3, -1
	v_mov_b32_e32 v0, 0
	v_mov_b32_e32 v1, v24
	;; [unrolled: 1-line block ×4, first 2 shown]
.LBB56_1619:                            ; =>This Inner Loop Header: Depth=1
	s_mov_b64 s[20:21], s[0:1]
	s_load_dwordx4 s[8:11], s[20:21], 0x18
	s_load_dwordx2 s[22:23], s[20:21], 0x28
	s_load_dwordx2 s[24:25], s[20:21], 0xe8
	s_load_dwordx4 s[16:19], s[20:21], 0xd8
	s_add_u32 s0, s20, 24
	s_waitcnt lgkmcnt(0)
	v_mul_hi_u32 v3, s9, v1
	v_add_u32_e32 v3, v1, v3
	v_lshrrev_b32_e32 v3, s10, v3
	v_mul_lo_u32 v5, v3, s8
	v_mul_hi_u32 v7, s22, v3
	v_sub_u32_e32 v1, v1, v5
	v_add_u32_e32 v5, v3, v7
	v_mul_lo_u32 v7, v1, s16
	v_mul_lo_u32 v9, v1, s17
	;; [unrolled: 1-line block ×3, first 2 shown]
	v_lshrrev_b32_e32 v1, s23, v5
	v_mul_lo_u32 v5, v1, s11
	v_sub_u32_e32 v3, v3, v5
	s_addc_u32 s1, s21, 0
	s_add_i32 s7, s7, -2
	v_mul_lo_u32 v5, v3, s19
	v_mul_lo_u32 v13, v3, s24
	;; [unrolled: 1-line block ×3, first 2 shown]
	s_cmp_lg_u32 s7, 0
	v_add3_u32 v0, v7, v0, v5
	v_add3_u32 v8, v11, v8, v3
	;; [unrolled: 1-line block ×3, first 2 shown]
	s_cbranch_scc1 .LBB56_1619
; %bb.1620:
	s_bitcmp1_b32 s6, 0
	s_cselect_b64 s[6:7], -1, 0
	s_and_b64 vcc, exec, s[6:7]
	s_cbranch_vccnz .LBB56_1623
; %bb.1621:
	s_load_dwordx2 s[6:7], s[0:1], 0x18
	s_load_dword s10, s[0:1], 0x20
	s_load_dword s11, s[0:1], 0xe0
	s_load_dwordx2 s[8:9], s[0:1], 0xd8
	s_waitcnt lgkmcnt(0)
	v_mul_hi_u32 v3, s7, v1
	v_add_u32_e32 v3, v1, v3
	v_lshrrev_b32_e32 v3, s10, v3
	v_mul_lo_u32 v3, v3, s6
	v_sub_u32_e32 v3, v1, v3
	v_mad_u64_u32 v[0:1], s[0:1], v3, s8, v[0:1]
	v_mad_u64_u32 v[10:11], s[0:1], v3, s9, v[10:11]
	;; [unrolled: 1-line block ×3, first 2 shown]
	s_cbranch_execz .LBB56_1624
	s_branch .LBB56_1626
.LBB56_1622:
                                        ; implicit-def: $vgpr8
                                        ; implicit-def: $vgpr10
                                        ; implicit-def: $vgpr0
	s_branch .LBB56_1624
.LBB56_1623:
	s_cbranch_execnz .LBB56_1626
.LBB56_1624:
	s_load_dwordx4 s[8:11], s[2:3], 0x4
	s_load_dwordx4 s[16:19], s[2:3], 0xc4
	s_cmp_lt_u32 s33, 2
	s_waitcnt lgkmcnt(0)
	v_mul_hi_u32 v0, s9, v24
	v_add_u32_e32 v0, v24, v0
	v_lshrrev_b32_e32 v1, s10, v0
	v_mul_lo_u32 v0, v1, s8
	v_sub_u32_e32 v3, v24, v0
	v_mul_lo_u32 v0, v3, s16
	v_mul_lo_u32 v8, v3, s18
	;; [unrolled: 1-line block ×3, first 2 shown]
	s_cbranch_scc1 .LBB56_1626
; %bb.1625:
	s_load_dwordx4 s[8:11], s[2:3], 0x10
	s_load_dwordx4 s[16:19], s[2:3], 0xd0
	s_waitcnt lgkmcnt(0)
	v_mul_hi_u32 v3, s9, v1
	v_add_u32_e32 v3, v1, v3
	v_lshrrev_b32_e32 v3, s10, v3
	v_mul_lo_u32 v3, v3, s8
	v_sub_u32_e32 v3, v1, v3
	v_mad_u64_u32 v[0:1], s[0:1], v3, s16, v[0:1]
	v_mad_u64_u32 v[10:11], s[0:1], v3, s17, v[10:11]
	v_mad_u64_u32 v[8:9], s[0:1], v3, s18, v[8:9]
.LBB56_1626:
	s_load_dword s24, s[4:5], 0x1a8
	s_load_dwordx4 s[8:11], s[2:3], 0x188
	s_waitcnt lgkmcnt(0)
	s_lshr_b32 s25, s24, 16
	v_mov_b32_e32 v1, s11
	v_add_co_u32_e32 v22, vcc, s10, v22
	v_addc_co_u32_e32 v23, vcc, 0, v1, vcc
	v_mov_b32_e32 v1, 11
	v_cmp_lt_i16_sdwa s[0:1], s25, v1 src0_sel:BYTE_0 src1_sel:DWORD
	s_and_b64 vcc, exec, s[0:1]
	s_cbranch_vccnz .LBB56_1633
; %bb.1627:
	v_mov_b32_e32 v1, 25
	v_cmp_gt_i16_sdwa s[0:1], s25, v1 src0_sel:BYTE_0 src1_sel:DWORD
	s_mov_b64 s[6:7], 0
	s_and_b64 vcc, exec, s[0:1]
	s_cbranch_vccz .LBB56_1635
; %bb.1628:
	v_mov_b32_e32 v1, 28
	v_cmp_gt_i16_sdwa s[0:1], s25, v1 src0_sel:BYTE_0 src1_sel:DWORD
	s_and_b64 vcc, exec, s[0:1]
	s_cbranch_vccz .LBB56_1636
; %bb.1629:
	v_mov_b32_e32 v1, 43
	v_cmp_gt_i16_sdwa s[0:1], s25, v1 src0_sel:BYTE_0 src1_sel:DWORD
	;; [unrolled: 5-line block ×3, first 2 shown]
	s_and_b64 vcc, exec, s[0:1]
	s_cbranch_vccz .LBB56_1638
; %bb.1631:
	v_mov_b32_e32 v1, 46
	v_cmp_eq_u16_sdwa s[0:1], s25, v1 src0_sel:BYTE_0 src1_sel:DWORD
	s_mov_b64 s[4:5], 0
	s_and_b64 vcc, exec, s[0:1]
	s_cbranch_vccz .LBB56_1641
; %bb.1632:
	global_load_dword v1, v[22:23], off
	s_mov_b64 s[0:1], 0
	s_mov_b64 s[16:17], -1
	s_waitcnt vmcnt(0)
	v_lshlrev_b32_e32 v1, 16, v1
	v_cvt_f16_f32_e32 v1, v1
	s_branch .LBB56_1642
.LBB56_1633:
	s_mov_b64 s[16:17], 0
                                        ; implicit-def: $vgpr1
	s_mov_b64 s[4:5], s[12:13]
	s_cbranch_execnz .LBB56_1705
.LBB56_1634:
	s_andn2_b64 vcc, exec, s[16:17]
	s_cbranch_vccz .LBB56_1750
	s_branch .LBB56_3113
.LBB56_1635:
	s_mov_b64 s[16:17], 0
	s_mov_b64 s[0:1], 0
                                        ; implicit-def: $vgpr1
	s_cbranch_execnz .LBB56_1670
	s_branch .LBB56_1701
.LBB56_1636:
	s_mov_b64 s[4:5], -1
	s_mov_b64 s[16:17], 0
	s_mov_b64 s[0:1], 0
                                        ; implicit-def: $vgpr1
	s_branch .LBB56_1651
.LBB56_1637:
	s_mov_b64 s[16:17], 0
	s_mov_b64 s[0:1], 0
                                        ; implicit-def: $vgpr1
	s_cbranch_execnz .LBB56_1647
	s_branch .LBB56_1650
.LBB56_1638:
	s_mov_b64 s[4:5], -1
	s_mov_b64 s[16:17], 0
	s_mov_b64 s[0:1], 0
                                        ; implicit-def: $vgpr1
	s_branch .LBB56_1642
.LBB56_1639:
	s_or_saveexec_b64 s[16:17], s[16:17]
                                        ; implicit-def: $sgpr18
	s_xor_b64 exec, exec, s[16:17]
	s_cbranch_execz .LBB56_1498
.LBB56_1640:
	s_mov_b32 s18, 0x46000000
	v_add_f32_e64 v1, |v0|, s18
	v_and_b32_e32 v1, 0xff, v1
	v_cmp_ne_u32_e32 vcc, 0, v1
	s_andn2_b64 s[14:15], s[14:15], exec
	s_and_b64 s[24:25], vcc, exec
	s_mov_b32 s18, 0
	s_or_b64 s[14:15], s[14:15], s[24:25]
	s_or_b64 exec, exec, s[16:17]
	v_mov_b32_e32 v6, s18
	s_and_saveexec_b64 s[16:17], s[14:15]
	s_cbranch_execnz .LBB56_1499
	s_branch .LBB56_1500
.LBB56_1641:
	s_mov_b64 s[0:1], -1
                                        ; implicit-def: $vgpr1
	s_mov_b64 s[16:17], 0
.LBB56_1642:
	s_and_b64 vcc, exec, s[4:5]
	s_cbranch_vccz .LBB56_1645
; %bb.1643:
	v_mov_b32_e32 v1, 44
	v_cmp_eq_u16_sdwa s[0:1], s25, v1 src0_sel:BYTE_0 src1_sel:DWORD
	s_and_b64 vcc, exec, s[0:1]
	s_cbranch_vccz .LBB56_1646
; %bb.1644:
	global_load_ubyte v1, v[22:23], off
	s_movk_i32 s4, 0xff
	v_mov_b32_e32 v5, 0x7e00
	s_mov_b64 s[0:1], 0
	s_mov_b64 s[16:17], -1
	s_waitcnt vmcnt(0)
	v_lshlrev_b32_e32 v3, 23, v1
	v_cvt_f16_f32_e32 v3, v3
	v_cmp_ne_u32_e32 vcc, s4, v1
	v_cndmask_b32_e32 v3, v5, v3, vcc
	v_cmp_ne_u32_e32 vcc, 0, v1
	v_cndmask_b32_e32 v1, 0, v3, vcc
.LBB56_1645:
	s_branch .LBB56_1650
.LBB56_1646:
	s_mov_b64 s[0:1], -1
                                        ; implicit-def: $vgpr1
	s_branch .LBB56_1650
.LBB56_1647:
	v_mov_b32_e32 v1, 29
	v_cmp_eq_u16_sdwa s[0:1], s25, v1 src0_sel:BYTE_0 src1_sel:DWORD
	s_and_b64 vcc, exec, s[0:1]
	s_cbranch_vccz .LBB56_1649
; %bb.1648:
	global_load_dwordx2 v[24:25], v[22:23], off
	s_mov_b64 s[0:1], 0
	s_mov_b64 s[16:17], -1
	s_mov_b64 s[4:5], 0
	s_waitcnt vmcnt(0)
	v_ffbh_u32_e32 v1, v25
	v_min_u32_e32 v1, 32, v1
	v_lshlrev_b64 v[24:25], v1, v[24:25]
	v_min_u32_e32 v3, 1, v24
	v_or_b32_e32 v3, v25, v3
	v_cvt_f32_u32_e32 v3, v3
	v_sub_u32_e32 v1, 32, v1
	v_ldexp_f32 v1, v3, v1
	v_cvt_f16_f32_e32 v1, v1
	s_branch .LBB56_1651
.LBB56_1649:
	s_mov_b64 s[0:1], -1
                                        ; implicit-def: $vgpr1
.LBB56_1650:
	s_mov_b64 s[4:5], 0
.LBB56_1651:
	s_and_b64 vcc, exec, s[4:5]
	s_cbranch_vccz .LBB56_1669
; %bb.1652:
	v_mov_b32_e32 v1, 27
	v_cmp_lt_i16_sdwa s[4:5], s25, v1 src0_sel:BYTE_0 src1_sel:DWORD
	s_and_b64 vcc, exec, s[4:5]
	s_cbranch_vccnz .LBB56_1655
; %bb.1653:
	v_cmp_gt_i16_sdwa s[4:5], s25, v1 src0_sel:BYTE_0 src1_sel:DWORD
	s_and_b64 vcc, exec, s[4:5]
	s_cbranch_vccz .LBB56_1656
; %bb.1654:
	global_load_dword v1, v[22:23], off
	s_mov_b64 s[4:5], 0
	s_waitcnt vmcnt(0)
	v_cvt_f32_u32_e32 v1, v1
	v_cvt_f16_f32_e32 v1, v1
	s_branch .LBB56_1657
.LBB56_1655:
	s_mov_b64 s[4:5], -1
                                        ; implicit-def: $vgpr1
	s_branch .LBB56_1660
.LBB56_1656:
	s_mov_b64 s[4:5], -1
                                        ; implicit-def: $vgpr1
.LBB56_1657:
	s_andn2_b64 vcc, exec, s[4:5]
	s_cbranch_vccnz .LBB56_1659
; %bb.1658:
	global_load_ushort v1, v[22:23], off
	s_waitcnt vmcnt(0)
	v_cvt_f16_u16_e32 v1, v1
.LBB56_1659:
	s_mov_b64 s[4:5], 0
.LBB56_1660:
	s_andn2_b64 vcc, exec, s[4:5]
	s_cbranch_vccnz .LBB56_1668
; %bb.1661:
	global_load_ubyte v3, v[22:23], off
	s_movk_i32 s4, 0x7f
                                        ; implicit-def: $sgpr20
	s_waitcnt vmcnt(0)
	v_cmp_lt_i16_e32 vcc, s4, v3
	s_mov_b64 s[4:5], 0
	s_and_saveexec_b64 s[16:17], vcc
	s_xor_b64 s[16:17], exec, s[16:17]
	s_cbranch_execz .LBB56_1681
; %bb.1662:
	s_movk_i32 s4, 0x80
	v_cmp_eq_u16_e32 vcc, s4, v3
	s_mov_b64 s[4:5], -1
                                        ; implicit-def: $sgpr20
	s_and_saveexec_b64 s[18:19], vcc
; %bb.1663:
	s_movk_i32 s20, 0x7e00
	s_xor_b64 s[4:5], exec, -1
; %bb.1664:
	s_or_b64 exec, exec, s[18:19]
	s_and_b64 s[4:5], s[4:5], exec
	s_or_saveexec_b64 s[16:17], s[16:17]
	v_mov_b32_e32 v1, s20
	s_xor_b64 exec, exec, s[16:17]
	s_cbranch_execnz .LBB56_1682
.LBB56_1665:
	s_or_b64 exec, exec, s[16:17]
	s_and_saveexec_b64 s[16:17], s[4:5]
	s_cbranch_execz .LBB56_1667
.LBB56_1666:
	v_lshlrev_b32_e32 v1, 24, v3
	v_and_b32_e32 v3, 0xffff, v3
	v_and_b32_e32 v5, 7, v3
	v_ffbh_u32_e32 v9, v5
	v_min_u32_e32 v9, 32, v9
	v_subrev_u32_e32 v11, 28, v9
	v_bfe_u32 v7, v3, 3, 4
	v_lshlrev_b32_e32 v3, v11, v3
	v_sub_u32_e32 v9, 29, v9
	v_and_b32_e32 v3, 7, v3
	v_cmp_eq_u32_e32 vcc, 0, v7
	v_cndmask_b32_e32 v7, v7, v9, vcc
	v_cndmask_b32_e32 v3, v5, v3, vcc
	v_mov_b32_e32 v5, 0x3b800000
	v_lshlrev_b32_e32 v3, 20, v3
	v_and_b32_e32 v1, 0x80000000, v1
	v_lshl_add_u32 v5, v7, 23, v5
	v_or3_b32 v1, v1, v5, v3
	v_cvt_f16_f32_e32 v1, v1
.LBB56_1667:
	s_or_b64 exec, exec, s[16:17]
.LBB56_1668:
	s_mov_b64 s[16:17], -1
.LBB56_1669:
	s_branch .LBB56_1701
.LBB56_1670:
	v_mov_b32_e32 v1, 22
	v_cmp_gt_i16_sdwa s[4:5], s25, v1 src0_sel:BYTE_0 src1_sel:DWORD
	s_and_b64 vcc, exec, s[4:5]
	s_cbranch_vccz .LBB56_1680
; %bb.1671:
	v_mov_b32_e32 v1, 24
	v_cmp_lt_i16_sdwa s[4:5], s25, v1 src0_sel:BYTE_0 src1_sel:DWORD
	s_and_b64 vcc, exec, s[4:5]
	s_cbranch_vccnz .LBB56_1683
; %bb.1672:
	v_cmp_gt_i16_sdwa s[4:5], s25, v1 src0_sel:BYTE_0 src1_sel:DWORD
	s_and_b64 vcc, exec, s[4:5]
	s_cbranch_vccz .LBB56_1684
; %bb.1673:
	global_load_ubyte v3, v[22:23], off
	s_movk_i32 s4, 0x7f
                                        ; implicit-def: $sgpr18
	s_waitcnt vmcnt(0)
	v_cmp_lt_i16_e32 vcc, s4, v3
	s_mov_b64 s[4:5], 0
	s_and_saveexec_b64 s[6:7], vcc
	s_xor_b64 s[6:7], exec, s[6:7]
	s_cbranch_execz .LBB56_1695
; %bb.1674:
	s_movk_i32 s4, 0x80
	v_cmp_eq_u16_e32 vcc, s4, v3
	s_mov_b64 s[4:5], -1
                                        ; implicit-def: $sgpr18
	s_and_saveexec_b64 s[16:17], vcc
; %bb.1675:
	s_movk_i32 s18, 0x7e00
	s_xor_b64 s[4:5], exec, -1
; %bb.1676:
	s_or_b64 exec, exec, s[16:17]
	s_and_b64 s[4:5], s[4:5], exec
	s_or_saveexec_b64 s[6:7], s[6:7]
	v_mov_b32_e32 v1, s18
	s_xor_b64 exec, exec, s[6:7]
	s_cbranch_execnz .LBB56_1696
.LBB56_1677:
	s_or_b64 exec, exec, s[6:7]
	s_and_saveexec_b64 s[6:7], s[4:5]
	s_cbranch_execz .LBB56_1679
.LBB56_1678:
	v_lshlrev_b32_e32 v1, 24, v3
	v_and_b32_e32 v3, 0xffff, v3
	v_and_b32_e32 v5, 3, v3
	v_ffbh_u32_e32 v9, v5
	v_min_u32_e32 v9, 32, v9
	v_subrev_u32_e32 v11, 29, v9
	v_bfe_u32 v7, v3, 2, 5
	v_lshlrev_b32_e32 v3, v11, v3
	v_sub_u32_e32 v9, 30, v9
	v_and_b32_e32 v3, 3, v3
	v_cmp_eq_u32_e32 vcc, 0, v7
	v_cndmask_b32_e32 v7, v7, v9, vcc
	v_cndmask_b32_e32 v3, v5, v3, vcc
	v_mov_b32_e32 v5, 0x37800000
	v_lshlrev_b32_e32 v3, 21, v3
	v_and_b32_e32 v1, 0x80000000, v1
	v_lshl_add_u32 v5, v7, 23, v5
	v_or3_b32 v1, v1, v5, v3
	v_cvt_f16_f32_e32 v1, v1
.LBB56_1679:
	s_or_b64 exec, exec, s[6:7]
	s_mov_b64 s[4:5], 0
	s_branch .LBB56_1685
.LBB56_1680:
                                        ; implicit-def: $vgpr1
	s_mov_b64 s[6:7], 0
	s_branch .LBB56_1691
.LBB56_1681:
	s_or_saveexec_b64 s[16:17], s[16:17]
	v_mov_b32_e32 v1, s20
	s_xor_b64 exec, exec, s[16:17]
	s_cbranch_execz .LBB56_1665
.LBB56_1682:
	v_cmp_ne_u16_e32 vcc, 0, v3
	s_andn2_b64 s[4:5], s[4:5], exec
	s_and_b64 s[18:19], vcc, exec
	s_or_b64 s[4:5], s[4:5], s[18:19]
	v_mov_b32_e32 v1, v3
	s_or_b64 exec, exec, s[16:17]
	s_and_saveexec_b64 s[16:17], s[4:5]
	s_cbranch_execnz .LBB56_1666
	s_branch .LBB56_1667
.LBB56_1683:
	s_mov_b64 s[4:5], -1
                                        ; implicit-def: $vgpr1
	s_branch .LBB56_1688
.LBB56_1684:
	s_mov_b64 s[4:5], -1
                                        ; implicit-def: $vgpr1
.LBB56_1685:
	s_and_b64 vcc, exec, s[4:5]
	s_cbranch_vccz .LBB56_1687
; %bb.1686:
	global_load_ubyte v1, v[22:23], off
	s_mov_b32 s4, 0x7f800000
	s_waitcnt vmcnt(0)
	v_lshlrev_b32_e32 v1, 24, v1
	v_and_b32_e32 v3, 0x7f000000, v1
	v_ffbh_u32_e32 v5, v3
	v_min_u32_e32 v5, 32, v5
	v_sub_u32_e64 v5, v5, 4 clamp
	v_lshlrev_b32_e32 v9, v5, v3
	v_lshlrev_b32_e32 v5, 23, v5
	v_lshrrev_b32_e32 v9, 4, v9
	v_add_u32_e32 v7, 0x1000000, v3
	v_sub_u32_e32 v5, v9, v5
	v_ashrrev_i32_e32 v7, 8, v7
	v_add_u32_e32 v5, 0x3c000000, v5
	v_and_or_b32 v5, v7, s4, v5
	v_cmp_ne_u32_e32 vcc, 0, v3
	v_cndmask_b32_e32 v3, 0, v5, vcc
	s_brev_b32 s4, 1
	v_and_or_b32 v1, v1, s4, v3
	v_cvt_f16_f32_e32 v1, v1
.LBB56_1687:
	s_mov_b64 s[4:5], 0
.LBB56_1688:
	s_andn2_b64 vcc, exec, s[4:5]
	s_cbranch_vccnz .LBB56_1690
; %bb.1689:
	global_load_ubyte v1, v[22:23], off
	s_movk_i32 s4, 0x7f00
	s_brev_b32 s5, 16
	s_waitcnt vmcnt(0)
	v_lshlrev_b16_e32 v3, 8, v1
	v_lshlrev_b32_e32 v1, 25, v1
	v_lshrrev_b32_e32 v5, 4, v1
	v_and_or_b32 v7, v3, s4, 0.5
	v_or_b32_e32 v5, 0x70000000, v5
	v_add_f32_e32 v7, -0.5, v7
	v_mul_f32_e32 v5, 0x7800000, v5
	v_cmp_gt_u32_e32 vcc, s5, v1
	v_bfe_i32 v3, v3, 0, 16
	v_cndmask_b32_e32 v1, v5, v7, vcc
	s_brev_b32 s4, 1
	v_and_or_b32 v1, v3, s4, v1
	v_cvt_f16_f32_e32 v1, v1
.LBB56_1690:
	s_mov_b64 s[16:17], -1
	s_mov_b64 s[6:7], 0
	s_cbranch_execnz .LBB56_1701
.LBB56_1691:
	v_mov_b32_e32 v1, 14
	v_cmp_gt_i16_sdwa s[4:5], s25, v1 src0_sel:BYTE_0 src1_sel:DWORD
	s_and_b64 vcc, exec, s[4:5]
	s_cbranch_vccz .LBB56_1694
; %bb.1692:
	v_mov_b32_e32 v1, 15
	v_cmp_eq_u16_sdwa s[0:1], s25, v1 src0_sel:BYTE_0 src1_sel:DWORD
	s_and_b64 vcc, exec, s[0:1]
	s_cbranch_vccz .LBB56_1697
; %bb.1693:
	global_load_ushort v1, v[22:23], off
	s_mov_b64 s[0:1], 0
	s_mov_b64 s[16:17], -1
	s_waitcnt vmcnt(0)
	v_lshlrev_b32_e32 v1, 16, v1
	v_cvt_f16_f32_e32 v1, v1
	s_branch .LBB56_1698
.LBB56_1694:
	s_mov_b64 s[4:5], -1
                                        ; implicit-def: $vgpr1
	s_branch .LBB56_1699
.LBB56_1695:
	s_or_saveexec_b64 s[6:7], s[6:7]
	v_mov_b32_e32 v1, s18
	s_xor_b64 exec, exec, s[6:7]
	s_cbranch_execz .LBB56_1677
.LBB56_1696:
	v_cmp_ne_u16_e32 vcc, 0, v3
	s_andn2_b64 s[4:5], s[4:5], exec
	s_and_b64 s[16:17], vcc, exec
	s_or_b64 s[4:5], s[4:5], s[16:17]
	v_mov_b32_e32 v1, v3
	s_or_b64 exec, exec, s[6:7]
	s_and_saveexec_b64 s[6:7], s[4:5]
	s_cbranch_execnz .LBB56_1678
	s_branch .LBB56_1679
.LBB56_1697:
	s_mov_b64 s[0:1], -1
                                        ; implicit-def: $vgpr1
.LBB56_1698:
	s_mov_b64 s[4:5], 0
.LBB56_1699:
	s_and_b64 vcc, exec, s[4:5]
	s_cbranch_vccz .LBB56_1701
; %bb.1700:
	v_mov_b32_e32 v1, 11
	v_cmp_ne_u16_sdwa s[0:1], s25, v1 src0_sel:BYTE_0 src1_sel:DWORD
	s_mov_b64 s[6:7], -1
                                        ; implicit-def: $vgpr1
.LBB56_1701:
	s_and_b64 vcc, exec, s[0:1]
	s_mov_b64 s[4:5], s[12:13]
	s_cbranch_vccnz .LBB56_1762
; %bb.1702:
	s_andn2_b64 vcc, exec, s[6:7]
	s_cbranch_vccnz .LBB56_1704
.LBB56_1703:
	global_load_ubyte v1, v[22:23], off
	v_mov_b32_e32 v3, 0x3c00
	s_mov_b64 s[16:17], -1
	s_waitcnt vmcnt(0)
	v_cmp_ne_u16_e32 vcc, 0, v1
	v_cndmask_b32_e32 v1, 0, v3, vcc
.LBB56_1704:
	s_branch .LBB56_1634
.LBB56_1705:
	v_mov_b32_e32 v1, 5
	v_cmp_lt_i16_sdwa s[0:1], s25, v1 src0_sel:BYTE_0 src1_sel:DWORD
	s_and_b64 vcc, exec, s[0:1]
	s_cbranch_vccnz .LBB56_1710
; %bb.1706:
	v_mov_b32_e32 v1, 8
	v_cmp_lt_i16_sdwa s[0:1], s25, v1 src0_sel:BYTE_0 src1_sel:DWORD
	s_and_b64 vcc, exec, s[0:1]
	s_cbranch_vccnz .LBB56_1711
; %bb.1707:
	;; [unrolled: 5-line block ×3, first 2 shown]
	v_cmp_gt_i16_sdwa s[0:1], s25, v1 src0_sel:BYTE_0 src1_sel:DWORD
	s_and_b64 vcc, exec, s[0:1]
	s_cbranch_vccz .LBB56_1713
; %bb.1709:
	global_load_dwordx2 v[24:25], v[22:23], off
	s_mov_b64 s[0:1], 0
	s_waitcnt vmcnt(0)
	v_cvt_f32_f64_e32 v1, v[24:25]
	v_cvt_f16_f32_e32 v1, v1
	s_branch .LBB56_1714
.LBB56_1710:
                                        ; implicit-def: $vgpr1
	s_branch .LBB56_1731
.LBB56_1711:
                                        ; implicit-def: $vgpr1
	s_branch .LBB56_1720
.LBB56_1712:
	s_mov_b64 s[0:1], -1
                                        ; implicit-def: $vgpr1
	s_branch .LBB56_1717
.LBB56_1713:
	s_mov_b64 s[0:1], -1
                                        ; implicit-def: $vgpr1
.LBB56_1714:
	s_andn2_b64 vcc, exec, s[0:1]
	s_cbranch_vccnz .LBB56_1716
; %bb.1715:
	global_load_dword v1, v[22:23], off
	s_waitcnt vmcnt(0)
	v_cvt_f16_f32_e32 v1, v1
.LBB56_1716:
	s_mov_b64 s[0:1], 0
.LBB56_1717:
	s_andn2_b64 vcc, exec, s[0:1]
	s_cbranch_vccnz .LBB56_1719
; %bb.1718:
	global_load_dword v1, v[22:23], off
.LBB56_1719:
	s_cbranch_execnz .LBB56_1730
.LBB56_1720:
	s_waitcnt vmcnt(0)
	v_mov_b32_e32 v1, 6
	v_cmp_lt_i16_sdwa s[0:1], s25, v1 src0_sel:BYTE_0 src1_sel:DWORD
	s_and_b64 vcc, exec, s[0:1]
	s_cbranch_vccnz .LBB56_1723
; %bb.1721:
	v_cmp_gt_i16_sdwa s[0:1], s25, v1 src0_sel:BYTE_0 src1_sel:DWORD
	s_and_b64 vcc, exec, s[0:1]
	s_cbranch_vccz .LBB56_1724
; %bb.1722:
	global_load_dwordx2 v[24:25], v[22:23], off
	s_mov_b64 s[0:1], 0
	s_waitcnt vmcnt(0)
	v_cvt_f32_f64_e32 v1, v[24:25]
	v_cvt_f16_f32_e32 v1, v1
	s_branch .LBB56_1725
.LBB56_1723:
	s_mov_b64 s[0:1], -1
                                        ; implicit-def: $vgpr1
	s_branch .LBB56_1728
.LBB56_1724:
	s_mov_b64 s[0:1], -1
                                        ; implicit-def: $vgpr1
.LBB56_1725:
	s_andn2_b64 vcc, exec, s[0:1]
	s_cbranch_vccnz .LBB56_1727
; %bb.1726:
	global_load_dword v1, v[22:23], off
	s_waitcnt vmcnt(0)
	v_cvt_f16_f32_e32 v1, v1
.LBB56_1727:
	s_mov_b64 s[0:1], 0
.LBB56_1728:
	s_andn2_b64 vcc, exec, s[0:1]
	s_cbranch_vccnz .LBB56_1730
; %bb.1729:
	global_load_ushort v1, v[22:23], off
.LBB56_1730:
	s_cbranch_execnz .LBB56_1749
.LBB56_1731:
	s_waitcnt vmcnt(0)
	v_mov_b32_e32 v1, 2
	v_cmp_lt_i16_sdwa s[0:1], s25, v1 src0_sel:BYTE_0 src1_sel:DWORD
	s_and_b64 vcc, exec, s[0:1]
	s_cbranch_vccnz .LBB56_1735
; %bb.1732:
	v_mov_b32_e32 v1, 3
	v_cmp_lt_i16_sdwa s[0:1], s25, v1 src0_sel:BYTE_0 src1_sel:DWORD
	s_and_b64 vcc, exec, s[0:1]
	s_cbranch_vccnz .LBB56_1736
; %bb.1733:
	v_cmp_gt_i16_sdwa s[0:1], s25, v1 src0_sel:BYTE_0 src1_sel:DWORD
	s_and_b64 vcc, exec, s[0:1]
	s_cbranch_vccz .LBB56_1737
; %bb.1734:
	global_load_dwordx2 v[24:25], v[22:23], off
	s_mov_b64 s[0:1], 0
	s_waitcnt vmcnt(0)
	v_xor_b32_e32 v3, v24, v25
	v_ffbh_i32_e32 v1, v25
	v_ashrrev_i32_e32 v3, 31, v3
	v_add_u32_e32 v1, -1, v1
	v_add_u32_e32 v3, 32, v3
	v_min_u32_e32 v1, v1, v3
	v_lshlrev_b64 v[24:25], v1, v[24:25]
	v_min_u32_e32 v3, 1, v24
	v_or_b32_e32 v3, v25, v3
	v_cvt_f32_i32_e32 v3, v3
	v_sub_u32_e32 v1, 32, v1
	v_ldexp_f32 v1, v3, v1
	v_cvt_f16_f32_e32 v1, v1
	s_branch .LBB56_1738
.LBB56_1735:
                                        ; implicit-def: $vgpr1
	s_branch .LBB56_1744
.LBB56_1736:
	s_mov_b64 s[0:1], -1
                                        ; implicit-def: $vgpr1
	s_branch .LBB56_1741
.LBB56_1737:
	s_mov_b64 s[0:1], -1
                                        ; implicit-def: $vgpr1
.LBB56_1738:
	s_andn2_b64 vcc, exec, s[0:1]
	s_cbranch_vccnz .LBB56_1740
; %bb.1739:
	global_load_dword v1, v[22:23], off
	s_waitcnt vmcnt(0)
	v_cvt_f32_i32_e32 v1, v1
	v_cvt_f16_f32_e32 v1, v1
.LBB56_1740:
	s_mov_b64 s[0:1], 0
.LBB56_1741:
	s_andn2_b64 vcc, exec, s[0:1]
	s_cbranch_vccnz .LBB56_1743
; %bb.1742:
	global_load_ushort v1, v[22:23], off
	s_waitcnt vmcnt(0)
	v_cvt_f16_i16_e32 v1, v1
.LBB56_1743:
	s_cbranch_execnz .LBB56_1749
.LBB56_1744:
	v_mov_b32_e32 v1, 0
	v_cmp_gt_i16_sdwa s[0:1], s25, v1 src0_sel:BYTE_0 src1_sel:DWORD
	s_and_b64 vcc, exec, s[0:1]
	s_cbranch_vccz .LBB56_1746
; %bb.1745:
	global_load_sbyte v1, v[22:23], off
	s_mov_b64 s[0:1], 0
	s_waitcnt vmcnt(0)
	v_cvt_f16_i16_e32 v1, v1
	s_branch .LBB56_1747
.LBB56_1746:
	s_mov_b64 s[0:1], -1
                                        ; implicit-def: $vgpr1
.LBB56_1747:
	s_andn2_b64 vcc, exec, s[0:1]
	s_cbranch_vccnz .LBB56_1749
; %bb.1748:
	global_load_ubyte v1, v[22:23], off
	s_waitcnt vmcnt(0)
	v_cvt_f16_u16_e32 v1, v1
.LBB56_1749:
.LBB56_1750:
	s_load_dwordx2 s[0:1], s[2:3], 0x198
	s_lshr_b32 s26, s24, 24
	v_cmp_lt_i16_e64 s[2:3], s26, 11
	s_waitcnt lgkmcnt(0)
	v_mov_b32_e32 v3, s1
	v_add_co_u32_e32 v20, vcc, s0, v20
	v_addc_co_u32_e32 v21, vcc, 0, v3, vcc
	s_and_b64 vcc, exec, s[2:3]
	s_cbranch_vccnz .LBB56_1757
; %bb.1751:
	v_cmp_gt_i16_e64 s[6:7], s26, 25
	s_mov_b64 s[16:17], 0
	s_and_b64 vcc, exec, s[6:7]
	s_cbranch_vccz .LBB56_1759
; %bb.1752:
	v_cmp_gt_i16_e64 s[6:7], s26, 28
	s_and_b64 vcc, exec, s[6:7]
	s_cbranch_vccz .LBB56_1760
; %bb.1753:
	v_cmp_gt_i16_e64 s[6:7], s26, 43
	;; [unrolled: 4-line block ×3, first 2 shown]
	s_and_b64 vcc, exec, s[6:7]
	s_cbranch_vccz .LBB56_1763
; %bb.1755:
	v_cmp_eq_u16_e64 s[6:7], s26, 46
	s_mov_b64 s[20:21], 0
	s_and_b64 vcc, exec, s[6:7]
	s_cbranch_vccz .LBB56_1766
; %bb.1756:
	global_load_dword v3, v[20:21], off
	s_mov_b64 s[6:7], 0
	s_mov_b64 s[18:19], -1
	s_waitcnt vmcnt(0)
	v_lshlrev_b32_e32 v3, 16, v3
	v_cvt_f16_f32_e32 v3, v3
	s_branch .LBB56_1767
.LBB56_1757:
	s_mov_b64 s[18:19], 0
                                        ; implicit-def: $vgpr3
	s_cbranch_execnz .LBB56_1832
.LBB56_1758:
	s_andn2_b64 vcc, exec, s[18:19]
	s_cbranch_vccnz .LBB56_3113
	s_branch .LBB56_1879
.LBB56_1759:
	s_mov_b64 s[18:19], 0
	s_mov_b64 s[6:7], 0
                                        ; implicit-def: $vgpr3
	s_cbranch_execnz .LBB56_1796
	s_branch .LBB56_1828
.LBB56_1760:
	s_mov_b64 s[20:21], -1
	s_mov_b64 s[18:19], 0
	s_mov_b64 s[6:7], 0
                                        ; implicit-def: $vgpr3
	s_branch .LBB56_1777
.LBB56_1761:
	s_mov_b64 s[20:21], -1
	s_mov_b64 s[18:19], 0
	s_mov_b64 s[6:7], 0
                                        ; implicit-def: $vgpr3
	s_branch .LBB56_1772
.LBB56_1762:
	s_or_b64 s[4:5], s[12:13], exec
	s_trap 2
                                        ; implicit-def: $vgpr1
	s_cbranch_execz .LBB56_1703
	s_branch .LBB56_1704
.LBB56_1763:
	s_mov_b64 s[20:21], -1
	s_mov_b64 s[18:19], 0
	s_mov_b64 s[6:7], 0
                                        ; implicit-def: $vgpr3
	s_branch .LBB56_1767
.LBB56_1764:
	s_or_saveexec_b64 s[18:19], s[18:19]
                                        ; implicit-def: $sgpr24
	s_xor_b64 exec, exec, s[18:19]
	s_cbranch_execz .LBB56_1510
.LBB56_1765:
	s_mov_b32 s24, 0x42800000
	v_add_f32_e64 v1, |v0|, s24
	v_and_b32_e32 v1, 0xff, v1
	v_cmp_ne_u32_e32 vcc, 0, v1
	s_andn2_b64 s[16:17], s[16:17], exec
	s_and_b64 s[26:27], vcc, exec
	s_mov_b32 s24, 0
	s_or_b64 s[16:17], s[16:17], s[26:27]
	s_or_b64 exec, exec, s[18:19]
	v_mov_b32_e32 v6, s24
	s_and_saveexec_b64 s[18:19], s[16:17]
	s_cbranch_execnz .LBB56_1511
	s_branch .LBB56_1512
.LBB56_1766:
	s_mov_b64 s[6:7], -1
                                        ; implicit-def: $vgpr3
	s_mov_b64 s[18:19], 0
.LBB56_1767:
	s_and_b64 vcc, exec, s[20:21]
	s_cbranch_vccz .LBB56_1771
; %bb.1768:
	v_cmp_eq_u16_e64 s[6:7], s26, 44
	s_and_b64 vcc, exec, s[6:7]
	s_cbranch_vccz .LBB56_1770
; %bb.1769:
	global_load_ubyte v3, v[20:21], off
	s_movk_i32 s18, 0xff
	v_mov_b32_e32 v7, 0x7e00
	s_mov_b64 s[6:7], 0
	s_waitcnt vmcnt(0)
	v_lshlrev_b32_e32 v5, 23, v3
	v_cvt_f16_f32_e32 v5, v5
	v_cmp_ne_u32_e32 vcc, s18, v3
	s_mov_b64 s[18:19], -1
	v_cndmask_b32_e32 v5, v7, v5, vcc
	v_cmp_ne_u32_e32 vcc, 0, v3
	v_cndmask_b32_e32 v3, 0, v5, vcc
	s_branch .LBB56_1771
.LBB56_1770:
	s_mov_b64 s[6:7], -1
                                        ; implicit-def: $vgpr3
.LBB56_1771:
	s_mov_b64 s[20:21], 0
.LBB56_1772:
	s_and_b64 vcc, exec, s[20:21]
	s_cbranch_vccz .LBB56_1776
; %bb.1773:
	v_cmp_eq_u16_e64 s[6:7], s26, 29
	s_and_b64 vcc, exec, s[6:7]
	s_cbranch_vccz .LBB56_1775
; %bb.1774:
	global_load_dwordx2 v[22:23], v[20:21], off
	s_mov_b64 s[6:7], 0
	s_mov_b64 s[18:19], -1
	s_mov_b64 s[20:21], 0
	s_waitcnt vmcnt(0)
	v_ffbh_u32_e32 v3, v23
	v_min_u32_e32 v3, 32, v3
	v_lshlrev_b64 v[22:23], v3, v[22:23]
	v_min_u32_e32 v5, 1, v22
	v_or_b32_e32 v5, v23, v5
	v_cvt_f32_u32_e32 v5, v5
	v_sub_u32_e32 v3, 32, v3
	v_ldexp_f32 v3, v5, v3
	v_cvt_f16_f32_e32 v3, v3
	s_branch .LBB56_1777
.LBB56_1775:
	s_mov_b64 s[6:7], -1
                                        ; implicit-def: $vgpr3
.LBB56_1776:
	s_mov_b64 s[20:21], 0
.LBB56_1777:
	s_and_b64 vcc, exec, s[20:21]
	s_cbranch_vccz .LBB56_1795
; %bb.1778:
	v_cmp_lt_i16_e64 s[18:19], s26, 27
	s_and_b64 vcc, exec, s[18:19]
	s_cbranch_vccnz .LBB56_1781
; %bb.1779:
	v_cmp_gt_i16_e64 s[18:19], s26, 27
	s_and_b64 vcc, exec, s[18:19]
	s_cbranch_vccz .LBB56_1782
; %bb.1780:
	global_load_dword v3, v[20:21], off
	s_mov_b64 s[18:19], 0
	s_waitcnt vmcnt(0)
	v_cvt_f32_u32_e32 v3, v3
	v_cvt_f16_f32_e32 v3, v3
	s_branch .LBB56_1783
.LBB56_1781:
	s_mov_b64 s[18:19], -1
                                        ; implicit-def: $vgpr3
	s_branch .LBB56_1786
.LBB56_1782:
	s_mov_b64 s[18:19], -1
                                        ; implicit-def: $vgpr3
.LBB56_1783:
	s_andn2_b64 vcc, exec, s[18:19]
	s_cbranch_vccnz .LBB56_1785
; %bb.1784:
	global_load_ushort v3, v[20:21], off
	s_waitcnt vmcnt(0)
	v_cvt_f16_u16_e32 v3, v3
.LBB56_1785:
	s_mov_b64 s[18:19], 0
.LBB56_1786:
	s_andn2_b64 vcc, exec, s[18:19]
	s_cbranch_vccnz .LBB56_1794
; %bb.1787:
	global_load_ubyte v5, v[20:21], off
	s_movk_i32 s18, 0x7f
                                        ; implicit-def: $sgpr27
	s_waitcnt vmcnt(0)
	v_cmp_lt_i16_e32 vcc, s18, v5
	s_mov_b64 s[18:19], 0
	s_and_saveexec_b64 s[20:21], vcc
	s_xor_b64 s[20:21], exec, s[20:21]
	s_cbranch_execz .LBB56_1807
; %bb.1788:
	s_movk_i32 s18, 0x80
	v_cmp_eq_u16_e32 vcc, s18, v5
	s_mov_b64 s[18:19], -1
                                        ; implicit-def: $sgpr27
	s_and_saveexec_b64 s[22:23], vcc
; %bb.1789:
	s_movk_i32 s27, 0x7e00
	s_xor_b64 s[18:19], exec, -1
; %bb.1790:
	s_or_b64 exec, exec, s[22:23]
	s_and_b64 s[18:19], s[18:19], exec
	s_or_saveexec_b64 s[20:21], s[20:21]
	v_mov_b32_e32 v3, s27
	s_xor_b64 exec, exec, s[20:21]
	s_cbranch_execnz .LBB56_1808
.LBB56_1791:
	s_or_b64 exec, exec, s[20:21]
	s_and_saveexec_b64 s[20:21], s[18:19]
	s_cbranch_execz .LBB56_1793
.LBB56_1792:
	v_lshlrev_b32_e32 v3, 24, v5
	v_and_b32_e32 v5, 0xffff, v5
	v_and_b32_e32 v7, 7, v5
	v_ffbh_u32_e32 v11, v7
	v_min_u32_e32 v11, 32, v11
	v_subrev_u32_e32 v13, 28, v11
	v_bfe_u32 v9, v5, 3, 4
	v_lshlrev_b32_e32 v5, v13, v5
	v_sub_u32_e32 v11, 29, v11
	v_and_b32_e32 v5, 7, v5
	v_cmp_eq_u32_e32 vcc, 0, v9
	v_cndmask_b32_e32 v9, v9, v11, vcc
	v_cndmask_b32_e32 v5, v7, v5, vcc
	v_mov_b32_e32 v7, 0x3b800000
	v_lshlrev_b32_e32 v5, 20, v5
	v_and_b32_e32 v3, 0x80000000, v3
	v_lshl_add_u32 v7, v9, 23, v7
	v_or3_b32 v3, v3, v7, v5
	v_cvt_f16_f32_e32 v3, v3
.LBB56_1793:
	s_or_b64 exec, exec, s[20:21]
.LBB56_1794:
	s_mov_b64 s[18:19], -1
.LBB56_1795:
	s_branch .LBB56_1828
.LBB56_1796:
	v_cmp_gt_i16_e64 s[16:17], s26, 22
	s_and_b64 vcc, exec, s[16:17]
	s_cbranch_vccz .LBB56_1806
; %bb.1797:
	v_cmp_lt_i16_e64 s[16:17], s26, 24
	s_and_b64 vcc, exec, s[16:17]
	s_cbranch_vccnz .LBB56_1809
; %bb.1798:
	v_cmp_gt_i16_e64 s[16:17], s26, 24
	s_and_b64 vcc, exec, s[16:17]
	s_cbranch_vccz .LBB56_1810
; %bb.1799:
	global_load_ubyte v5, v[20:21], off
	s_movk_i32 s16, 0x7f
                                        ; implicit-def: $sgpr22
	s_waitcnt vmcnt(0)
	v_cmp_lt_i16_e32 vcc, s16, v5
	s_mov_b64 s[16:17], 0
	s_and_saveexec_b64 s[18:19], vcc
	s_xor_b64 s[18:19], exec, s[18:19]
	s_cbranch_execz .LBB56_1822
; %bb.1800:
	s_movk_i32 s16, 0x80
	v_cmp_eq_u16_e32 vcc, s16, v5
	s_mov_b64 s[16:17], -1
                                        ; implicit-def: $sgpr22
	s_and_saveexec_b64 s[20:21], vcc
; %bb.1801:
	s_movk_i32 s22, 0x7e00
	s_xor_b64 s[16:17], exec, -1
; %bb.1802:
	s_or_b64 exec, exec, s[20:21]
	s_and_b64 s[16:17], s[16:17], exec
	s_or_saveexec_b64 s[18:19], s[18:19]
	v_mov_b32_e32 v3, s22
	s_xor_b64 exec, exec, s[18:19]
	s_cbranch_execnz .LBB56_1823
.LBB56_1803:
	s_or_b64 exec, exec, s[18:19]
	s_and_saveexec_b64 s[18:19], s[16:17]
	s_cbranch_execz .LBB56_1805
.LBB56_1804:
	v_lshlrev_b32_e32 v3, 24, v5
	v_and_b32_e32 v5, 0xffff, v5
	v_and_b32_e32 v7, 3, v5
	v_ffbh_u32_e32 v11, v7
	v_min_u32_e32 v11, 32, v11
	v_subrev_u32_e32 v13, 29, v11
	v_bfe_u32 v9, v5, 2, 5
	v_lshlrev_b32_e32 v5, v13, v5
	v_sub_u32_e32 v11, 30, v11
	v_and_b32_e32 v5, 3, v5
	v_cmp_eq_u32_e32 vcc, 0, v9
	v_cndmask_b32_e32 v9, v9, v11, vcc
	v_cndmask_b32_e32 v5, v7, v5, vcc
	v_mov_b32_e32 v7, 0x37800000
	v_lshlrev_b32_e32 v5, 21, v5
	v_and_b32_e32 v3, 0x80000000, v3
	v_lshl_add_u32 v7, v9, 23, v7
	v_or3_b32 v3, v3, v7, v5
	v_cvt_f16_f32_e32 v3, v3
.LBB56_1805:
	s_or_b64 exec, exec, s[18:19]
	s_mov_b64 s[16:17], 0
	s_branch .LBB56_1811
.LBB56_1806:
	s_mov_b64 s[16:17], -1
                                        ; implicit-def: $vgpr3
	s_branch .LBB56_1817
.LBB56_1807:
	s_or_saveexec_b64 s[20:21], s[20:21]
	v_mov_b32_e32 v3, s27
	s_xor_b64 exec, exec, s[20:21]
	s_cbranch_execz .LBB56_1791
.LBB56_1808:
	v_cmp_ne_u16_e32 vcc, 0, v5
	s_andn2_b64 s[18:19], s[18:19], exec
	s_and_b64 s[22:23], vcc, exec
	s_or_b64 s[18:19], s[18:19], s[22:23]
	v_mov_b32_e32 v3, v5
	s_or_b64 exec, exec, s[20:21]
	s_and_saveexec_b64 s[20:21], s[18:19]
	s_cbranch_execnz .LBB56_1792
	s_branch .LBB56_1793
.LBB56_1809:
	s_mov_b64 s[16:17], -1
                                        ; implicit-def: $vgpr3
	s_branch .LBB56_1814
.LBB56_1810:
	s_mov_b64 s[16:17], -1
                                        ; implicit-def: $vgpr3
.LBB56_1811:
	s_and_b64 vcc, exec, s[16:17]
	s_cbranch_vccz .LBB56_1813
; %bb.1812:
	global_load_ubyte v3, v[20:21], off
	s_mov_b32 s16, 0x7f800000
	s_waitcnt vmcnt(0)
	v_lshlrev_b32_e32 v3, 24, v3
	v_and_b32_e32 v5, 0x7f000000, v3
	v_ffbh_u32_e32 v7, v5
	v_min_u32_e32 v7, 32, v7
	v_sub_u32_e64 v7, v7, 4 clamp
	v_lshlrev_b32_e32 v11, v7, v5
	v_lshlrev_b32_e32 v7, 23, v7
	v_lshrrev_b32_e32 v11, 4, v11
	v_add_u32_e32 v9, 0x1000000, v5
	v_sub_u32_e32 v7, v11, v7
	v_ashrrev_i32_e32 v9, 8, v9
	v_add_u32_e32 v7, 0x3c000000, v7
	v_and_or_b32 v7, v9, s16, v7
	v_cmp_ne_u32_e32 vcc, 0, v5
	v_cndmask_b32_e32 v5, 0, v7, vcc
	s_brev_b32 s16, 1
	v_and_or_b32 v3, v3, s16, v5
	v_cvt_f16_f32_e32 v3, v3
.LBB56_1813:
	s_mov_b64 s[16:17], 0
.LBB56_1814:
	s_andn2_b64 vcc, exec, s[16:17]
	s_cbranch_vccnz .LBB56_1816
; %bb.1815:
	global_load_ubyte v3, v[20:21], off
	s_movk_i32 s16, 0x7f00
	s_brev_b32 s17, 16
	s_waitcnt vmcnt(0)
	v_lshlrev_b16_e32 v5, 8, v3
	v_lshlrev_b32_e32 v3, 25, v3
	v_lshrrev_b32_e32 v7, 4, v3
	v_and_or_b32 v9, v5, s16, 0.5
	v_or_b32_e32 v7, 0x70000000, v7
	v_add_f32_e32 v9, -0.5, v9
	v_mul_f32_e32 v7, 0x7800000, v7
	v_cmp_gt_u32_e32 vcc, s17, v3
	v_bfe_i32 v5, v5, 0, 16
	v_cndmask_b32_e32 v3, v7, v9, vcc
	s_brev_b32 s16, 1
	v_and_or_b32 v3, v5, s16, v3
	v_cvt_f16_f32_e32 v3, v3
.LBB56_1816:
	s_mov_b64 s[16:17], 0
	s_mov_b64 s[18:19], -1
.LBB56_1817:
	s_andn2_b64 vcc, exec, s[16:17]
	s_mov_b64 s[16:17], 0
	s_cbranch_vccnz .LBB56_1828
; %bb.1818:
	v_cmp_gt_i16_e64 s[16:17], s26, 14
	s_and_b64 vcc, exec, s[16:17]
	s_cbranch_vccz .LBB56_1821
; %bb.1819:
	v_cmp_eq_u16_e64 s[6:7], s26, 15
	s_and_b64 vcc, exec, s[6:7]
	s_cbranch_vccz .LBB56_1824
; %bb.1820:
	global_load_ushort v3, v[20:21], off
	s_mov_b64 s[6:7], 0
	s_mov_b64 s[18:19], -1
	s_waitcnt vmcnt(0)
	v_lshlrev_b32_e32 v3, 16, v3
	v_cvt_f16_f32_e32 v3, v3
	s_branch .LBB56_1825
.LBB56_1821:
	s_mov_b64 s[20:21], -1
                                        ; implicit-def: $vgpr3
	s_branch .LBB56_1826
.LBB56_1822:
	s_or_saveexec_b64 s[18:19], s[18:19]
	v_mov_b32_e32 v3, s22
	s_xor_b64 exec, exec, s[18:19]
	s_cbranch_execz .LBB56_1803
.LBB56_1823:
	v_cmp_ne_u16_e32 vcc, 0, v5
	s_andn2_b64 s[16:17], s[16:17], exec
	s_and_b64 s[20:21], vcc, exec
	s_or_b64 s[16:17], s[16:17], s[20:21]
	v_mov_b32_e32 v3, v5
	s_or_b64 exec, exec, s[18:19]
	s_and_saveexec_b64 s[18:19], s[16:17]
	s_cbranch_execnz .LBB56_1804
	s_branch .LBB56_1805
.LBB56_1824:
	s_mov_b64 s[6:7], -1
                                        ; implicit-def: $vgpr3
.LBB56_1825:
	s_mov_b64 s[20:21], 0
.LBB56_1826:
	s_mov_b64 s[16:17], 0
	s_and_b64 vcc, exec, s[20:21]
	s_cbranch_vccz .LBB56_1828
; %bb.1827:
	v_cmp_ne_u16_e64 s[6:7], s26, 11
	s_mov_b64 s[16:17], -1
                                        ; implicit-def: $vgpr3
.LBB56_1828:
	s_and_b64 vcc, exec, s[6:7]
	s_cbranch_vccnz .LBB56_1891
; %bb.1829:
	s_andn2_b64 vcc, exec, s[16:17]
	s_cbranch_vccnz .LBB56_1831
.LBB56_1830:
	global_load_ubyte v3, v[20:21], off
	v_mov_b32_e32 v5, 0x3c00
	s_mov_b64 s[18:19], -1
	s_waitcnt vmcnt(0)
	v_cmp_ne_u16_e32 vcc, 0, v3
	v_cndmask_b32_e32 v3, 0, v5, vcc
.LBB56_1831:
	s_branch .LBB56_1758
.LBB56_1832:
	v_cmp_lt_i16_e64 s[6:7], s26, 5
	s_and_b64 vcc, exec, s[6:7]
	s_cbranch_vccnz .LBB56_1837
; %bb.1833:
	v_cmp_lt_i16_e64 s[6:7], s26, 8
	s_and_b64 vcc, exec, s[6:7]
	s_cbranch_vccnz .LBB56_1838
; %bb.1834:
	;; [unrolled: 4-line block ×3, first 2 shown]
	v_cmp_gt_i16_e64 s[6:7], s26, 9
	s_and_b64 vcc, exec, s[6:7]
	s_cbranch_vccz .LBB56_1840
; %bb.1836:
	global_load_dwordx2 v[22:23], v[20:21], off
	s_mov_b64 s[6:7], 0
	s_waitcnt vmcnt(0)
	v_cvt_f32_f64_e32 v3, v[22:23]
	v_cvt_f16_f32_e32 v3, v3
	s_branch .LBB56_1841
.LBB56_1837:
                                        ; implicit-def: $vgpr3
	s_branch .LBB56_1859
.LBB56_1838:
	s_mov_b64 s[6:7], -1
                                        ; implicit-def: $vgpr3
	s_branch .LBB56_1847
.LBB56_1839:
	s_mov_b64 s[6:7], -1
                                        ; implicit-def: $vgpr3
	s_branch .LBB56_1844
.LBB56_1840:
	s_mov_b64 s[6:7], -1
                                        ; implicit-def: $vgpr3
.LBB56_1841:
	s_andn2_b64 vcc, exec, s[6:7]
	s_cbranch_vccnz .LBB56_1843
; %bb.1842:
	global_load_dword v3, v[20:21], off
	s_waitcnt vmcnt(0)
	v_cvt_f16_f32_e32 v3, v3
.LBB56_1843:
	s_mov_b64 s[6:7], 0
.LBB56_1844:
	s_andn2_b64 vcc, exec, s[6:7]
	s_cbranch_vccnz .LBB56_1846
; %bb.1845:
	global_load_dword v3, v[20:21], off
.LBB56_1846:
	s_mov_b64 s[6:7], 0
.LBB56_1847:
	s_andn2_b64 vcc, exec, s[6:7]
	s_cbranch_vccnz .LBB56_1858
; %bb.1848:
	v_cmp_lt_i16_e64 s[6:7], s26, 6
	s_and_b64 vcc, exec, s[6:7]
	s_cbranch_vccnz .LBB56_1851
; %bb.1849:
	v_cmp_gt_i16_e64 s[6:7], s26, 6
	s_and_b64 vcc, exec, s[6:7]
	s_cbranch_vccz .LBB56_1852
; %bb.1850:
	global_load_dwordx2 v[22:23], v[20:21], off
	s_mov_b64 s[6:7], 0
	s_waitcnt vmcnt(0)
	v_cvt_f32_f64_e32 v3, v[22:23]
	v_cvt_f16_f32_e32 v3, v3
	s_branch .LBB56_1853
.LBB56_1851:
	s_mov_b64 s[6:7], -1
                                        ; implicit-def: $vgpr3
	s_branch .LBB56_1856
.LBB56_1852:
	s_mov_b64 s[6:7], -1
                                        ; implicit-def: $vgpr3
.LBB56_1853:
	s_andn2_b64 vcc, exec, s[6:7]
	s_cbranch_vccnz .LBB56_1855
; %bb.1854:
	global_load_dword v3, v[20:21], off
	s_waitcnt vmcnt(0)
	v_cvt_f16_f32_e32 v3, v3
.LBB56_1855:
	s_mov_b64 s[6:7], 0
.LBB56_1856:
	s_andn2_b64 vcc, exec, s[6:7]
	s_cbranch_vccnz .LBB56_1858
; %bb.1857:
	global_load_ushort v3, v[20:21], off
.LBB56_1858:
	s_cbranch_execnz .LBB56_1878
.LBB56_1859:
	v_cmp_lt_i16_e64 s[6:7], s26, 2
	s_and_b64 vcc, exec, s[6:7]
	s_cbranch_vccnz .LBB56_1863
; %bb.1860:
	v_cmp_lt_i16_e64 s[6:7], s26, 3
	s_and_b64 vcc, exec, s[6:7]
	s_cbranch_vccnz .LBB56_1864
; %bb.1861:
	v_cmp_gt_i16_e64 s[6:7], s26, 3
	s_and_b64 vcc, exec, s[6:7]
	s_cbranch_vccz .LBB56_1865
; %bb.1862:
	global_load_dwordx2 v[22:23], v[20:21], off
	s_mov_b64 s[6:7], 0
	s_waitcnt vmcnt(0)
	v_xor_b32_e32 v5, v22, v23
	v_ffbh_i32_e32 v3, v23
	v_ashrrev_i32_e32 v5, 31, v5
	v_add_u32_e32 v3, -1, v3
	v_add_u32_e32 v5, 32, v5
	v_min_u32_e32 v3, v3, v5
	v_lshlrev_b64 v[22:23], v3, v[22:23]
	v_min_u32_e32 v5, 1, v22
	v_or_b32_e32 v5, v23, v5
	v_cvt_f32_i32_e32 v5, v5
	v_sub_u32_e32 v3, 32, v3
	v_ldexp_f32 v3, v5, v3
	v_cvt_f16_f32_e32 v3, v3
	s_branch .LBB56_1866
.LBB56_1863:
	s_mov_b64 s[6:7], -1
                                        ; implicit-def: $vgpr3
	s_branch .LBB56_1872
.LBB56_1864:
	s_mov_b64 s[6:7], -1
                                        ; implicit-def: $vgpr3
	s_branch .LBB56_1869
.LBB56_1865:
	s_mov_b64 s[6:7], -1
                                        ; implicit-def: $vgpr3
.LBB56_1866:
	s_andn2_b64 vcc, exec, s[6:7]
	s_cbranch_vccnz .LBB56_1868
; %bb.1867:
	global_load_dword v3, v[20:21], off
	s_waitcnt vmcnt(0)
	v_cvt_f32_i32_e32 v3, v3
	v_cvt_f16_f32_e32 v3, v3
.LBB56_1868:
	s_mov_b64 s[6:7], 0
.LBB56_1869:
	s_andn2_b64 vcc, exec, s[6:7]
	s_cbranch_vccnz .LBB56_1871
; %bb.1870:
	global_load_ushort v3, v[20:21], off
	s_waitcnt vmcnt(0)
	v_cvt_f16_i16_e32 v3, v3
.LBB56_1871:
	s_mov_b64 s[6:7], 0
.LBB56_1872:
	s_andn2_b64 vcc, exec, s[6:7]
	s_cbranch_vccnz .LBB56_1878
; %bb.1873:
	v_cmp_gt_i16_e64 s[6:7], s26, 0
	s_and_b64 vcc, exec, s[6:7]
	s_cbranch_vccz .LBB56_1875
; %bb.1874:
	global_load_sbyte v3, v[20:21], off
	s_mov_b64 s[6:7], 0
	s_waitcnt vmcnt(0)
	v_cvt_f16_i16_e32 v3, v3
	s_branch .LBB56_1876
.LBB56_1875:
	s_mov_b64 s[6:7], -1
                                        ; implicit-def: $vgpr3
.LBB56_1876:
	s_andn2_b64 vcc, exec, s[6:7]
	s_cbranch_vccnz .LBB56_1878
; %bb.1877:
	global_load_ubyte v3, v[20:21], off
	s_waitcnt vmcnt(0)
	v_cvt_f16_u16_e32 v3, v3
.LBB56_1878:
.LBB56_1879:
	v_mov_b32_e32 v5, s11
	v_add_co_u32_e32 v18, vcc, s10, v18
	v_addc_co_u32_e32 v19, vcc, 0, v5, vcc
	v_mov_b32_e32 v5, 11
	v_cmp_lt_i16_sdwa s[6:7], s25, v5 src0_sel:BYTE_0 src1_sel:DWORD
	s_and_b64 vcc, exec, s[6:7]
	s_cbranch_vccnz .LBB56_1886
; %bb.1880:
	v_mov_b32_e32 v5, 25
	v_cmp_gt_i16_sdwa s[6:7], s25, v5 src0_sel:BYTE_0 src1_sel:DWORD
	s_mov_b64 s[16:17], 0
	s_and_b64 vcc, exec, s[6:7]
	s_cbranch_vccz .LBB56_1888
; %bb.1881:
	v_mov_b32_e32 v5, 28
	v_cmp_gt_i16_sdwa s[6:7], s25, v5 src0_sel:BYTE_0 src1_sel:DWORD
	s_and_b64 vcc, exec, s[6:7]
	s_cbranch_vccz .LBB56_1889
; %bb.1882:
	v_mov_b32_e32 v5, 43
	v_cmp_gt_i16_sdwa s[6:7], s25, v5 src0_sel:BYTE_0 src1_sel:DWORD
	;; [unrolled: 5-line block ×3, first 2 shown]
	s_and_b64 vcc, exec, s[6:7]
	s_cbranch_vccz .LBB56_1892
; %bb.1884:
	v_mov_b32_e32 v5, 46
	v_cmp_eq_u16_sdwa s[6:7], s25, v5 src0_sel:BYTE_0 src1_sel:DWORD
	s_mov_b64 s[20:21], 0
	s_and_b64 vcc, exec, s[6:7]
	s_cbranch_vccz .LBB56_1893
; %bb.1885:
	global_load_dword v5, v[18:19], off
	s_mov_b64 s[6:7], 0
	s_mov_b64 s[18:19], -1
	s_waitcnt vmcnt(0)
	v_lshlrev_b32_e32 v5, 16, v5
	v_cvt_f16_f32_e32 v5, v5
	s_branch .LBB56_1894
.LBB56_1886:
	s_mov_b64 s[18:19], 0
                                        ; implicit-def: $vgpr5
	s_cbranch_execnz .LBB56_1960
.LBB56_1887:
	s_andn2_b64 vcc, exec, s[18:19]
	s_cbranch_vccnz .LBB56_3113
	s_branch .LBB56_2008
.LBB56_1888:
	s_mov_b64 s[20:21], -1
	s_mov_b64 s[18:19], 0
	s_mov_b64 s[6:7], 0
                                        ; implicit-def: $vgpr5
	s_branch .LBB56_1923
.LBB56_1889:
	s_mov_b64 s[20:21], -1
	s_mov_b64 s[18:19], 0
	s_mov_b64 s[6:7], 0
                                        ; implicit-def: $vgpr5
	s_branch .LBB56_1904
.LBB56_1890:
	s_mov_b64 s[20:21], -1
	s_mov_b64 s[18:19], 0
	s_mov_b64 s[6:7], 0
                                        ; implicit-def: $vgpr5
	s_branch .LBB56_1899
.LBB56_1891:
	s_trap 2
	s_or_b64 s[4:5], s[4:5], exec
                                        ; implicit-def: $vgpr3
	s_cbranch_execz .LBB56_1830
	s_branch .LBB56_1831
.LBB56_1892:
	s_mov_b64 s[20:21], -1
	s_mov_b64 s[18:19], 0
	s_mov_b64 s[6:7], 0
                                        ; implicit-def: $vgpr5
	s_branch .LBB56_1894
.LBB56_1893:
	s_mov_b64 s[6:7], -1
                                        ; implicit-def: $vgpr5
	s_mov_b64 s[18:19], 0
.LBB56_1894:
	s_and_b64 vcc, exec, s[20:21]
	s_cbranch_vccz .LBB56_1898
; %bb.1895:
	v_mov_b32_e32 v5, 44
	v_cmp_eq_u16_sdwa s[6:7], s25, v5 src0_sel:BYTE_0 src1_sel:DWORD
	s_and_b64 vcc, exec, s[6:7]
	s_cbranch_vccz .LBB56_1897
; %bb.1896:
	global_load_ubyte v5, v[18:19], off
	s_movk_i32 s18, 0xff
	v_mov_b32_e32 v9, 0x7e00
	s_mov_b64 s[6:7], 0
	s_waitcnt vmcnt(0)
	v_lshlrev_b32_e32 v7, 23, v5
	v_cvt_f16_f32_e32 v7, v7
	v_cmp_ne_u32_e32 vcc, s18, v5
	s_mov_b64 s[18:19], -1
	v_cndmask_b32_e32 v7, v9, v7, vcc
	v_cmp_ne_u32_e32 vcc, 0, v5
	v_cndmask_b32_e32 v5, 0, v7, vcc
	s_branch .LBB56_1898
.LBB56_1897:
	s_mov_b64 s[6:7], -1
                                        ; implicit-def: $vgpr5
.LBB56_1898:
	s_mov_b64 s[20:21], 0
.LBB56_1899:
	s_and_b64 vcc, exec, s[20:21]
	s_cbranch_vccz .LBB56_1903
; %bb.1900:
	v_mov_b32_e32 v5, 29
	v_cmp_eq_u16_sdwa s[6:7], s25, v5 src0_sel:BYTE_0 src1_sel:DWORD
	s_and_b64 vcc, exec, s[6:7]
	s_cbranch_vccz .LBB56_1902
; %bb.1901:
	global_load_dwordx2 v[20:21], v[18:19], off
	s_mov_b64 s[6:7], 0
	s_mov_b64 s[18:19], -1
	s_mov_b64 s[20:21], 0
	s_waitcnt vmcnt(0)
	v_ffbh_u32_e32 v5, v21
	v_min_u32_e32 v5, 32, v5
	v_lshlrev_b64 v[20:21], v5, v[20:21]
	v_min_u32_e32 v7, 1, v20
	v_or_b32_e32 v7, v21, v7
	v_cvt_f32_u32_e32 v7, v7
	v_sub_u32_e32 v5, 32, v5
	v_ldexp_f32 v5, v7, v5
	v_cvt_f16_f32_e32 v5, v5
	s_branch .LBB56_1904
.LBB56_1902:
	s_mov_b64 s[6:7], -1
                                        ; implicit-def: $vgpr5
.LBB56_1903:
	s_mov_b64 s[20:21], 0
.LBB56_1904:
	s_and_b64 vcc, exec, s[20:21]
	s_cbranch_vccz .LBB56_1922
; %bb.1905:
	v_mov_b32_e32 v5, 27
	v_cmp_lt_i16_sdwa s[18:19], s25, v5 src0_sel:BYTE_0 src1_sel:DWORD
	s_and_b64 vcc, exec, s[18:19]
	s_cbranch_vccnz .LBB56_1908
; %bb.1906:
	v_cmp_gt_i16_sdwa s[18:19], s25, v5 src0_sel:BYTE_0 src1_sel:DWORD
	s_and_b64 vcc, exec, s[18:19]
	s_cbranch_vccz .LBB56_1909
; %bb.1907:
	global_load_dword v5, v[18:19], off
	s_mov_b64 s[18:19], 0
	s_waitcnt vmcnt(0)
	v_cvt_f32_u32_e32 v5, v5
	v_cvt_f16_f32_e32 v5, v5
	s_branch .LBB56_1910
.LBB56_1908:
	s_mov_b64 s[18:19], -1
                                        ; implicit-def: $vgpr5
	s_branch .LBB56_1913
.LBB56_1909:
	s_mov_b64 s[18:19], -1
                                        ; implicit-def: $vgpr5
.LBB56_1910:
	s_andn2_b64 vcc, exec, s[18:19]
	s_cbranch_vccnz .LBB56_1912
; %bb.1911:
	global_load_ushort v5, v[18:19], off
	s_waitcnt vmcnt(0)
	v_cvt_f16_u16_e32 v5, v5
.LBB56_1912:
	s_mov_b64 s[18:19], 0
.LBB56_1913:
	s_andn2_b64 vcc, exec, s[18:19]
	s_cbranch_vccnz .LBB56_1921
; %bb.1914:
	global_load_ubyte v7, v[18:19], off
	s_movk_i32 s18, 0x7f
                                        ; implicit-def: $sgpr27
	s_waitcnt vmcnt(0)
	v_cmp_lt_i16_e32 vcc, s18, v7
	s_mov_b64 s[18:19], 0
	s_and_saveexec_b64 s[20:21], vcc
	s_xor_b64 s[20:21], exec, s[20:21]
	s_cbranch_execz .LBB56_1935
; %bb.1915:
	s_movk_i32 s18, 0x80
	v_cmp_eq_u16_e32 vcc, s18, v7
	s_mov_b64 s[18:19], -1
                                        ; implicit-def: $sgpr27
	s_and_saveexec_b64 s[22:23], vcc
; %bb.1916:
	s_movk_i32 s27, 0x7e00
	s_xor_b64 s[18:19], exec, -1
; %bb.1917:
	s_or_b64 exec, exec, s[22:23]
	s_and_b64 s[18:19], s[18:19], exec
	s_or_saveexec_b64 s[20:21], s[20:21]
	v_mov_b32_e32 v5, s27
	s_xor_b64 exec, exec, s[20:21]
	s_cbranch_execnz .LBB56_1936
.LBB56_1918:
	s_or_b64 exec, exec, s[20:21]
	s_and_saveexec_b64 s[20:21], s[18:19]
	s_cbranch_execz .LBB56_1920
.LBB56_1919:
	v_lshlrev_b32_e32 v5, 24, v7
	v_and_b32_e32 v7, 0xffff, v7
	v_and_b32_e32 v9, 7, v7
	v_ffbh_u32_e32 v13, v9
	v_min_u32_e32 v13, 32, v13
	v_subrev_u32_e32 v15, 28, v13
	v_bfe_u32 v11, v7, 3, 4
	v_lshlrev_b32_e32 v7, v15, v7
	v_sub_u32_e32 v13, 29, v13
	v_and_b32_e32 v7, 7, v7
	v_cmp_eq_u32_e32 vcc, 0, v11
	v_cndmask_b32_e32 v11, v11, v13, vcc
	v_cndmask_b32_e32 v7, v9, v7, vcc
	v_mov_b32_e32 v9, 0x3b800000
	v_lshlrev_b32_e32 v7, 20, v7
	v_and_b32_e32 v5, 0x80000000, v5
	v_lshl_add_u32 v9, v11, 23, v9
	v_or3_b32 v5, v5, v9, v7
	v_cvt_f16_f32_e32 v5, v5
.LBB56_1920:
	s_or_b64 exec, exec, s[20:21]
.LBB56_1921:
	s_mov_b64 s[18:19], -1
.LBB56_1922:
	s_mov_b64 s[20:21], 0
.LBB56_1923:
	s_and_b64 vcc, exec, s[20:21]
	s_cbranch_vccz .LBB56_1956
; %bb.1924:
	v_mov_b32_e32 v5, 22
	v_cmp_gt_i16_sdwa s[16:17], s25, v5 src0_sel:BYTE_0 src1_sel:DWORD
	s_and_b64 vcc, exec, s[16:17]
	s_cbranch_vccz .LBB56_1934
; %bb.1925:
	v_mov_b32_e32 v5, 24
	v_cmp_lt_i16_sdwa s[16:17], s25, v5 src0_sel:BYTE_0 src1_sel:DWORD
	s_and_b64 vcc, exec, s[16:17]
	s_cbranch_vccnz .LBB56_1937
; %bb.1926:
	v_cmp_gt_i16_sdwa s[16:17], s25, v5 src0_sel:BYTE_0 src1_sel:DWORD
	s_and_b64 vcc, exec, s[16:17]
	s_cbranch_vccz .LBB56_1938
; %bb.1927:
	global_load_ubyte v7, v[18:19], off
	s_movk_i32 s16, 0x7f
                                        ; implicit-def: $sgpr22
	s_waitcnt vmcnt(0)
	v_cmp_lt_i16_e32 vcc, s16, v7
	s_mov_b64 s[16:17], 0
	s_and_saveexec_b64 s[18:19], vcc
	s_xor_b64 s[18:19], exec, s[18:19]
	s_cbranch_execz .LBB56_1950
; %bb.1928:
	s_movk_i32 s16, 0x80
	v_cmp_eq_u16_e32 vcc, s16, v7
	s_mov_b64 s[16:17], -1
                                        ; implicit-def: $sgpr22
	s_and_saveexec_b64 s[20:21], vcc
; %bb.1929:
	s_movk_i32 s22, 0x7e00
	s_xor_b64 s[16:17], exec, -1
; %bb.1930:
	s_or_b64 exec, exec, s[20:21]
	s_and_b64 s[16:17], s[16:17], exec
	s_or_saveexec_b64 s[18:19], s[18:19]
	v_mov_b32_e32 v5, s22
	s_xor_b64 exec, exec, s[18:19]
	s_cbranch_execnz .LBB56_1951
.LBB56_1931:
	s_or_b64 exec, exec, s[18:19]
	s_and_saveexec_b64 s[18:19], s[16:17]
	s_cbranch_execz .LBB56_1933
.LBB56_1932:
	v_lshlrev_b32_e32 v5, 24, v7
	v_and_b32_e32 v7, 0xffff, v7
	v_and_b32_e32 v9, 3, v7
	v_ffbh_u32_e32 v13, v9
	v_min_u32_e32 v13, 32, v13
	v_subrev_u32_e32 v15, 29, v13
	v_bfe_u32 v11, v7, 2, 5
	v_lshlrev_b32_e32 v7, v15, v7
	v_sub_u32_e32 v13, 30, v13
	v_and_b32_e32 v7, 3, v7
	v_cmp_eq_u32_e32 vcc, 0, v11
	v_cndmask_b32_e32 v11, v11, v13, vcc
	v_cndmask_b32_e32 v7, v9, v7, vcc
	v_mov_b32_e32 v9, 0x37800000
	v_lshlrev_b32_e32 v7, 21, v7
	v_and_b32_e32 v5, 0x80000000, v5
	v_lshl_add_u32 v9, v11, 23, v9
	v_or3_b32 v5, v5, v9, v7
	v_cvt_f16_f32_e32 v5, v5
.LBB56_1933:
	s_or_b64 exec, exec, s[18:19]
	s_mov_b64 s[16:17], 0
	s_branch .LBB56_1939
.LBB56_1934:
	s_mov_b64 s[16:17], -1
                                        ; implicit-def: $vgpr5
	s_branch .LBB56_1945
.LBB56_1935:
	s_or_saveexec_b64 s[20:21], s[20:21]
	v_mov_b32_e32 v5, s27
	s_xor_b64 exec, exec, s[20:21]
	s_cbranch_execz .LBB56_1918
.LBB56_1936:
	v_cmp_ne_u16_e32 vcc, 0, v7
	s_andn2_b64 s[18:19], s[18:19], exec
	s_and_b64 s[22:23], vcc, exec
	s_or_b64 s[18:19], s[18:19], s[22:23]
	v_mov_b32_e32 v5, v7
	s_or_b64 exec, exec, s[20:21]
	s_and_saveexec_b64 s[20:21], s[18:19]
	s_cbranch_execnz .LBB56_1919
	s_branch .LBB56_1920
.LBB56_1937:
	s_mov_b64 s[16:17], -1
                                        ; implicit-def: $vgpr5
	s_branch .LBB56_1942
.LBB56_1938:
	s_mov_b64 s[16:17], -1
                                        ; implicit-def: $vgpr5
.LBB56_1939:
	s_and_b64 vcc, exec, s[16:17]
	s_cbranch_vccz .LBB56_1941
; %bb.1940:
	global_load_ubyte v5, v[18:19], off
	s_mov_b32 s16, 0x7f800000
	s_waitcnt vmcnt(0)
	v_lshlrev_b32_e32 v5, 24, v5
	v_and_b32_e32 v7, 0x7f000000, v5
	v_ffbh_u32_e32 v9, v7
	v_min_u32_e32 v9, 32, v9
	v_sub_u32_e64 v9, v9, 4 clamp
	v_lshlrev_b32_e32 v13, v9, v7
	v_lshlrev_b32_e32 v9, 23, v9
	v_lshrrev_b32_e32 v13, 4, v13
	v_add_u32_e32 v11, 0x1000000, v7
	v_sub_u32_e32 v9, v13, v9
	v_ashrrev_i32_e32 v11, 8, v11
	v_add_u32_e32 v9, 0x3c000000, v9
	v_and_or_b32 v9, v11, s16, v9
	v_cmp_ne_u32_e32 vcc, 0, v7
	v_cndmask_b32_e32 v7, 0, v9, vcc
	s_brev_b32 s16, 1
	v_and_or_b32 v5, v5, s16, v7
	v_cvt_f16_f32_e32 v5, v5
.LBB56_1941:
	s_mov_b64 s[16:17], 0
.LBB56_1942:
	s_andn2_b64 vcc, exec, s[16:17]
	s_cbranch_vccnz .LBB56_1944
; %bb.1943:
	global_load_ubyte v5, v[18:19], off
	s_movk_i32 s16, 0x7f00
	s_brev_b32 s17, 16
	s_waitcnt vmcnt(0)
	v_lshlrev_b16_e32 v7, 8, v5
	v_lshlrev_b32_e32 v5, 25, v5
	v_lshrrev_b32_e32 v9, 4, v5
	v_and_or_b32 v11, v7, s16, 0.5
	v_or_b32_e32 v9, 0x70000000, v9
	v_add_f32_e32 v11, -0.5, v11
	v_mul_f32_e32 v9, 0x7800000, v9
	v_cmp_gt_u32_e32 vcc, s17, v5
	v_bfe_i32 v7, v7, 0, 16
	v_cndmask_b32_e32 v5, v9, v11, vcc
	s_brev_b32 s16, 1
	v_and_or_b32 v5, v7, s16, v5
	v_cvt_f16_f32_e32 v5, v5
.LBB56_1944:
	s_mov_b64 s[16:17], 0
	s_mov_b64 s[18:19], -1
.LBB56_1945:
	s_andn2_b64 vcc, exec, s[16:17]
	s_mov_b64 s[16:17], 0
	s_cbranch_vccnz .LBB56_1956
; %bb.1946:
	v_mov_b32_e32 v5, 14
	v_cmp_gt_i16_sdwa s[16:17], s25, v5 src0_sel:BYTE_0 src1_sel:DWORD
	s_and_b64 vcc, exec, s[16:17]
	s_cbranch_vccz .LBB56_1949
; %bb.1947:
	v_mov_b32_e32 v5, 15
	v_cmp_eq_u16_sdwa s[6:7], s25, v5 src0_sel:BYTE_0 src1_sel:DWORD
	s_and_b64 vcc, exec, s[6:7]
	s_cbranch_vccz .LBB56_1952
; %bb.1948:
	global_load_ushort v5, v[18:19], off
	s_mov_b64 s[6:7], 0
	s_mov_b64 s[18:19], -1
	s_waitcnt vmcnt(0)
	v_lshlrev_b32_e32 v5, 16, v5
	v_cvt_f16_f32_e32 v5, v5
	s_branch .LBB56_1953
.LBB56_1949:
	s_mov_b64 s[20:21], -1
                                        ; implicit-def: $vgpr5
	s_branch .LBB56_1954
.LBB56_1950:
	s_or_saveexec_b64 s[18:19], s[18:19]
	v_mov_b32_e32 v5, s22
	s_xor_b64 exec, exec, s[18:19]
	s_cbranch_execz .LBB56_1931
.LBB56_1951:
	v_cmp_ne_u16_e32 vcc, 0, v7
	s_andn2_b64 s[16:17], s[16:17], exec
	s_and_b64 s[20:21], vcc, exec
	s_or_b64 s[16:17], s[16:17], s[20:21]
	v_mov_b32_e32 v5, v7
	s_or_b64 exec, exec, s[18:19]
	s_and_saveexec_b64 s[18:19], s[16:17]
	s_cbranch_execnz .LBB56_1932
	s_branch .LBB56_1933
.LBB56_1952:
	s_mov_b64 s[6:7], -1
                                        ; implicit-def: $vgpr5
.LBB56_1953:
	s_mov_b64 s[20:21], 0
.LBB56_1954:
	s_mov_b64 s[16:17], 0
	s_and_b64 vcc, exec, s[20:21]
	s_cbranch_vccz .LBB56_1956
; %bb.1955:
	v_mov_b32_e32 v5, 11
	v_cmp_ne_u16_sdwa s[6:7], s25, v5 src0_sel:BYTE_0 src1_sel:DWORD
	s_mov_b64 s[16:17], -1
                                        ; implicit-def: $vgpr5
.LBB56_1956:
	s_and_b64 vcc, exec, s[6:7]
	s_cbranch_vccnz .LBB56_2019
; %bb.1957:
	s_andn2_b64 vcc, exec, s[16:17]
	s_cbranch_vccnz .LBB56_1959
.LBB56_1958:
	global_load_ubyte v5, v[18:19], off
	v_mov_b32_e32 v7, 0x3c00
	s_mov_b64 s[18:19], -1
	s_waitcnt vmcnt(0)
	v_cmp_ne_u16_e32 vcc, 0, v5
	v_cndmask_b32_e32 v5, 0, v7, vcc
.LBB56_1959:
	s_branch .LBB56_1887
.LBB56_1960:
	v_mov_b32_e32 v5, 5
	v_cmp_lt_i16_sdwa s[6:7], s25, v5 src0_sel:BYTE_0 src1_sel:DWORD
	s_and_b64 vcc, exec, s[6:7]
	s_cbranch_vccnz .LBB56_1965
; %bb.1961:
	v_mov_b32_e32 v5, 8
	v_cmp_lt_i16_sdwa s[6:7], s25, v5 src0_sel:BYTE_0 src1_sel:DWORD
	s_and_b64 vcc, exec, s[6:7]
	s_cbranch_vccnz .LBB56_1966
; %bb.1962:
	;; [unrolled: 5-line block ×3, first 2 shown]
	v_cmp_gt_i16_sdwa s[6:7], s25, v5 src0_sel:BYTE_0 src1_sel:DWORD
	s_and_b64 vcc, exec, s[6:7]
	s_cbranch_vccz .LBB56_1968
; %bb.1964:
	global_load_dwordx2 v[20:21], v[18:19], off
	s_mov_b64 s[6:7], 0
	s_waitcnt vmcnt(0)
	v_cvt_f32_f64_e32 v5, v[20:21]
	v_cvt_f16_f32_e32 v5, v5
	s_branch .LBB56_1969
.LBB56_1965:
	s_mov_b64 s[6:7], -1
                                        ; implicit-def: $vgpr5
	s_branch .LBB56_1987
.LBB56_1966:
	s_mov_b64 s[6:7], -1
                                        ; implicit-def: $vgpr5
	s_branch .LBB56_1975
.LBB56_1967:
	s_mov_b64 s[6:7], -1
                                        ; implicit-def: $vgpr5
	s_branch .LBB56_1972
.LBB56_1968:
	s_mov_b64 s[6:7], -1
                                        ; implicit-def: $vgpr5
.LBB56_1969:
	s_andn2_b64 vcc, exec, s[6:7]
	s_cbranch_vccnz .LBB56_1971
; %bb.1970:
	global_load_dword v5, v[18:19], off
	s_waitcnt vmcnt(0)
	v_cvt_f16_f32_e32 v5, v5
.LBB56_1971:
	s_mov_b64 s[6:7], 0
.LBB56_1972:
	s_andn2_b64 vcc, exec, s[6:7]
	s_cbranch_vccnz .LBB56_1974
; %bb.1973:
	global_load_dword v5, v[18:19], off
.LBB56_1974:
	s_mov_b64 s[6:7], 0
.LBB56_1975:
	s_andn2_b64 vcc, exec, s[6:7]
	s_cbranch_vccnz .LBB56_1986
; %bb.1976:
	s_waitcnt vmcnt(0)
	v_mov_b32_e32 v5, 6
	v_cmp_lt_i16_sdwa s[6:7], s25, v5 src0_sel:BYTE_0 src1_sel:DWORD
	s_and_b64 vcc, exec, s[6:7]
	s_cbranch_vccnz .LBB56_1979
; %bb.1977:
	v_cmp_gt_i16_sdwa s[6:7], s25, v5 src0_sel:BYTE_0 src1_sel:DWORD
	s_and_b64 vcc, exec, s[6:7]
	s_cbranch_vccz .LBB56_1980
; %bb.1978:
	global_load_dwordx2 v[20:21], v[18:19], off
	s_mov_b64 s[6:7], 0
	s_waitcnt vmcnt(0)
	v_cvt_f32_f64_e32 v5, v[20:21]
	v_cvt_f16_f32_e32 v5, v5
	s_branch .LBB56_1981
.LBB56_1979:
	s_mov_b64 s[6:7], -1
                                        ; implicit-def: $vgpr5
	s_branch .LBB56_1984
.LBB56_1980:
	s_mov_b64 s[6:7], -1
                                        ; implicit-def: $vgpr5
.LBB56_1981:
	s_andn2_b64 vcc, exec, s[6:7]
	s_cbranch_vccnz .LBB56_1983
; %bb.1982:
	global_load_dword v5, v[18:19], off
	s_waitcnt vmcnt(0)
	v_cvt_f16_f32_e32 v5, v5
.LBB56_1983:
	s_mov_b64 s[6:7], 0
.LBB56_1984:
	s_andn2_b64 vcc, exec, s[6:7]
	s_cbranch_vccnz .LBB56_1986
; %bb.1985:
	global_load_ushort v5, v[18:19], off
.LBB56_1986:
	s_mov_b64 s[6:7], 0
.LBB56_1987:
	s_andn2_b64 vcc, exec, s[6:7]
	s_cbranch_vccnz .LBB56_2007
; %bb.1988:
	s_waitcnt vmcnt(0)
	v_mov_b32_e32 v5, 2
	v_cmp_lt_i16_sdwa s[6:7], s25, v5 src0_sel:BYTE_0 src1_sel:DWORD
	s_and_b64 vcc, exec, s[6:7]
	s_cbranch_vccnz .LBB56_1992
; %bb.1989:
	v_mov_b32_e32 v5, 3
	v_cmp_lt_i16_sdwa s[6:7], s25, v5 src0_sel:BYTE_0 src1_sel:DWORD
	s_and_b64 vcc, exec, s[6:7]
	s_cbranch_vccnz .LBB56_1993
; %bb.1990:
	v_cmp_gt_i16_sdwa s[6:7], s25, v5 src0_sel:BYTE_0 src1_sel:DWORD
	s_and_b64 vcc, exec, s[6:7]
	s_cbranch_vccz .LBB56_1994
; %bb.1991:
	global_load_dwordx2 v[20:21], v[18:19], off
	s_mov_b64 s[6:7], 0
	s_waitcnt vmcnt(0)
	v_xor_b32_e32 v7, v20, v21
	v_ffbh_i32_e32 v5, v21
	v_ashrrev_i32_e32 v7, 31, v7
	v_add_u32_e32 v5, -1, v5
	v_add_u32_e32 v7, 32, v7
	v_min_u32_e32 v5, v5, v7
	v_lshlrev_b64 v[20:21], v5, v[20:21]
	v_min_u32_e32 v7, 1, v20
	v_or_b32_e32 v7, v21, v7
	v_cvt_f32_i32_e32 v7, v7
	v_sub_u32_e32 v5, 32, v5
	v_ldexp_f32 v5, v7, v5
	v_cvt_f16_f32_e32 v5, v5
	s_branch .LBB56_1995
.LBB56_1992:
	s_mov_b64 s[6:7], -1
                                        ; implicit-def: $vgpr5
	s_branch .LBB56_2001
.LBB56_1993:
	s_mov_b64 s[6:7], -1
                                        ; implicit-def: $vgpr5
	s_branch .LBB56_1998
.LBB56_1994:
	s_mov_b64 s[6:7], -1
                                        ; implicit-def: $vgpr5
.LBB56_1995:
	s_andn2_b64 vcc, exec, s[6:7]
	s_cbranch_vccnz .LBB56_1997
; %bb.1996:
	global_load_dword v5, v[18:19], off
	s_waitcnt vmcnt(0)
	v_cvt_f32_i32_e32 v5, v5
	v_cvt_f16_f32_e32 v5, v5
.LBB56_1997:
	s_mov_b64 s[6:7], 0
.LBB56_1998:
	s_andn2_b64 vcc, exec, s[6:7]
	s_cbranch_vccnz .LBB56_2000
; %bb.1999:
	global_load_ushort v5, v[18:19], off
	s_waitcnt vmcnt(0)
	v_cvt_f16_i16_e32 v5, v5
.LBB56_2000:
	s_mov_b64 s[6:7], 0
.LBB56_2001:
	s_andn2_b64 vcc, exec, s[6:7]
	s_cbranch_vccnz .LBB56_2007
; %bb.2002:
	v_mov_b32_e32 v5, 0
	v_cmp_gt_i16_sdwa s[6:7], s25, v5 src0_sel:BYTE_0 src1_sel:DWORD
	s_and_b64 vcc, exec, s[6:7]
	s_cbranch_vccz .LBB56_2004
; %bb.2003:
	global_load_sbyte v5, v[18:19], off
	s_mov_b64 s[6:7], 0
	s_waitcnt vmcnt(0)
	v_cvt_f16_i16_e32 v5, v5
	s_branch .LBB56_2005
.LBB56_2004:
	s_mov_b64 s[6:7], -1
                                        ; implicit-def: $vgpr5
.LBB56_2005:
	s_andn2_b64 vcc, exec, s[6:7]
	s_cbranch_vccnz .LBB56_2007
; %bb.2006:
	global_load_ubyte v5, v[18:19], off
	s_waitcnt vmcnt(0)
	v_cvt_f16_u16_e32 v5, v5
.LBB56_2007:
.LBB56_2008:
	v_mov_b32_e32 v7, s1
	v_add_co_u32_e32 v16, vcc, s0, v16
	v_addc_co_u32_e32 v17, vcc, 0, v7, vcc
	s_and_b64 vcc, exec, s[2:3]
	s_cbranch_vccnz .LBB56_2015
; %bb.2009:
	v_cmp_gt_i16_e64 s[6:7], s26, 25
	s_mov_b64 s[16:17], 0
	s_and_b64 vcc, exec, s[6:7]
	s_cbranch_vccz .LBB56_2016
; %bb.2010:
	v_cmp_gt_i16_e64 s[6:7], s26, 28
	s_and_b64 vcc, exec, s[6:7]
	s_cbranch_vccz .LBB56_2017
; %bb.2011:
	v_cmp_gt_i16_e64 s[6:7], s26, 43
	s_and_b64 vcc, exec, s[6:7]
	s_cbranch_vccz .LBB56_2018
; %bb.2012:
	v_cmp_gt_i16_e64 s[6:7], s26, 45
	s_and_b64 vcc, exec, s[6:7]
	s_cbranch_vccz .LBB56_2020
; %bb.2013:
	v_cmp_eq_u16_e64 s[6:7], s26, 46
	s_mov_b64 s[20:21], 0
	s_and_b64 vcc, exec, s[6:7]
	s_cbranch_vccz .LBB56_2021
; %bb.2014:
	global_load_dword v7, v[16:17], off
	s_mov_b64 s[6:7], 0
	s_mov_b64 s[18:19], -1
	s_waitcnt vmcnt(0)
	v_lshlrev_b32_e32 v7, 16, v7
	v_cvt_f16_f32_e32 v18, v7
	s_branch .LBB56_2022
.LBB56_2015:
	s_mov_b64 s[6:7], -1
	s_mov_b64 s[18:19], 0
                                        ; implicit-def: $vgpr18
	s_branch .LBB56_2088
.LBB56_2016:
	s_mov_b64 s[20:21], -1
	s_mov_b64 s[18:19], 0
	s_mov_b64 s[6:7], 0
                                        ; implicit-def: $vgpr18
	s_branch .LBB56_2051
.LBB56_2017:
	s_mov_b64 s[20:21], -1
	s_mov_b64 s[18:19], 0
	s_mov_b64 s[6:7], 0
                                        ; implicit-def: $vgpr18
	s_branch .LBB56_2032
.LBB56_2018:
	s_mov_b64 s[20:21], -1
	s_mov_b64 s[18:19], 0
	s_mov_b64 s[6:7], 0
                                        ; implicit-def: $vgpr18
	s_branch .LBB56_2027
.LBB56_2019:
	s_trap 2
	s_or_b64 s[4:5], s[4:5], exec
                                        ; implicit-def: $vgpr5
	s_cbranch_execz .LBB56_1958
	s_branch .LBB56_1959
.LBB56_2020:
	s_mov_b64 s[20:21], -1
	s_mov_b64 s[18:19], 0
	s_mov_b64 s[6:7], 0
                                        ; implicit-def: $vgpr18
	s_branch .LBB56_2022
.LBB56_2021:
	s_mov_b64 s[6:7], -1
                                        ; implicit-def: $vgpr18
	s_mov_b64 s[18:19], 0
.LBB56_2022:
	s_and_b64 vcc, exec, s[20:21]
	s_cbranch_vccz .LBB56_2026
; %bb.2023:
	v_cmp_eq_u16_e64 s[6:7], s26, 44
	s_and_b64 vcc, exec, s[6:7]
	s_cbranch_vccz .LBB56_2025
; %bb.2024:
	global_load_ubyte v7, v[16:17], off
	s_movk_i32 s18, 0xff
	v_mov_b32_e32 v11, 0x7e00
	s_mov_b64 s[6:7], 0
	s_waitcnt vmcnt(0)
	v_lshlrev_b32_e32 v9, 23, v7
	v_cvt_f16_f32_e32 v9, v9
	v_cmp_ne_u32_e32 vcc, s18, v7
	s_mov_b64 s[18:19], -1
	v_cndmask_b32_e32 v9, v11, v9, vcc
	v_cmp_ne_u32_e32 vcc, 0, v7
	v_cndmask_b32_e32 v18, 0, v9, vcc
	s_branch .LBB56_2026
.LBB56_2025:
	s_mov_b64 s[6:7], -1
                                        ; implicit-def: $vgpr18
.LBB56_2026:
	s_mov_b64 s[20:21], 0
.LBB56_2027:
	s_and_b64 vcc, exec, s[20:21]
	s_cbranch_vccz .LBB56_2031
; %bb.2028:
	v_cmp_eq_u16_e64 s[6:7], s26, 29
	s_and_b64 vcc, exec, s[6:7]
	s_cbranch_vccz .LBB56_2030
; %bb.2029:
	global_load_dwordx2 v[18:19], v[16:17], off
	s_mov_b64 s[6:7], 0
	s_mov_b64 s[18:19], -1
	s_mov_b64 s[20:21], 0
	s_waitcnt vmcnt(0)
	v_ffbh_u32_e32 v7, v19
	v_min_u32_e32 v7, 32, v7
	v_lshlrev_b64 v[18:19], v7, v[18:19]
	v_min_u32_e32 v9, 1, v18
	v_or_b32_e32 v9, v19, v9
	v_cvt_f32_u32_e32 v9, v9
	v_sub_u32_e32 v7, 32, v7
	v_ldexp_f32 v7, v9, v7
	v_cvt_f16_f32_e32 v18, v7
	s_branch .LBB56_2032
.LBB56_2030:
	s_mov_b64 s[6:7], -1
                                        ; implicit-def: $vgpr18
.LBB56_2031:
	s_mov_b64 s[20:21], 0
.LBB56_2032:
	s_and_b64 vcc, exec, s[20:21]
	s_cbranch_vccz .LBB56_2050
; %bb.2033:
	v_cmp_lt_i16_e64 s[18:19], s26, 27
	s_and_b64 vcc, exec, s[18:19]
	s_cbranch_vccnz .LBB56_2036
; %bb.2034:
	v_cmp_gt_i16_e64 s[18:19], s26, 27
	s_and_b64 vcc, exec, s[18:19]
	s_cbranch_vccz .LBB56_2037
; %bb.2035:
	global_load_dword v7, v[16:17], off
	s_mov_b64 s[18:19], 0
	s_waitcnt vmcnt(0)
	v_cvt_f32_u32_e32 v7, v7
	v_cvt_f16_f32_e32 v18, v7
	s_branch .LBB56_2038
.LBB56_2036:
	s_mov_b64 s[18:19], -1
                                        ; implicit-def: $vgpr18
	s_branch .LBB56_2041
.LBB56_2037:
	s_mov_b64 s[18:19], -1
                                        ; implicit-def: $vgpr18
.LBB56_2038:
	s_andn2_b64 vcc, exec, s[18:19]
	s_cbranch_vccnz .LBB56_2040
; %bb.2039:
	global_load_ushort v7, v[16:17], off
	s_waitcnt vmcnt(0)
	v_cvt_f16_u16_e32 v18, v7
.LBB56_2040:
	s_mov_b64 s[18:19], 0
.LBB56_2041:
	s_andn2_b64 vcc, exec, s[18:19]
	s_cbranch_vccnz .LBB56_2049
; %bb.2042:
	global_load_ubyte v7, v[16:17], off
	s_movk_i32 s18, 0x7f
                                        ; implicit-def: $sgpr27
	s_waitcnt vmcnt(0)
	v_cmp_lt_i16_e32 vcc, s18, v7
	s_mov_b64 s[18:19], 0
	s_and_saveexec_b64 s[20:21], vcc
	s_xor_b64 s[20:21], exec, s[20:21]
	s_cbranch_execz .LBB56_2063
; %bb.2043:
	s_movk_i32 s18, 0x80
	v_cmp_eq_u16_e32 vcc, s18, v7
	s_mov_b64 s[18:19], -1
                                        ; implicit-def: $sgpr27
	s_and_saveexec_b64 s[22:23], vcc
; %bb.2044:
	s_movk_i32 s27, 0x7e00
	s_xor_b64 s[18:19], exec, -1
; %bb.2045:
	s_or_b64 exec, exec, s[22:23]
	s_and_b64 s[18:19], s[18:19], exec
	s_or_saveexec_b64 s[20:21], s[20:21]
	v_mov_b32_e32 v18, s27
	s_xor_b64 exec, exec, s[20:21]
	s_cbranch_execnz .LBB56_2064
.LBB56_2046:
	s_or_b64 exec, exec, s[20:21]
	s_and_saveexec_b64 s[20:21], s[18:19]
	s_cbranch_execz .LBB56_2048
.LBB56_2047:
	v_lshlrev_b32_e32 v9, 24, v7
	v_and_b32_e32 v7, 0xffff, v7
	v_and_b32_e32 v11, 7, v7
	v_ffbh_u32_e32 v15, v11
	v_min_u32_e32 v15, 32, v15
	v_subrev_u32_e32 v18, 28, v15
	v_bfe_u32 v13, v7, 3, 4
	v_lshlrev_b32_e32 v7, v18, v7
	v_sub_u32_e32 v15, 29, v15
	v_and_b32_e32 v7, 7, v7
	v_cmp_eq_u32_e32 vcc, 0, v13
	v_cndmask_b32_e32 v13, v13, v15, vcc
	v_cndmask_b32_e32 v7, v11, v7, vcc
	v_mov_b32_e32 v11, 0x3b800000
	v_lshlrev_b32_e32 v7, 20, v7
	v_and_b32_e32 v9, 0x80000000, v9
	v_lshl_add_u32 v11, v13, 23, v11
	v_or3_b32 v7, v9, v11, v7
	v_cvt_f16_f32_e32 v18, v7
.LBB56_2048:
	s_or_b64 exec, exec, s[20:21]
.LBB56_2049:
	s_mov_b64 s[18:19], -1
.LBB56_2050:
	s_mov_b64 s[20:21], 0
.LBB56_2051:
	s_and_b64 vcc, exec, s[20:21]
	s_cbranch_vccz .LBB56_2084
; %bb.2052:
	v_cmp_gt_i16_e64 s[16:17], s26, 22
	s_and_b64 vcc, exec, s[16:17]
	s_cbranch_vccz .LBB56_2062
; %bb.2053:
	v_cmp_lt_i16_e64 s[16:17], s26, 24
	s_and_b64 vcc, exec, s[16:17]
	s_cbranch_vccnz .LBB56_2065
; %bb.2054:
	v_cmp_gt_i16_e64 s[16:17], s26, 24
	s_and_b64 vcc, exec, s[16:17]
	s_cbranch_vccz .LBB56_2066
; %bb.2055:
	global_load_ubyte v7, v[16:17], off
	s_movk_i32 s16, 0x7f
                                        ; implicit-def: $sgpr22
	s_waitcnt vmcnt(0)
	v_cmp_lt_i16_e32 vcc, s16, v7
	s_mov_b64 s[16:17], 0
	s_and_saveexec_b64 s[18:19], vcc
	s_xor_b64 s[18:19], exec, s[18:19]
	s_cbranch_execz .LBB56_2078
; %bb.2056:
	s_movk_i32 s16, 0x80
	v_cmp_eq_u16_e32 vcc, s16, v7
	s_mov_b64 s[16:17], -1
                                        ; implicit-def: $sgpr22
	s_and_saveexec_b64 s[20:21], vcc
; %bb.2057:
	s_movk_i32 s22, 0x7e00
	s_xor_b64 s[16:17], exec, -1
; %bb.2058:
	s_or_b64 exec, exec, s[20:21]
	s_and_b64 s[16:17], s[16:17], exec
	s_or_saveexec_b64 s[18:19], s[18:19]
	v_mov_b32_e32 v18, s22
	s_xor_b64 exec, exec, s[18:19]
	s_cbranch_execnz .LBB56_2079
.LBB56_2059:
	s_or_b64 exec, exec, s[18:19]
	s_and_saveexec_b64 s[18:19], s[16:17]
	s_cbranch_execz .LBB56_2061
.LBB56_2060:
	v_lshlrev_b32_e32 v9, 24, v7
	v_and_b32_e32 v7, 0xffff, v7
	v_and_b32_e32 v11, 3, v7
	v_ffbh_u32_e32 v15, v11
	v_min_u32_e32 v15, 32, v15
	v_subrev_u32_e32 v18, 29, v15
	v_bfe_u32 v13, v7, 2, 5
	v_lshlrev_b32_e32 v7, v18, v7
	v_sub_u32_e32 v15, 30, v15
	v_and_b32_e32 v7, 3, v7
	v_cmp_eq_u32_e32 vcc, 0, v13
	v_cndmask_b32_e32 v13, v13, v15, vcc
	v_cndmask_b32_e32 v7, v11, v7, vcc
	v_mov_b32_e32 v11, 0x37800000
	v_lshlrev_b32_e32 v7, 21, v7
	v_and_b32_e32 v9, 0x80000000, v9
	v_lshl_add_u32 v11, v13, 23, v11
	v_or3_b32 v7, v9, v11, v7
	v_cvt_f16_f32_e32 v18, v7
.LBB56_2061:
	s_or_b64 exec, exec, s[18:19]
	s_mov_b64 s[16:17], 0
	s_branch .LBB56_2067
.LBB56_2062:
	s_mov_b64 s[16:17], -1
                                        ; implicit-def: $vgpr18
	s_branch .LBB56_2073
.LBB56_2063:
	s_or_saveexec_b64 s[20:21], s[20:21]
	v_mov_b32_e32 v18, s27
	s_xor_b64 exec, exec, s[20:21]
	s_cbranch_execz .LBB56_2046
.LBB56_2064:
	v_cmp_ne_u16_e32 vcc, 0, v7
	s_andn2_b64 s[18:19], s[18:19], exec
	s_and_b64 s[22:23], vcc, exec
	s_or_b64 s[18:19], s[18:19], s[22:23]
	v_mov_b32_e32 v18, v7
	s_or_b64 exec, exec, s[20:21]
	s_and_saveexec_b64 s[20:21], s[18:19]
	s_cbranch_execnz .LBB56_2047
	s_branch .LBB56_2048
.LBB56_2065:
	s_mov_b64 s[16:17], -1
                                        ; implicit-def: $vgpr18
	s_branch .LBB56_2070
.LBB56_2066:
	s_mov_b64 s[16:17], -1
                                        ; implicit-def: $vgpr18
.LBB56_2067:
	s_and_b64 vcc, exec, s[16:17]
	s_cbranch_vccz .LBB56_2069
; %bb.2068:
	global_load_ubyte v7, v[16:17], off
	s_mov_b32 s16, 0x7f800000
	s_waitcnt vmcnt(0)
	v_lshlrev_b32_e32 v7, 24, v7
	v_and_b32_e32 v9, 0x7f000000, v7
	v_ffbh_u32_e32 v11, v9
	v_min_u32_e32 v11, 32, v11
	v_sub_u32_e64 v11, v11, 4 clamp
	v_lshlrev_b32_e32 v15, v11, v9
	v_lshlrev_b32_e32 v11, 23, v11
	v_lshrrev_b32_e32 v15, 4, v15
	v_add_u32_e32 v13, 0x1000000, v9
	v_sub_u32_e32 v11, v15, v11
	v_ashrrev_i32_e32 v13, 8, v13
	v_add_u32_e32 v11, 0x3c000000, v11
	v_and_or_b32 v11, v13, s16, v11
	v_cmp_ne_u32_e32 vcc, 0, v9
	v_cndmask_b32_e32 v9, 0, v11, vcc
	s_brev_b32 s16, 1
	v_and_or_b32 v7, v7, s16, v9
	v_cvt_f16_f32_e32 v18, v7
.LBB56_2069:
	s_mov_b64 s[16:17], 0
.LBB56_2070:
	s_andn2_b64 vcc, exec, s[16:17]
	s_cbranch_vccnz .LBB56_2072
; %bb.2071:
	global_load_ubyte v7, v[16:17], off
	s_movk_i32 s16, 0x7f00
	s_brev_b32 s17, 16
	s_waitcnt vmcnt(0)
	v_lshlrev_b16_e32 v9, 8, v7
	v_lshlrev_b32_e32 v7, 25, v7
	v_lshrrev_b32_e32 v11, 4, v7
	v_and_or_b32 v13, v9, s16, 0.5
	v_or_b32_e32 v11, 0x70000000, v11
	v_add_f32_e32 v13, -0.5, v13
	v_mul_f32_e32 v11, 0x7800000, v11
	v_cmp_gt_u32_e32 vcc, s17, v7
	v_bfe_i32 v9, v9, 0, 16
	v_cndmask_b32_e32 v7, v11, v13, vcc
	s_brev_b32 s16, 1
	v_and_or_b32 v7, v9, s16, v7
	v_cvt_f16_f32_e32 v18, v7
.LBB56_2072:
	s_mov_b64 s[16:17], 0
	s_mov_b64 s[18:19], -1
.LBB56_2073:
	s_andn2_b64 vcc, exec, s[16:17]
	s_mov_b64 s[16:17], 0
	s_cbranch_vccnz .LBB56_2084
; %bb.2074:
	v_cmp_gt_i16_e64 s[16:17], s26, 14
	s_and_b64 vcc, exec, s[16:17]
	s_cbranch_vccz .LBB56_2077
; %bb.2075:
	v_cmp_eq_u16_e64 s[6:7], s26, 15
	s_and_b64 vcc, exec, s[6:7]
	s_cbranch_vccz .LBB56_2080
; %bb.2076:
	global_load_ushort v7, v[16:17], off
	s_mov_b64 s[6:7], 0
	s_mov_b64 s[18:19], -1
	s_waitcnt vmcnt(0)
	v_lshlrev_b32_e32 v7, 16, v7
	v_cvt_f16_f32_e32 v18, v7
	s_branch .LBB56_2081
.LBB56_2077:
	s_mov_b64 s[20:21], -1
                                        ; implicit-def: $vgpr18
	s_branch .LBB56_2082
.LBB56_2078:
	s_or_saveexec_b64 s[18:19], s[18:19]
	v_mov_b32_e32 v18, s22
	s_xor_b64 exec, exec, s[18:19]
	s_cbranch_execz .LBB56_2059
.LBB56_2079:
	v_cmp_ne_u16_e32 vcc, 0, v7
	s_andn2_b64 s[16:17], s[16:17], exec
	s_and_b64 s[20:21], vcc, exec
	s_or_b64 s[16:17], s[16:17], s[20:21]
	v_mov_b32_e32 v18, v7
	s_or_b64 exec, exec, s[18:19]
	s_and_saveexec_b64 s[18:19], s[16:17]
	s_cbranch_execnz .LBB56_2060
	s_branch .LBB56_2061
.LBB56_2080:
	s_mov_b64 s[6:7], -1
                                        ; implicit-def: $vgpr18
.LBB56_2081:
	s_mov_b64 s[20:21], 0
.LBB56_2082:
	s_mov_b64 s[16:17], 0
	s_and_b64 vcc, exec, s[20:21]
	s_cbranch_vccz .LBB56_2084
; %bb.2083:
	v_cmp_ne_u16_e64 s[6:7], s26, 11
	s_mov_b64 s[16:17], -1
                                        ; implicit-def: $vgpr18
.LBB56_2084:
	s_and_b64 vcc, exec, s[6:7]
	s_cbranch_vccnz .LBB56_2149
; %bb.2085:
	s_andn2_b64 vcc, exec, s[16:17]
	s_cbranch_vccnz .LBB56_2087
.LBB56_2086:
	global_load_ubyte v7, v[16:17], off
	v_mov_b32_e32 v9, 0x3c00
	s_mov_b64 s[18:19], -1
	s_waitcnt vmcnt(0)
	v_cmp_ne_u16_e32 vcc, 0, v7
	v_cndmask_b32_e32 v18, 0, v9, vcc
.LBB56_2087:
	s_mov_b64 s[6:7], 0
.LBB56_2088:
	s_and_b64 vcc, exec, s[6:7]
	s_cbranch_vccz .LBB56_2137
; %bb.2089:
	v_cmp_lt_i16_e64 s[6:7], s26, 5
	s_and_b64 vcc, exec, s[6:7]
	s_cbranch_vccnz .LBB56_2094
; %bb.2090:
	v_cmp_lt_i16_e64 s[6:7], s26, 8
	s_and_b64 vcc, exec, s[6:7]
	s_cbranch_vccnz .LBB56_2095
	;; [unrolled: 4-line block ×3, first 2 shown]
; %bb.2092:
	v_cmp_gt_i16_e64 s[6:7], s26, 9
	s_and_b64 vcc, exec, s[6:7]
	s_cbranch_vccz .LBB56_2097
; %bb.2093:
	global_load_dwordx2 v[18:19], v[16:17], off
	s_mov_b64 s[6:7], 0
	s_waitcnt vmcnt(0)
	v_cvt_f32_f64_e32 v7, v[18:19]
	v_cvt_f16_f32_e32 v18, v7
	s_branch .LBB56_2098
.LBB56_2094:
	s_mov_b64 s[6:7], -1
                                        ; implicit-def: $vgpr18
	s_branch .LBB56_2116
.LBB56_2095:
	s_mov_b64 s[6:7], -1
                                        ; implicit-def: $vgpr18
	s_branch .LBB56_2104
.LBB56_2096:
	s_mov_b64 s[6:7], -1
                                        ; implicit-def: $vgpr18
	s_branch .LBB56_2101
.LBB56_2097:
	s_mov_b64 s[6:7], -1
                                        ; implicit-def: $vgpr18
.LBB56_2098:
	s_andn2_b64 vcc, exec, s[6:7]
	s_cbranch_vccnz .LBB56_2100
; %bb.2099:
	global_load_dword v7, v[16:17], off
	s_waitcnt vmcnt(0)
	v_cvt_f16_f32_e32 v18, v7
.LBB56_2100:
	s_mov_b64 s[6:7], 0
.LBB56_2101:
	s_andn2_b64 vcc, exec, s[6:7]
	s_cbranch_vccnz .LBB56_2103
; %bb.2102:
	global_load_dword v18, v[16:17], off
.LBB56_2103:
	s_mov_b64 s[6:7], 0
.LBB56_2104:
	s_andn2_b64 vcc, exec, s[6:7]
	s_cbranch_vccnz .LBB56_2115
; %bb.2105:
	v_cmp_lt_i16_e64 s[6:7], s26, 6
	s_and_b64 vcc, exec, s[6:7]
	s_cbranch_vccnz .LBB56_2108
; %bb.2106:
	v_cmp_gt_i16_e64 s[6:7], s26, 6
	s_and_b64 vcc, exec, s[6:7]
	s_cbranch_vccz .LBB56_2109
; %bb.2107:
	global_load_dwordx2 v[18:19], v[16:17], off
	s_mov_b64 s[6:7], 0
	s_waitcnt vmcnt(0)
	v_cvt_f32_f64_e32 v7, v[18:19]
	v_cvt_f16_f32_e32 v18, v7
	s_branch .LBB56_2110
.LBB56_2108:
	s_mov_b64 s[6:7], -1
                                        ; implicit-def: $vgpr18
	s_branch .LBB56_2113
.LBB56_2109:
	s_mov_b64 s[6:7], -1
                                        ; implicit-def: $vgpr18
.LBB56_2110:
	s_andn2_b64 vcc, exec, s[6:7]
	s_cbranch_vccnz .LBB56_2112
; %bb.2111:
	global_load_dword v7, v[16:17], off
	s_waitcnt vmcnt(0)
	v_cvt_f16_f32_e32 v18, v7
.LBB56_2112:
	s_mov_b64 s[6:7], 0
.LBB56_2113:
	s_andn2_b64 vcc, exec, s[6:7]
	s_cbranch_vccnz .LBB56_2115
; %bb.2114:
	global_load_ushort v18, v[16:17], off
.LBB56_2115:
	s_mov_b64 s[6:7], 0
.LBB56_2116:
	s_andn2_b64 vcc, exec, s[6:7]
	s_cbranch_vccnz .LBB56_2136
; %bb.2117:
	v_cmp_lt_i16_e64 s[6:7], s26, 2
	s_and_b64 vcc, exec, s[6:7]
	s_cbranch_vccnz .LBB56_2121
; %bb.2118:
	v_cmp_lt_i16_e64 s[6:7], s26, 3
	s_and_b64 vcc, exec, s[6:7]
	s_cbranch_vccnz .LBB56_2122
; %bb.2119:
	v_cmp_gt_i16_e64 s[6:7], s26, 3
	s_and_b64 vcc, exec, s[6:7]
	s_cbranch_vccz .LBB56_2123
; %bb.2120:
	global_load_dwordx2 v[18:19], v[16:17], off
	s_mov_b64 s[6:7], 0
	s_waitcnt vmcnt(0)
	v_xor_b32_e32 v9, v18, v19
	v_ffbh_i32_e32 v7, v19
	v_ashrrev_i32_e32 v9, 31, v9
	v_add_u32_e32 v7, -1, v7
	v_add_u32_e32 v9, 32, v9
	v_min_u32_e32 v7, v7, v9
	v_lshlrev_b64 v[18:19], v7, v[18:19]
	v_min_u32_e32 v9, 1, v18
	v_or_b32_e32 v9, v19, v9
	v_cvt_f32_i32_e32 v9, v9
	v_sub_u32_e32 v7, 32, v7
	v_ldexp_f32 v7, v9, v7
	v_cvt_f16_f32_e32 v18, v7
	s_branch .LBB56_2124
.LBB56_2121:
	s_mov_b64 s[6:7], -1
                                        ; implicit-def: $vgpr18
	s_branch .LBB56_2130
.LBB56_2122:
	s_mov_b64 s[6:7], -1
                                        ; implicit-def: $vgpr18
	s_branch .LBB56_2127
.LBB56_2123:
	s_mov_b64 s[6:7], -1
                                        ; implicit-def: $vgpr18
.LBB56_2124:
	s_andn2_b64 vcc, exec, s[6:7]
	s_cbranch_vccnz .LBB56_2126
; %bb.2125:
	global_load_dword v7, v[16:17], off
	s_waitcnt vmcnt(0)
	v_cvt_f32_i32_e32 v7, v7
	v_cvt_f16_f32_e32 v18, v7
.LBB56_2126:
	s_mov_b64 s[6:7], 0
.LBB56_2127:
	s_andn2_b64 vcc, exec, s[6:7]
	s_cbranch_vccnz .LBB56_2129
; %bb.2128:
	global_load_ushort v7, v[16:17], off
	s_waitcnt vmcnt(0)
	v_cvt_f16_i16_e32 v18, v7
.LBB56_2129:
	s_mov_b64 s[6:7], 0
.LBB56_2130:
	s_andn2_b64 vcc, exec, s[6:7]
	s_cbranch_vccnz .LBB56_2136
; %bb.2131:
	v_cmp_gt_i16_e64 s[6:7], s26, 0
	s_and_b64 vcc, exec, s[6:7]
	s_cbranch_vccz .LBB56_2133
; %bb.2132:
	global_load_sbyte v7, v[16:17], off
	s_mov_b64 s[6:7], 0
	s_waitcnt vmcnt(0)
	v_cvt_f16_i16_e32 v18, v7
	s_branch .LBB56_2134
.LBB56_2133:
	s_mov_b64 s[6:7], -1
                                        ; implicit-def: $vgpr18
.LBB56_2134:
	s_andn2_b64 vcc, exec, s[6:7]
	s_cbranch_vccnz .LBB56_2136
; %bb.2135:
	global_load_ubyte v7, v[16:17], off
	s_waitcnt vmcnt(0)
	v_cvt_f16_u16_e32 v18, v7
.LBB56_2136:
	s_mov_b64 s[18:19], -1
.LBB56_2137:
	s_andn2_b64 vcc, exec, s[18:19]
	s_cbranch_vccnz .LBB56_3113
; %bb.2138:
	v_mov_b32_e32 v7, s11
	v_add_co_u32_e32 v14, vcc, s10, v14
	v_addc_co_u32_e32 v15, vcc, 0, v7, vcc
	v_mov_b32_e32 v7, 11
	v_cmp_lt_i16_sdwa s[6:7], s25, v7 src0_sel:BYTE_0 src1_sel:DWORD
	s_and_b64 vcc, exec, s[6:7]
	s_cbranch_vccnz .LBB56_2145
; %bb.2139:
	v_mov_b32_e32 v7, 25
	v_cmp_gt_i16_sdwa s[6:7], s25, v7 src0_sel:BYTE_0 src1_sel:DWORD
	s_mov_b64 s[16:17], 0
	s_and_b64 vcc, exec, s[6:7]
	s_cbranch_vccz .LBB56_2146
; %bb.2140:
	v_mov_b32_e32 v7, 28
	v_cmp_gt_i16_sdwa s[6:7], s25, v7 src0_sel:BYTE_0 src1_sel:DWORD
	s_and_b64 vcc, exec, s[6:7]
	s_cbranch_vccz .LBB56_2147
; %bb.2141:
	v_mov_b32_e32 v7, 43
	v_cmp_gt_i16_sdwa s[6:7], s25, v7 src0_sel:BYTE_0 src1_sel:DWORD
	;; [unrolled: 5-line block ×3, first 2 shown]
	s_and_b64 vcc, exec, s[6:7]
	s_cbranch_vccz .LBB56_2150
; %bb.2143:
	v_mov_b32_e32 v7, 46
	v_cmp_eq_u16_sdwa s[6:7], s25, v7 src0_sel:BYTE_0 src1_sel:DWORD
	s_mov_b64 s[20:21], 0
	s_and_b64 vcc, exec, s[6:7]
	s_cbranch_vccz .LBB56_2151
; %bb.2144:
	global_load_dword v7, v[14:15], off
	s_mov_b64 s[6:7], 0
	s_mov_b64 s[18:19], -1
	s_waitcnt vmcnt(0)
	v_lshlrev_b32_e32 v7, 16, v7
	v_cvt_f16_f32_e32 v16, v7
	s_branch .LBB56_2152
.LBB56_2145:
	s_mov_b64 s[6:7], -1
	s_mov_b64 s[18:19], 0
                                        ; implicit-def: $vgpr16
	s_branch .LBB56_2218
.LBB56_2146:
	s_mov_b64 s[20:21], -1
	s_mov_b64 s[18:19], 0
	s_mov_b64 s[6:7], 0
                                        ; implicit-def: $vgpr16
	s_branch .LBB56_2181
.LBB56_2147:
	s_mov_b64 s[20:21], -1
	s_mov_b64 s[18:19], 0
	s_mov_b64 s[6:7], 0
                                        ; implicit-def: $vgpr16
	s_branch .LBB56_2162
.LBB56_2148:
	s_mov_b64 s[20:21], -1
	s_mov_b64 s[18:19], 0
	s_mov_b64 s[6:7], 0
                                        ; implicit-def: $vgpr16
	s_branch .LBB56_2157
.LBB56_2149:
	s_trap 2
	s_or_b64 s[4:5], s[4:5], exec
                                        ; implicit-def: $vgpr18
	s_cbranch_execz .LBB56_2086
	s_branch .LBB56_2087
.LBB56_2150:
	s_mov_b64 s[20:21], -1
	s_mov_b64 s[18:19], 0
	s_mov_b64 s[6:7], 0
                                        ; implicit-def: $vgpr16
	s_branch .LBB56_2152
.LBB56_2151:
	s_mov_b64 s[6:7], -1
                                        ; implicit-def: $vgpr16
	s_mov_b64 s[18:19], 0
.LBB56_2152:
	s_and_b64 vcc, exec, s[20:21]
	s_cbranch_vccz .LBB56_2156
; %bb.2153:
	v_mov_b32_e32 v7, 44
	v_cmp_eq_u16_sdwa s[6:7], s25, v7 src0_sel:BYTE_0 src1_sel:DWORD
	s_and_b64 vcc, exec, s[6:7]
	s_cbranch_vccz .LBB56_2155
; %bb.2154:
	global_load_ubyte v7, v[14:15], off
	s_movk_i32 s18, 0xff
	v_mov_b32_e32 v11, 0x7e00
	s_mov_b64 s[6:7], 0
	s_waitcnt vmcnt(0)
	v_lshlrev_b32_e32 v9, 23, v7
	v_cvt_f16_f32_e32 v9, v9
	v_cmp_ne_u32_e32 vcc, s18, v7
	s_mov_b64 s[18:19], -1
	v_cndmask_b32_e32 v9, v11, v9, vcc
	v_cmp_ne_u32_e32 vcc, 0, v7
	v_cndmask_b32_e32 v16, 0, v9, vcc
	s_branch .LBB56_2156
.LBB56_2155:
	s_mov_b64 s[6:7], -1
                                        ; implicit-def: $vgpr16
.LBB56_2156:
	s_mov_b64 s[20:21], 0
.LBB56_2157:
	s_and_b64 vcc, exec, s[20:21]
	s_cbranch_vccz .LBB56_2161
; %bb.2158:
	v_mov_b32_e32 v7, 29
	v_cmp_eq_u16_sdwa s[6:7], s25, v7 src0_sel:BYTE_0 src1_sel:DWORD
	s_and_b64 vcc, exec, s[6:7]
	s_cbranch_vccz .LBB56_2160
; %bb.2159:
	global_load_dwordx2 v[16:17], v[14:15], off
	s_mov_b64 s[6:7], 0
	s_mov_b64 s[18:19], -1
	s_mov_b64 s[20:21], 0
	s_waitcnt vmcnt(0)
	v_ffbh_u32_e32 v7, v17
	v_min_u32_e32 v7, 32, v7
	v_lshlrev_b64 v[16:17], v7, v[16:17]
	v_min_u32_e32 v9, 1, v16
	v_or_b32_e32 v9, v17, v9
	v_cvt_f32_u32_e32 v9, v9
	v_sub_u32_e32 v7, 32, v7
	v_ldexp_f32 v7, v9, v7
	v_cvt_f16_f32_e32 v16, v7
	s_branch .LBB56_2162
.LBB56_2160:
	s_mov_b64 s[6:7], -1
                                        ; implicit-def: $vgpr16
.LBB56_2161:
	s_mov_b64 s[20:21], 0
.LBB56_2162:
	s_and_b64 vcc, exec, s[20:21]
	s_cbranch_vccz .LBB56_2180
; %bb.2163:
	v_mov_b32_e32 v7, 27
	v_cmp_lt_i16_sdwa s[18:19], s25, v7 src0_sel:BYTE_0 src1_sel:DWORD
	s_and_b64 vcc, exec, s[18:19]
	s_cbranch_vccnz .LBB56_2166
; %bb.2164:
	v_cmp_gt_i16_sdwa s[18:19], s25, v7 src0_sel:BYTE_0 src1_sel:DWORD
	s_and_b64 vcc, exec, s[18:19]
	s_cbranch_vccz .LBB56_2167
; %bb.2165:
	global_load_dword v7, v[14:15], off
	s_mov_b64 s[18:19], 0
	s_waitcnt vmcnt(0)
	v_cvt_f32_u32_e32 v7, v7
	v_cvt_f16_f32_e32 v16, v7
	s_branch .LBB56_2168
.LBB56_2166:
	s_mov_b64 s[18:19], -1
                                        ; implicit-def: $vgpr16
	s_branch .LBB56_2171
.LBB56_2167:
	s_mov_b64 s[18:19], -1
                                        ; implicit-def: $vgpr16
.LBB56_2168:
	s_andn2_b64 vcc, exec, s[18:19]
	s_cbranch_vccnz .LBB56_2170
; %bb.2169:
	global_load_ushort v7, v[14:15], off
	s_waitcnt vmcnt(0)
	v_cvt_f16_u16_e32 v16, v7
.LBB56_2170:
	s_mov_b64 s[18:19], 0
.LBB56_2171:
	s_andn2_b64 vcc, exec, s[18:19]
	s_cbranch_vccnz .LBB56_2179
; %bb.2172:
	global_load_ubyte v7, v[14:15], off
	s_movk_i32 s18, 0x7f
                                        ; implicit-def: $sgpr27
	s_waitcnt vmcnt(0)
	v_cmp_lt_i16_e32 vcc, s18, v7
	s_mov_b64 s[18:19], 0
	s_and_saveexec_b64 s[20:21], vcc
	s_xor_b64 s[20:21], exec, s[20:21]
	s_cbranch_execz .LBB56_2193
; %bb.2173:
	s_movk_i32 s18, 0x80
	v_cmp_eq_u16_e32 vcc, s18, v7
	s_mov_b64 s[18:19], -1
                                        ; implicit-def: $sgpr27
	s_and_saveexec_b64 s[22:23], vcc
; %bb.2174:
	s_movk_i32 s27, 0x7e00
	s_xor_b64 s[18:19], exec, -1
; %bb.2175:
	s_or_b64 exec, exec, s[22:23]
	s_and_b64 s[18:19], s[18:19], exec
	s_or_saveexec_b64 s[20:21], s[20:21]
	v_mov_b32_e32 v16, s27
	s_xor_b64 exec, exec, s[20:21]
	s_cbranch_execnz .LBB56_2194
.LBB56_2176:
	s_or_b64 exec, exec, s[20:21]
	s_and_saveexec_b64 s[20:21], s[18:19]
	s_cbranch_execz .LBB56_2178
.LBB56_2177:
	v_lshlrev_b32_e32 v9, 24, v7
	v_and_b32_e32 v7, 0xffff, v7
	v_and_b32_e32 v11, 7, v7
	v_ffbh_u32_e32 v16, v11
	v_min_u32_e32 v16, 32, v16
	v_subrev_u32_e32 v17, 28, v16
	v_bfe_u32 v13, v7, 3, 4
	v_lshlrev_b32_e32 v7, v17, v7
	v_sub_u32_e32 v16, 29, v16
	v_and_b32_e32 v7, 7, v7
	v_cmp_eq_u32_e32 vcc, 0, v13
	v_cndmask_b32_e32 v13, v13, v16, vcc
	v_cndmask_b32_e32 v7, v11, v7, vcc
	v_mov_b32_e32 v11, 0x3b800000
	v_lshlrev_b32_e32 v7, 20, v7
	v_and_b32_e32 v9, 0x80000000, v9
	v_lshl_add_u32 v11, v13, 23, v11
	v_or3_b32 v7, v9, v11, v7
	v_cvt_f16_f32_e32 v16, v7
.LBB56_2178:
	s_or_b64 exec, exec, s[20:21]
.LBB56_2179:
	s_mov_b64 s[18:19], -1
.LBB56_2180:
	s_mov_b64 s[20:21], 0
.LBB56_2181:
	s_and_b64 vcc, exec, s[20:21]
	s_cbranch_vccz .LBB56_2214
; %bb.2182:
	v_mov_b32_e32 v7, 22
	v_cmp_gt_i16_sdwa s[16:17], s25, v7 src0_sel:BYTE_0 src1_sel:DWORD
	s_and_b64 vcc, exec, s[16:17]
	s_cbranch_vccz .LBB56_2192
; %bb.2183:
	v_mov_b32_e32 v7, 24
	v_cmp_lt_i16_sdwa s[16:17], s25, v7 src0_sel:BYTE_0 src1_sel:DWORD
	s_and_b64 vcc, exec, s[16:17]
	s_cbranch_vccnz .LBB56_2195
; %bb.2184:
	v_cmp_gt_i16_sdwa s[16:17], s25, v7 src0_sel:BYTE_0 src1_sel:DWORD
	s_and_b64 vcc, exec, s[16:17]
	s_cbranch_vccz .LBB56_2196
; %bb.2185:
	global_load_ubyte v7, v[14:15], off
	s_movk_i32 s16, 0x7f
                                        ; implicit-def: $sgpr22
	s_waitcnt vmcnt(0)
	v_cmp_lt_i16_e32 vcc, s16, v7
	s_mov_b64 s[16:17], 0
	s_and_saveexec_b64 s[18:19], vcc
	s_xor_b64 s[18:19], exec, s[18:19]
	s_cbranch_execz .LBB56_2208
; %bb.2186:
	s_movk_i32 s16, 0x80
	v_cmp_eq_u16_e32 vcc, s16, v7
	s_mov_b64 s[16:17], -1
                                        ; implicit-def: $sgpr22
	s_and_saveexec_b64 s[20:21], vcc
; %bb.2187:
	s_movk_i32 s22, 0x7e00
	s_xor_b64 s[16:17], exec, -1
; %bb.2188:
	s_or_b64 exec, exec, s[20:21]
	s_and_b64 s[16:17], s[16:17], exec
	s_or_saveexec_b64 s[18:19], s[18:19]
	v_mov_b32_e32 v16, s22
	s_xor_b64 exec, exec, s[18:19]
	s_cbranch_execnz .LBB56_2209
.LBB56_2189:
	s_or_b64 exec, exec, s[18:19]
	s_and_saveexec_b64 s[18:19], s[16:17]
	s_cbranch_execz .LBB56_2191
.LBB56_2190:
	v_lshlrev_b32_e32 v9, 24, v7
	v_and_b32_e32 v7, 0xffff, v7
	v_and_b32_e32 v11, 3, v7
	v_ffbh_u32_e32 v16, v11
	v_min_u32_e32 v16, 32, v16
	v_subrev_u32_e32 v17, 29, v16
	v_bfe_u32 v13, v7, 2, 5
	v_lshlrev_b32_e32 v7, v17, v7
	v_sub_u32_e32 v16, 30, v16
	v_and_b32_e32 v7, 3, v7
	v_cmp_eq_u32_e32 vcc, 0, v13
	v_cndmask_b32_e32 v13, v13, v16, vcc
	v_cndmask_b32_e32 v7, v11, v7, vcc
	v_mov_b32_e32 v11, 0x37800000
	v_lshlrev_b32_e32 v7, 21, v7
	v_and_b32_e32 v9, 0x80000000, v9
	v_lshl_add_u32 v11, v13, 23, v11
	v_or3_b32 v7, v9, v11, v7
	v_cvt_f16_f32_e32 v16, v7
.LBB56_2191:
	s_or_b64 exec, exec, s[18:19]
	s_mov_b64 s[16:17], 0
	s_branch .LBB56_2197
.LBB56_2192:
	s_mov_b64 s[16:17], -1
                                        ; implicit-def: $vgpr16
	s_branch .LBB56_2203
.LBB56_2193:
	s_or_saveexec_b64 s[20:21], s[20:21]
	v_mov_b32_e32 v16, s27
	s_xor_b64 exec, exec, s[20:21]
	s_cbranch_execz .LBB56_2176
.LBB56_2194:
	v_cmp_ne_u16_e32 vcc, 0, v7
	s_andn2_b64 s[18:19], s[18:19], exec
	s_and_b64 s[22:23], vcc, exec
	s_or_b64 s[18:19], s[18:19], s[22:23]
	v_mov_b32_e32 v16, v7
	s_or_b64 exec, exec, s[20:21]
	s_and_saveexec_b64 s[20:21], s[18:19]
	s_cbranch_execnz .LBB56_2177
	s_branch .LBB56_2178
.LBB56_2195:
	s_mov_b64 s[16:17], -1
                                        ; implicit-def: $vgpr16
	s_branch .LBB56_2200
.LBB56_2196:
	s_mov_b64 s[16:17], -1
                                        ; implicit-def: $vgpr16
.LBB56_2197:
	s_and_b64 vcc, exec, s[16:17]
	s_cbranch_vccz .LBB56_2199
; %bb.2198:
	global_load_ubyte v7, v[14:15], off
	s_mov_b32 s16, 0x7f800000
	s_waitcnt vmcnt(0)
	v_lshlrev_b32_e32 v7, 24, v7
	v_and_b32_e32 v9, 0x7f000000, v7
	v_ffbh_u32_e32 v11, v9
	v_min_u32_e32 v11, 32, v11
	v_sub_u32_e64 v11, v11, 4 clamp
	v_lshlrev_b32_e32 v16, v11, v9
	v_lshlrev_b32_e32 v11, 23, v11
	v_lshrrev_b32_e32 v16, 4, v16
	v_add_u32_e32 v13, 0x1000000, v9
	v_sub_u32_e32 v11, v16, v11
	v_ashrrev_i32_e32 v13, 8, v13
	v_add_u32_e32 v11, 0x3c000000, v11
	v_and_or_b32 v11, v13, s16, v11
	v_cmp_ne_u32_e32 vcc, 0, v9
	v_cndmask_b32_e32 v9, 0, v11, vcc
	s_brev_b32 s16, 1
	v_and_or_b32 v7, v7, s16, v9
	v_cvt_f16_f32_e32 v16, v7
.LBB56_2199:
	s_mov_b64 s[16:17], 0
.LBB56_2200:
	s_andn2_b64 vcc, exec, s[16:17]
	s_cbranch_vccnz .LBB56_2202
; %bb.2201:
	global_load_ubyte v7, v[14:15], off
	s_movk_i32 s16, 0x7f00
	s_brev_b32 s17, 16
	s_waitcnt vmcnt(0)
	v_lshlrev_b16_e32 v9, 8, v7
	v_lshlrev_b32_e32 v7, 25, v7
	v_lshrrev_b32_e32 v11, 4, v7
	v_and_or_b32 v13, v9, s16, 0.5
	v_or_b32_e32 v11, 0x70000000, v11
	v_add_f32_e32 v13, -0.5, v13
	v_mul_f32_e32 v11, 0x7800000, v11
	v_cmp_gt_u32_e32 vcc, s17, v7
	v_bfe_i32 v9, v9, 0, 16
	v_cndmask_b32_e32 v7, v11, v13, vcc
	s_brev_b32 s16, 1
	v_and_or_b32 v7, v9, s16, v7
	v_cvt_f16_f32_e32 v16, v7
.LBB56_2202:
	s_mov_b64 s[16:17], 0
	s_mov_b64 s[18:19], -1
.LBB56_2203:
	s_andn2_b64 vcc, exec, s[16:17]
	s_mov_b64 s[16:17], 0
	s_cbranch_vccnz .LBB56_2214
; %bb.2204:
	v_mov_b32_e32 v7, 14
	v_cmp_gt_i16_sdwa s[16:17], s25, v7 src0_sel:BYTE_0 src1_sel:DWORD
	s_and_b64 vcc, exec, s[16:17]
	s_cbranch_vccz .LBB56_2207
; %bb.2205:
	v_mov_b32_e32 v7, 15
	v_cmp_eq_u16_sdwa s[6:7], s25, v7 src0_sel:BYTE_0 src1_sel:DWORD
	s_and_b64 vcc, exec, s[6:7]
	s_cbranch_vccz .LBB56_2210
; %bb.2206:
	global_load_ushort v7, v[14:15], off
	s_mov_b64 s[6:7], 0
	s_mov_b64 s[18:19], -1
	s_waitcnt vmcnt(0)
	v_lshlrev_b32_e32 v7, 16, v7
	v_cvt_f16_f32_e32 v16, v7
	s_branch .LBB56_2211
.LBB56_2207:
	s_mov_b64 s[20:21], -1
                                        ; implicit-def: $vgpr16
	s_branch .LBB56_2212
.LBB56_2208:
	s_or_saveexec_b64 s[18:19], s[18:19]
	v_mov_b32_e32 v16, s22
	s_xor_b64 exec, exec, s[18:19]
	s_cbranch_execz .LBB56_2189
.LBB56_2209:
	v_cmp_ne_u16_e32 vcc, 0, v7
	s_andn2_b64 s[16:17], s[16:17], exec
	s_and_b64 s[20:21], vcc, exec
	s_or_b64 s[16:17], s[16:17], s[20:21]
	v_mov_b32_e32 v16, v7
	s_or_b64 exec, exec, s[18:19]
	s_and_saveexec_b64 s[18:19], s[16:17]
	s_cbranch_execnz .LBB56_2190
	s_branch .LBB56_2191
.LBB56_2210:
	s_mov_b64 s[6:7], -1
                                        ; implicit-def: $vgpr16
.LBB56_2211:
	s_mov_b64 s[20:21], 0
.LBB56_2212:
	s_mov_b64 s[16:17], 0
	s_and_b64 vcc, exec, s[20:21]
	s_cbranch_vccz .LBB56_2214
; %bb.2213:
	v_mov_b32_e32 v7, 11
	v_cmp_ne_u16_sdwa s[6:7], s25, v7 src0_sel:BYTE_0 src1_sel:DWORD
	s_mov_b64 s[16:17], -1
                                        ; implicit-def: $vgpr16
.LBB56_2214:
	s_and_b64 vcc, exec, s[6:7]
	s_cbranch_vccnz .LBB56_2279
; %bb.2215:
	s_andn2_b64 vcc, exec, s[16:17]
	s_cbranch_vccnz .LBB56_2217
.LBB56_2216:
	global_load_ubyte v7, v[14:15], off
	v_mov_b32_e32 v9, 0x3c00
	s_mov_b64 s[18:19], -1
	s_waitcnt vmcnt(0)
	v_cmp_ne_u16_e32 vcc, 0, v7
	v_cndmask_b32_e32 v16, 0, v9, vcc
.LBB56_2217:
	s_mov_b64 s[6:7], 0
.LBB56_2218:
	s_and_b64 vcc, exec, s[6:7]
	s_cbranch_vccz .LBB56_2267
; %bb.2219:
	v_mov_b32_e32 v7, 5
	v_cmp_lt_i16_sdwa s[6:7], s25, v7 src0_sel:BYTE_0 src1_sel:DWORD
	s_and_b64 vcc, exec, s[6:7]
	s_cbranch_vccnz .LBB56_2224
; %bb.2220:
	v_mov_b32_e32 v7, 8
	v_cmp_lt_i16_sdwa s[6:7], s25, v7 src0_sel:BYTE_0 src1_sel:DWORD
	s_and_b64 vcc, exec, s[6:7]
	s_cbranch_vccnz .LBB56_2225
	;; [unrolled: 5-line block ×3, first 2 shown]
; %bb.2222:
	v_cmp_gt_i16_sdwa s[6:7], s25, v7 src0_sel:BYTE_0 src1_sel:DWORD
	s_and_b64 vcc, exec, s[6:7]
	s_cbranch_vccz .LBB56_2227
; %bb.2223:
	global_load_dwordx2 v[16:17], v[14:15], off
	s_mov_b64 s[6:7], 0
	s_waitcnt vmcnt(0)
	v_cvt_f32_f64_e32 v7, v[16:17]
	v_cvt_f16_f32_e32 v16, v7
	s_branch .LBB56_2228
.LBB56_2224:
	s_mov_b64 s[6:7], -1
                                        ; implicit-def: $vgpr16
	s_branch .LBB56_2246
.LBB56_2225:
	s_mov_b64 s[6:7], -1
                                        ; implicit-def: $vgpr16
	s_branch .LBB56_2234
.LBB56_2226:
	s_mov_b64 s[6:7], -1
                                        ; implicit-def: $vgpr16
	s_branch .LBB56_2231
.LBB56_2227:
	s_mov_b64 s[6:7], -1
                                        ; implicit-def: $vgpr16
.LBB56_2228:
	s_andn2_b64 vcc, exec, s[6:7]
	s_cbranch_vccnz .LBB56_2230
; %bb.2229:
	global_load_dword v7, v[14:15], off
	s_waitcnt vmcnt(0)
	v_cvt_f16_f32_e32 v16, v7
.LBB56_2230:
	s_mov_b64 s[6:7], 0
.LBB56_2231:
	s_andn2_b64 vcc, exec, s[6:7]
	s_cbranch_vccnz .LBB56_2233
; %bb.2232:
	global_load_dword v16, v[14:15], off
.LBB56_2233:
	s_mov_b64 s[6:7], 0
.LBB56_2234:
	s_andn2_b64 vcc, exec, s[6:7]
	s_cbranch_vccnz .LBB56_2245
; %bb.2235:
	v_mov_b32_e32 v7, 6
	v_cmp_lt_i16_sdwa s[6:7], s25, v7 src0_sel:BYTE_0 src1_sel:DWORD
	s_and_b64 vcc, exec, s[6:7]
	s_cbranch_vccnz .LBB56_2238
; %bb.2236:
	v_cmp_gt_i16_sdwa s[6:7], s25, v7 src0_sel:BYTE_0 src1_sel:DWORD
	s_and_b64 vcc, exec, s[6:7]
	s_cbranch_vccz .LBB56_2239
; %bb.2237:
	global_load_dwordx2 v[16:17], v[14:15], off
	s_mov_b64 s[6:7], 0
	s_waitcnt vmcnt(0)
	v_cvt_f32_f64_e32 v7, v[16:17]
	v_cvt_f16_f32_e32 v16, v7
	s_branch .LBB56_2240
.LBB56_2238:
	s_mov_b64 s[6:7], -1
                                        ; implicit-def: $vgpr16
	s_branch .LBB56_2243
.LBB56_2239:
	s_mov_b64 s[6:7], -1
                                        ; implicit-def: $vgpr16
.LBB56_2240:
	s_andn2_b64 vcc, exec, s[6:7]
	s_cbranch_vccnz .LBB56_2242
; %bb.2241:
	global_load_dword v7, v[14:15], off
	s_waitcnt vmcnt(0)
	v_cvt_f16_f32_e32 v16, v7
.LBB56_2242:
	s_mov_b64 s[6:7], 0
.LBB56_2243:
	s_andn2_b64 vcc, exec, s[6:7]
	s_cbranch_vccnz .LBB56_2245
; %bb.2244:
	global_load_ushort v16, v[14:15], off
.LBB56_2245:
	s_mov_b64 s[6:7], 0
.LBB56_2246:
	s_andn2_b64 vcc, exec, s[6:7]
	s_cbranch_vccnz .LBB56_2266
; %bb.2247:
	v_mov_b32_e32 v7, 2
	v_cmp_lt_i16_sdwa s[6:7], s25, v7 src0_sel:BYTE_0 src1_sel:DWORD
	s_and_b64 vcc, exec, s[6:7]
	s_cbranch_vccnz .LBB56_2251
; %bb.2248:
	v_mov_b32_e32 v7, 3
	v_cmp_lt_i16_sdwa s[6:7], s25, v7 src0_sel:BYTE_0 src1_sel:DWORD
	s_and_b64 vcc, exec, s[6:7]
	s_cbranch_vccnz .LBB56_2252
; %bb.2249:
	v_cmp_gt_i16_sdwa s[6:7], s25, v7 src0_sel:BYTE_0 src1_sel:DWORD
	s_and_b64 vcc, exec, s[6:7]
	s_cbranch_vccz .LBB56_2253
; %bb.2250:
	global_load_dwordx2 v[16:17], v[14:15], off
	s_mov_b64 s[6:7], 0
	s_waitcnt vmcnt(0)
	v_xor_b32_e32 v9, v16, v17
	v_ffbh_i32_e32 v7, v17
	v_ashrrev_i32_e32 v9, 31, v9
	v_add_u32_e32 v7, -1, v7
	v_add_u32_e32 v9, 32, v9
	v_min_u32_e32 v7, v7, v9
	v_lshlrev_b64 v[16:17], v7, v[16:17]
	v_min_u32_e32 v9, 1, v16
	v_or_b32_e32 v9, v17, v9
	v_cvt_f32_i32_e32 v9, v9
	v_sub_u32_e32 v7, 32, v7
	v_ldexp_f32 v7, v9, v7
	v_cvt_f16_f32_e32 v16, v7
	s_branch .LBB56_2254
.LBB56_2251:
	s_mov_b64 s[6:7], -1
                                        ; implicit-def: $vgpr16
	s_branch .LBB56_2260
.LBB56_2252:
	s_mov_b64 s[6:7], -1
                                        ; implicit-def: $vgpr16
	s_branch .LBB56_2257
.LBB56_2253:
	s_mov_b64 s[6:7], -1
                                        ; implicit-def: $vgpr16
.LBB56_2254:
	s_andn2_b64 vcc, exec, s[6:7]
	s_cbranch_vccnz .LBB56_2256
; %bb.2255:
	global_load_dword v7, v[14:15], off
	s_waitcnt vmcnt(0)
	v_cvt_f32_i32_e32 v7, v7
	v_cvt_f16_f32_e32 v16, v7
.LBB56_2256:
	s_mov_b64 s[6:7], 0
.LBB56_2257:
	s_andn2_b64 vcc, exec, s[6:7]
	s_cbranch_vccnz .LBB56_2259
; %bb.2258:
	global_load_ushort v7, v[14:15], off
	s_waitcnt vmcnt(0)
	v_cvt_f16_i16_e32 v16, v7
.LBB56_2259:
	s_mov_b64 s[6:7], 0
.LBB56_2260:
	s_andn2_b64 vcc, exec, s[6:7]
	s_cbranch_vccnz .LBB56_2266
; %bb.2261:
	v_mov_b32_e32 v7, 0
	v_cmp_gt_i16_sdwa s[6:7], s25, v7 src0_sel:BYTE_0 src1_sel:DWORD
	s_and_b64 vcc, exec, s[6:7]
	s_cbranch_vccz .LBB56_2263
; %bb.2262:
	global_load_sbyte v7, v[14:15], off
	s_mov_b64 s[6:7], 0
	s_waitcnt vmcnt(0)
	v_cvt_f16_i16_e32 v16, v7
	s_branch .LBB56_2264
.LBB56_2263:
	s_mov_b64 s[6:7], -1
                                        ; implicit-def: $vgpr16
.LBB56_2264:
	s_andn2_b64 vcc, exec, s[6:7]
	s_cbranch_vccnz .LBB56_2266
; %bb.2265:
	global_load_ubyte v7, v[14:15], off
	s_waitcnt vmcnt(0)
	v_cvt_f16_u16_e32 v16, v7
.LBB56_2266:
	s_mov_b64 s[18:19], -1
.LBB56_2267:
	s_andn2_b64 vcc, exec, s[18:19]
	s_cbranch_vccnz .LBB56_3113
; %bb.2268:
	v_mov_b32_e32 v7, s1
	v_add_co_u32_e32 v12, vcc, s0, v12
	v_addc_co_u32_e32 v13, vcc, 0, v7, vcc
	s_and_b64 vcc, exec, s[2:3]
	s_cbranch_vccnz .LBB56_2275
; %bb.2269:
	v_cmp_gt_i16_e64 s[6:7], s26, 25
	s_mov_b64 s[16:17], 0
	s_and_b64 vcc, exec, s[6:7]
	s_cbranch_vccz .LBB56_2276
; %bb.2270:
	v_cmp_gt_i16_e64 s[6:7], s26, 28
	s_and_b64 vcc, exec, s[6:7]
	s_cbranch_vccz .LBB56_2277
; %bb.2271:
	v_cmp_gt_i16_e64 s[6:7], s26, 43
	;; [unrolled: 4-line block ×3, first 2 shown]
	s_and_b64 vcc, exec, s[6:7]
	s_cbranch_vccz .LBB56_2280
; %bb.2273:
	v_cmp_eq_u16_e64 s[6:7], s26, 46
	s_mov_b64 s[20:21], 0
	s_and_b64 vcc, exec, s[6:7]
	s_cbranch_vccz .LBB56_2283
; %bb.2274:
	global_load_dword v7, v[12:13], off
	s_mov_b64 s[6:7], 0
	s_mov_b64 s[18:19], -1
	s_waitcnt vmcnt(0)
	v_lshlrev_b32_e32 v7, 16, v7
	v_cvt_f16_f32_e32 v14, v7
	s_branch .LBB56_2284
.LBB56_2275:
	s_mov_b64 s[6:7], -1
	s_mov_b64 s[18:19], 0
                                        ; implicit-def: $vgpr14
	s_branch .LBB56_2350
.LBB56_2276:
	s_mov_b64 s[20:21], -1
	s_mov_b64 s[18:19], 0
	s_mov_b64 s[6:7], 0
                                        ; implicit-def: $vgpr14
	s_branch .LBB56_2313
.LBB56_2277:
	s_mov_b64 s[20:21], -1
	s_mov_b64 s[18:19], 0
	s_mov_b64 s[6:7], 0
                                        ; implicit-def: $vgpr14
	s_branch .LBB56_2294
.LBB56_2278:
	s_mov_b64 s[20:21], -1
	s_mov_b64 s[18:19], 0
	s_mov_b64 s[6:7], 0
                                        ; implicit-def: $vgpr14
	s_branch .LBB56_2289
.LBB56_2279:
	s_trap 2
	s_or_b64 s[4:5], s[4:5], exec
                                        ; implicit-def: $vgpr16
	s_cbranch_execz .LBB56_2216
	s_branch .LBB56_2217
.LBB56_2280:
	s_mov_b64 s[20:21], -1
	s_mov_b64 s[18:19], 0
	s_mov_b64 s[6:7], 0
                                        ; implicit-def: $vgpr14
	s_branch .LBB56_2284
.LBB56_2281:
	s_or_saveexec_b64 s[62:63], s[62:63]
                                        ; implicit-def: $sgpr64
	s_xor_b64 exec, exec, s[62:63]
	s_cbranch_execz .LBB56_1116
.LBB56_2282:
	s_mov_b32 s64, 0x42800000
	v_add_f32_e64 v4, |v3|, s64
	v_and_b32_e32 v4, 0xff, v4
	v_cmp_ne_u32_e32 vcc, 0, v4
	s_andn2_b64 s[60:61], s[60:61], exec
	s_and_b64 s[70:71], vcc, exec
	s_mov_b32 s64, 0
	s_or_b64 s[60:61], s[60:61], s[70:71]
	s_or_b64 exec, exec, s[62:63]
	v_mov_b32_e32 v5, s64
	s_and_saveexec_b64 s[62:63], s[60:61]
	s_cbranch_execnz .LBB56_1117
	s_branch .LBB56_1118
.LBB56_2283:
	s_mov_b64 s[6:7], -1
                                        ; implicit-def: $vgpr14
	s_mov_b64 s[18:19], 0
.LBB56_2284:
	s_and_b64 vcc, exec, s[20:21]
	s_cbranch_vccz .LBB56_2288
; %bb.2285:
	v_cmp_eq_u16_e64 s[6:7], s26, 44
	s_and_b64 vcc, exec, s[6:7]
	s_cbranch_vccz .LBB56_2287
; %bb.2286:
	global_load_ubyte v7, v[12:13], off
	s_movk_i32 s18, 0xff
	v_mov_b32_e32 v11, 0x7e00
	s_mov_b64 s[6:7], 0
	s_waitcnt vmcnt(0)
	v_lshlrev_b32_e32 v9, 23, v7
	v_cvt_f16_f32_e32 v9, v9
	v_cmp_ne_u32_e32 vcc, s18, v7
	s_mov_b64 s[18:19], -1
	v_cndmask_b32_e32 v9, v11, v9, vcc
	v_cmp_ne_u32_e32 vcc, 0, v7
	v_cndmask_b32_e32 v14, 0, v9, vcc
	s_branch .LBB56_2288
.LBB56_2287:
	s_mov_b64 s[6:7], -1
                                        ; implicit-def: $vgpr14
.LBB56_2288:
	s_mov_b64 s[20:21], 0
.LBB56_2289:
	s_and_b64 vcc, exec, s[20:21]
	s_cbranch_vccz .LBB56_2293
; %bb.2290:
	v_cmp_eq_u16_e64 s[6:7], s26, 29
	s_and_b64 vcc, exec, s[6:7]
	s_cbranch_vccz .LBB56_2292
; %bb.2291:
	global_load_dwordx2 v[14:15], v[12:13], off
	s_mov_b64 s[6:7], 0
	s_mov_b64 s[18:19], -1
	s_mov_b64 s[20:21], 0
	s_waitcnt vmcnt(0)
	v_ffbh_u32_e32 v7, v15
	v_min_u32_e32 v7, 32, v7
	v_lshlrev_b64 v[14:15], v7, v[14:15]
	v_min_u32_e32 v9, 1, v14
	v_or_b32_e32 v9, v15, v9
	v_cvt_f32_u32_e32 v9, v9
	v_sub_u32_e32 v7, 32, v7
	v_ldexp_f32 v7, v9, v7
	v_cvt_f16_f32_e32 v14, v7
	s_branch .LBB56_2294
.LBB56_2292:
	s_mov_b64 s[6:7], -1
                                        ; implicit-def: $vgpr14
.LBB56_2293:
	s_mov_b64 s[20:21], 0
.LBB56_2294:
	s_and_b64 vcc, exec, s[20:21]
	s_cbranch_vccz .LBB56_2312
; %bb.2295:
	v_cmp_lt_i16_e64 s[18:19], s26, 27
	s_and_b64 vcc, exec, s[18:19]
	s_cbranch_vccnz .LBB56_2298
; %bb.2296:
	v_cmp_gt_i16_e64 s[18:19], s26, 27
	s_and_b64 vcc, exec, s[18:19]
	s_cbranch_vccz .LBB56_2299
; %bb.2297:
	global_load_dword v7, v[12:13], off
	s_mov_b64 s[18:19], 0
	s_waitcnt vmcnt(0)
	v_cvt_f32_u32_e32 v7, v7
	v_cvt_f16_f32_e32 v14, v7
	s_branch .LBB56_2300
.LBB56_2298:
	s_mov_b64 s[18:19], -1
                                        ; implicit-def: $vgpr14
	s_branch .LBB56_2303
.LBB56_2299:
	s_mov_b64 s[18:19], -1
                                        ; implicit-def: $vgpr14
.LBB56_2300:
	s_andn2_b64 vcc, exec, s[18:19]
	s_cbranch_vccnz .LBB56_2302
; %bb.2301:
	global_load_ushort v7, v[12:13], off
	s_waitcnt vmcnt(0)
	v_cvt_f16_u16_e32 v14, v7
.LBB56_2302:
	s_mov_b64 s[18:19], 0
.LBB56_2303:
	s_andn2_b64 vcc, exec, s[18:19]
	s_cbranch_vccnz .LBB56_2311
; %bb.2304:
	global_load_ubyte v7, v[12:13], off
	s_movk_i32 s18, 0x7f
                                        ; implicit-def: $sgpr27
	s_waitcnt vmcnt(0)
	v_cmp_lt_i16_e32 vcc, s18, v7
	s_mov_b64 s[18:19], 0
	s_and_saveexec_b64 s[20:21], vcc
	s_xor_b64 s[20:21], exec, s[20:21]
	s_cbranch_execz .LBB56_2325
; %bb.2305:
	s_movk_i32 s18, 0x80
	v_cmp_eq_u16_e32 vcc, s18, v7
	s_mov_b64 s[18:19], -1
                                        ; implicit-def: $sgpr27
	s_and_saveexec_b64 s[22:23], vcc
; %bb.2306:
	s_movk_i32 s27, 0x7e00
	s_xor_b64 s[18:19], exec, -1
; %bb.2307:
	s_or_b64 exec, exec, s[22:23]
	s_and_b64 s[18:19], s[18:19], exec
	s_or_saveexec_b64 s[20:21], s[20:21]
	v_mov_b32_e32 v14, s27
	s_xor_b64 exec, exec, s[20:21]
	s_cbranch_execnz .LBB56_2326
.LBB56_2308:
	s_or_b64 exec, exec, s[20:21]
	s_and_saveexec_b64 s[20:21], s[18:19]
	s_cbranch_execz .LBB56_2310
.LBB56_2309:
	v_lshlrev_b32_e32 v9, 24, v7
	v_and_b32_e32 v7, 0xffff, v7
	v_and_b32_e32 v11, 7, v7
	v_ffbh_u32_e32 v15, v11
	v_min_u32_e32 v15, 32, v15
	v_subrev_u32_e32 v17, 28, v15
	v_bfe_u32 v14, v7, 3, 4
	v_lshlrev_b32_e32 v7, v17, v7
	v_sub_u32_e32 v15, 29, v15
	v_and_b32_e32 v7, 7, v7
	v_cmp_eq_u32_e32 vcc, 0, v14
	v_cndmask_b32_e32 v14, v14, v15, vcc
	v_cndmask_b32_e32 v7, v11, v7, vcc
	v_mov_b32_e32 v11, 0x3b800000
	v_lshlrev_b32_e32 v7, 20, v7
	v_and_b32_e32 v9, 0x80000000, v9
	v_lshl_add_u32 v11, v14, 23, v11
	v_or3_b32 v7, v9, v11, v7
	v_cvt_f16_f32_e32 v14, v7
.LBB56_2310:
	s_or_b64 exec, exec, s[20:21]
.LBB56_2311:
	s_mov_b64 s[18:19], -1
.LBB56_2312:
	s_mov_b64 s[20:21], 0
.LBB56_2313:
	s_and_b64 vcc, exec, s[20:21]
	s_cbranch_vccz .LBB56_2346
; %bb.2314:
	v_cmp_gt_i16_e64 s[16:17], s26, 22
	s_and_b64 vcc, exec, s[16:17]
	s_cbranch_vccz .LBB56_2324
; %bb.2315:
	v_cmp_lt_i16_e64 s[16:17], s26, 24
	s_and_b64 vcc, exec, s[16:17]
	s_cbranch_vccnz .LBB56_2327
; %bb.2316:
	v_cmp_gt_i16_e64 s[16:17], s26, 24
	s_and_b64 vcc, exec, s[16:17]
	s_cbranch_vccz .LBB56_2328
; %bb.2317:
	global_load_ubyte v7, v[12:13], off
	s_movk_i32 s16, 0x7f
                                        ; implicit-def: $sgpr22
	s_waitcnt vmcnt(0)
	v_cmp_lt_i16_e32 vcc, s16, v7
	s_mov_b64 s[16:17], 0
	s_and_saveexec_b64 s[18:19], vcc
	s_xor_b64 s[18:19], exec, s[18:19]
	s_cbranch_execz .LBB56_2340
; %bb.2318:
	s_movk_i32 s16, 0x80
	v_cmp_eq_u16_e32 vcc, s16, v7
	s_mov_b64 s[16:17], -1
                                        ; implicit-def: $sgpr22
	s_and_saveexec_b64 s[20:21], vcc
; %bb.2319:
	s_movk_i32 s22, 0x7e00
	s_xor_b64 s[16:17], exec, -1
; %bb.2320:
	s_or_b64 exec, exec, s[20:21]
	s_and_b64 s[16:17], s[16:17], exec
	s_or_saveexec_b64 s[18:19], s[18:19]
	v_mov_b32_e32 v14, s22
	s_xor_b64 exec, exec, s[18:19]
	s_cbranch_execnz .LBB56_2341
.LBB56_2321:
	s_or_b64 exec, exec, s[18:19]
	s_and_saveexec_b64 s[18:19], s[16:17]
	s_cbranch_execz .LBB56_2323
.LBB56_2322:
	v_lshlrev_b32_e32 v9, 24, v7
	v_and_b32_e32 v7, 0xffff, v7
	v_and_b32_e32 v11, 3, v7
	v_ffbh_u32_e32 v15, v11
	v_min_u32_e32 v15, 32, v15
	v_subrev_u32_e32 v17, 29, v15
	v_bfe_u32 v14, v7, 2, 5
	v_lshlrev_b32_e32 v7, v17, v7
	v_sub_u32_e32 v15, 30, v15
	v_and_b32_e32 v7, 3, v7
	v_cmp_eq_u32_e32 vcc, 0, v14
	v_cndmask_b32_e32 v14, v14, v15, vcc
	v_cndmask_b32_e32 v7, v11, v7, vcc
	v_mov_b32_e32 v11, 0x37800000
	v_lshlrev_b32_e32 v7, 21, v7
	v_and_b32_e32 v9, 0x80000000, v9
	v_lshl_add_u32 v11, v14, 23, v11
	v_or3_b32 v7, v9, v11, v7
	v_cvt_f16_f32_e32 v14, v7
.LBB56_2323:
	s_or_b64 exec, exec, s[18:19]
	s_mov_b64 s[16:17], 0
	s_branch .LBB56_2329
.LBB56_2324:
	s_mov_b64 s[16:17], -1
                                        ; implicit-def: $vgpr14
	s_branch .LBB56_2335
.LBB56_2325:
	s_or_saveexec_b64 s[20:21], s[20:21]
	v_mov_b32_e32 v14, s27
	s_xor_b64 exec, exec, s[20:21]
	s_cbranch_execz .LBB56_2308
.LBB56_2326:
	v_cmp_ne_u16_e32 vcc, 0, v7
	s_andn2_b64 s[18:19], s[18:19], exec
	s_and_b64 s[22:23], vcc, exec
	s_or_b64 s[18:19], s[18:19], s[22:23]
	v_mov_b32_e32 v14, v7
	s_or_b64 exec, exec, s[20:21]
	s_and_saveexec_b64 s[20:21], s[18:19]
	s_cbranch_execnz .LBB56_2309
	s_branch .LBB56_2310
.LBB56_2327:
	s_mov_b64 s[16:17], -1
                                        ; implicit-def: $vgpr14
	s_branch .LBB56_2332
.LBB56_2328:
	s_mov_b64 s[16:17], -1
                                        ; implicit-def: $vgpr14
.LBB56_2329:
	s_and_b64 vcc, exec, s[16:17]
	s_cbranch_vccz .LBB56_2331
; %bb.2330:
	global_load_ubyte v7, v[12:13], off
	s_mov_b32 s16, 0x7f800000
	s_waitcnt vmcnt(0)
	v_lshlrev_b32_e32 v7, 24, v7
	v_and_b32_e32 v9, 0x7f000000, v7
	v_ffbh_u32_e32 v11, v9
	v_min_u32_e32 v11, 32, v11
	v_sub_u32_e64 v11, v11, 4 clamp
	v_lshlrev_b32_e32 v15, v11, v9
	v_lshlrev_b32_e32 v11, 23, v11
	v_lshrrev_b32_e32 v15, 4, v15
	v_add_u32_e32 v14, 0x1000000, v9
	v_sub_u32_e32 v11, v15, v11
	v_ashrrev_i32_e32 v14, 8, v14
	v_add_u32_e32 v11, 0x3c000000, v11
	v_and_or_b32 v11, v14, s16, v11
	v_cmp_ne_u32_e32 vcc, 0, v9
	v_cndmask_b32_e32 v9, 0, v11, vcc
	s_brev_b32 s16, 1
	v_and_or_b32 v7, v7, s16, v9
	v_cvt_f16_f32_e32 v14, v7
.LBB56_2331:
	s_mov_b64 s[16:17], 0
.LBB56_2332:
	s_andn2_b64 vcc, exec, s[16:17]
	s_cbranch_vccnz .LBB56_2334
; %bb.2333:
	global_load_ubyte v7, v[12:13], off
	s_movk_i32 s16, 0x7f00
	s_brev_b32 s17, 16
	s_waitcnt vmcnt(0)
	v_lshlrev_b16_e32 v9, 8, v7
	v_lshlrev_b32_e32 v7, 25, v7
	v_lshrrev_b32_e32 v11, 4, v7
	v_and_or_b32 v14, v9, s16, 0.5
	v_or_b32_e32 v11, 0x70000000, v11
	v_add_f32_e32 v14, -0.5, v14
	v_mul_f32_e32 v11, 0x7800000, v11
	v_cmp_gt_u32_e32 vcc, s17, v7
	v_bfe_i32 v9, v9, 0, 16
	v_cndmask_b32_e32 v7, v11, v14, vcc
	s_brev_b32 s16, 1
	v_and_or_b32 v7, v9, s16, v7
	v_cvt_f16_f32_e32 v14, v7
.LBB56_2334:
	s_mov_b64 s[16:17], 0
	s_mov_b64 s[18:19], -1
.LBB56_2335:
	s_andn2_b64 vcc, exec, s[16:17]
	s_mov_b64 s[16:17], 0
	s_cbranch_vccnz .LBB56_2346
; %bb.2336:
	v_cmp_gt_i16_e64 s[16:17], s26, 14
	s_and_b64 vcc, exec, s[16:17]
	s_cbranch_vccz .LBB56_2339
; %bb.2337:
	v_cmp_eq_u16_e64 s[6:7], s26, 15
	s_and_b64 vcc, exec, s[6:7]
	s_cbranch_vccz .LBB56_2342
; %bb.2338:
	global_load_ushort v7, v[12:13], off
	s_mov_b64 s[6:7], 0
	s_mov_b64 s[18:19], -1
	s_waitcnt vmcnt(0)
	v_lshlrev_b32_e32 v7, 16, v7
	v_cvt_f16_f32_e32 v14, v7
	s_branch .LBB56_2343
.LBB56_2339:
	s_mov_b64 s[20:21], -1
                                        ; implicit-def: $vgpr14
	s_branch .LBB56_2344
.LBB56_2340:
	s_or_saveexec_b64 s[18:19], s[18:19]
	v_mov_b32_e32 v14, s22
	s_xor_b64 exec, exec, s[18:19]
	s_cbranch_execz .LBB56_2321
.LBB56_2341:
	v_cmp_ne_u16_e32 vcc, 0, v7
	s_andn2_b64 s[16:17], s[16:17], exec
	s_and_b64 s[20:21], vcc, exec
	s_or_b64 s[16:17], s[16:17], s[20:21]
	v_mov_b32_e32 v14, v7
	s_or_b64 exec, exec, s[18:19]
	s_and_saveexec_b64 s[18:19], s[16:17]
	s_cbranch_execnz .LBB56_2322
	s_branch .LBB56_2323
.LBB56_2342:
	s_mov_b64 s[6:7], -1
                                        ; implicit-def: $vgpr14
.LBB56_2343:
	s_mov_b64 s[20:21], 0
.LBB56_2344:
	s_mov_b64 s[16:17], 0
	s_and_b64 vcc, exec, s[20:21]
	s_cbranch_vccz .LBB56_2346
; %bb.2345:
	v_cmp_ne_u16_e64 s[6:7], s26, 11
	s_mov_b64 s[16:17], -1
                                        ; implicit-def: $vgpr14
.LBB56_2346:
	s_and_b64 vcc, exec, s[6:7]
	s_cbranch_vccnz .LBB56_2411
; %bb.2347:
	s_andn2_b64 vcc, exec, s[16:17]
	s_cbranch_vccnz .LBB56_2349
.LBB56_2348:
	global_load_ubyte v7, v[12:13], off
	v_mov_b32_e32 v9, 0x3c00
	s_mov_b64 s[18:19], -1
	s_waitcnt vmcnt(0)
	v_cmp_ne_u16_e32 vcc, 0, v7
	v_cndmask_b32_e32 v14, 0, v9, vcc
.LBB56_2349:
	s_mov_b64 s[6:7], 0
.LBB56_2350:
	s_and_b64 vcc, exec, s[6:7]
	s_cbranch_vccz .LBB56_2399
; %bb.2351:
	v_cmp_lt_i16_e64 s[6:7], s26, 5
	s_and_b64 vcc, exec, s[6:7]
	s_cbranch_vccnz .LBB56_2356
; %bb.2352:
	v_cmp_lt_i16_e64 s[6:7], s26, 8
	s_and_b64 vcc, exec, s[6:7]
	s_cbranch_vccnz .LBB56_2357
	;; [unrolled: 4-line block ×3, first 2 shown]
; %bb.2354:
	v_cmp_gt_i16_e64 s[6:7], s26, 9
	s_and_b64 vcc, exec, s[6:7]
	s_cbranch_vccz .LBB56_2359
; %bb.2355:
	global_load_dwordx2 v[14:15], v[12:13], off
	s_mov_b64 s[6:7], 0
	s_waitcnt vmcnt(0)
	v_cvt_f32_f64_e32 v7, v[14:15]
	v_cvt_f16_f32_e32 v14, v7
	s_branch .LBB56_2360
.LBB56_2356:
	s_mov_b64 s[6:7], -1
                                        ; implicit-def: $vgpr14
	s_branch .LBB56_2378
.LBB56_2357:
	s_mov_b64 s[6:7], -1
                                        ; implicit-def: $vgpr14
	s_branch .LBB56_2366
.LBB56_2358:
	s_mov_b64 s[6:7], -1
                                        ; implicit-def: $vgpr14
	s_branch .LBB56_2363
.LBB56_2359:
	s_mov_b64 s[6:7], -1
                                        ; implicit-def: $vgpr14
.LBB56_2360:
	s_andn2_b64 vcc, exec, s[6:7]
	s_cbranch_vccnz .LBB56_2362
; %bb.2361:
	global_load_dword v7, v[12:13], off
	s_waitcnt vmcnt(0)
	v_cvt_f16_f32_e32 v14, v7
.LBB56_2362:
	s_mov_b64 s[6:7], 0
.LBB56_2363:
	s_andn2_b64 vcc, exec, s[6:7]
	s_cbranch_vccnz .LBB56_2365
; %bb.2364:
	global_load_dword v14, v[12:13], off
.LBB56_2365:
	s_mov_b64 s[6:7], 0
.LBB56_2366:
	s_andn2_b64 vcc, exec, s[6:7]
	s_cbranch_vccnz .LBB56_2377
; %bb.2367:
	v_cmp_lt_i16_e64 s[6:7], s26, 6
	s_and_b64 vcc, exec, s[6:7]
	s_cbranch_vccnz .LBB56_2370
; %bb.2368:
	v_cmp_gt_i16_e64 s[6:7], s26, 6
	s_and_b64 vcc, exec, s[6:7]
	s_cbranch_vccz .LBB56_2371
; %bb.2369:
	global_load_dwordx2 v[14:15], v[12:13], off
	s_mov_b64 s[6:7], 0
	s_waitcnt vmcnt(0)
	v_cvt_f32_f64_e32 v7, v[14:15]
	v_cvt_f16_f32_e32 v14, v7
	s_branch .LBB56_2372
.LBB56_2370:
	s_mov_b64 s[6:7], -1
                                        ; implicit-def: $vgpr14
	s_branch .LBB56_2375
.LBB56_2371:
	s_mov_b64 s[6:7], -1
                                        ; implicit-def: $vgpr14
.LBB56_2372:
	s_andn2_b64 vcc, exec, s[6:7]
	s_cbranch_vccnz .LBB56_2374
; %bb.2373:
	global_load_dword v7, v[12:13], off
	s_waitcnt vmcnt(0)
	v_cvt_f16_f32_e32 v14, v7
.LBB56_2374:
	s_mov_b64 s[6:7], 0
.LBB56_2375:
	s_andn2_b64 vcc, exec, s[6:7]
	s_cbranch_vccnz .LBB56_2377
; %bb.2376:
	global_load_ushort v14, v[12:13], off
.LBB56_2377:
	s_mov_b64 s[6:7], 0
.LBB56_2378:
	s_andn2_b64 vcc, exec, s[6:7]
	s_cbranch_vccnz .LBB56_2398
; %bb.2379:
	v_cmp_lt_i16_e64 s[6:7], s26, 2
	s_and_b64 vcc, exec, s[6:7]
	s_cbranch_vccnz .LBB56_2383
; %bb.2380:
	v_cmp_lt_i16_e64 s[6:7], s26, 3
	s_and_b64 vcc, exec, s[6:7]
	s_cbranch_vccnz .LBB56_2384
; %bb.2381:
	v_cmp_gt_i16_e64 s[6:7], s26, 3
	s_and_b64 vcc, exec, s[6:7]
	s_cbranch_vccz .LBB56_2385
; %bb.2382:
	global_load_dwordx2 v[14:15], v[12:13], off
	s_mov_b64 s[6:7], 0
	s_waitcnt vmcnt(0)
	v_xor_b32_e32 v9, v14, v15
	v_ffbh_i32_e32 v7, v15
	v_ashrrev_i32_e32 v9, 31, v9
	v_add_u32_e32 v7, -1, v7
	v_add_u32_e32 v9, 32, v9
	v_min_u32_e32 v7, v7, v9
	v_lshlrev_b64 v[14:15], v7, v[14:15]
	v_min_u32_e32 v9, 1, v14
	v_or_b32_e32 v9, v15, v9
	v_cvt_f32_i32_e32 v9, v9
	v_sub_u32_e32 v7, 32, v7
	v_ldexp_f32 v7, v9, v7
	v_cvt_f16_f32_e32 v14, v7
	s_branch .LBB56_2386
.LBB56_2383:
	s_mov_b64 s[6:7], -1
                                        ; implicit-def: $vgpr14
	s_branch .LBB56_2392
.LBB56_2384:
	s_mov_b64 s[6:7], -1
                                        ; implicit-def: $vgpr14
	s_branch .LBB56_2389
.LBB56_2385:
	s_mov_b64 s[6:7], -1
                                        ; implicit-def: $vgpr14
.LBB56_2386:
	s_andn2_b64 vcc, exec, s[6:7]
	s_cbranch_vccnz .LBB56_2388
; %bb.2387:
	global_load_dword v7, v[12:13], off
	s_waitcnt vmcnt(0)
	v_cvt_f32_i32_e32 v7, v7
	v_cvt_f16_f32_e32 v14, v7
.LBB56_2388:
	s_mov_b64 s[6:7], 0
.LBB56_2389:
	s_andn2_b64 vcc, exec, s[6:7]
	s_cbranch_vccnz .LBB56_2391
; %bb.2390:
	global_load_ushort v7, v[12:13], off
	s_waitcnt vmcnt(0)
	v_cvt_f16_i16_e32 v14, v7
.LBB56_2391:
	s_mov_b64 s[6:7], 0
.LBB56_2392:
	s_andn2_b64 vcc, exec, s[6:7]
	s_cbranch_vccnz .LBB56_2398
; %bb.2393:
	v_cmp_gt_i16_e64 s[6:7], s26, 0
	s_and_b64 vcc, exec, s[6:7]
	s_cbranch_vccz .LBB56_2395
; %bb.2394:
	global_load_sbyte v7, v[12:13], off
	s_mov_b64 s[6:7], 0
	s_waitcnt vmcnt(0)
	v_cvt_f16_i16_e32 v14, v7
	s_branch .LBB56_2396
.LBB56_2395:
	s_mov_b64 s[6:7], -1
                                        ; implicit-def: $vgpr14
.LBB56_2396:
	s_andn2_b64 vcc, exec, s[6:7]
	s_cbranch_vccnz .LBB56_2398
; %bb.2397:
	global_load_ubyte v7, v[12:13], off
	s_waitcnt vmcnt(0)
	v_cvt_f16_u16_e32 v14, v7
.LBB56_2398:
	s_mov_b64 s[18:19], -1
.LBB56_2399:
	s_andn2_b64 vcc, exec, s[18:19]
	s_cbranch_vccnz .LBB56_3113
; %bb.2400:
	v_mov_b32_e32 v7, s11
	v_add_co_u32_e32 v10, vcc, s10, v10
	v_addc_co_u32_e32 v11, vcc, 0, v7, vcc
	v_mov_b32_e32 v7, 11
	v_cmp_lt_i16_sdwa s[6:7], s25, v7 src0_sel:BYTE_0 src1_sel:DWORD
	s_and_b64 vcc, exec, s[6:7]
	s_cbranch_vccnz .LBB56_2407
; %bb.2401:
	v_mov_b32_e32 v7, 25
	v_cmp_gt_i16_sdwa s[6:7], s25, v7 src0_sel:BYTE_0 src1_sel:DWORD
	s_mov_b64 s[10:11], 0
	s_and_b64 vcc, exec, s[6:7]
	s_cbranch_vccz .LBB56_2408
; %bb.2402:
	v_mov_b32_e32 v7, 28
	v_cmp_gt_i16_sdwa s[6:7], s25, v7 src0_sel:BYTE_0 src1_sel:DWORD
	s_and_b64 vcc, exec, s[6:7]
	s_cbranch_vccz .LBB56_2409
; %bb.2403:
	v_mov_b32_e32 v7, 43
	v_cmp_gt_i16_sdwa s[6:7], s25, v7 src0_sel:BYTE_0 src1_sel:DWORD
	;; [unrolled: 5-line block ×3, first 2 shown]
	s_and_b64 vcc, exec, s[6:7]
	s_cbranch_vccz .LBB56_2412
; %bb.2405:
	v_mov_b32_e32 v7, 46
	v_cmp_eq_u16_sdwa s[6:7], s25, v7 src0_sel:BYTE_0 src1_sel:DWORD
	s_mov_b64 s[18:19], 0
	s_and_b64 vcc, exec, s[6:7]
	s_cbranch_vccz .LBB56_2413
; %bb.2406:
	global_load_dword v7, v[10:11], off
	s_mov_b64 s[6:7], 0
	s_mov_b64 s[16:17], -1
	s_waitcnt vmcnt(0)
	v_lshlrev_b32_e32 v7, 16, v7
	v_cvt_f16_f32_e32 v12, v7
	s_branch .LBB56_2414
.LBB56_2407:
	s_mov_b64 s[6:7], -1
	s_mov_b64 s[16:17], 0
                                        ; implicit-def: $vgpr12
	s_branch .LBB56_2480
.LBB56_2408:
	s_mov_b64 s[18:19], -1
	s_mov_b64 s[16:17], 0
	s_mov_b64 s[6:7], 0
                                        ; implicit-def: $vgpr12
	s_branch .LBB56_2443
.LBB56_2409:
	s_mov_b64 s[18:19], -1
	s_mov_b64 s[16:17], 0
	s_mov_b64 s[6:7], 0
                                        ; implicit-def: $vgpr12
	s_branch .LBB56_2424
.LBB56_2410:
	s_mov_b64 s[18:19], -1
	s_mov_b64 s[16:17], 0
	s_mov_b64 s[6:7], 0
                                        ; implicit-def: $vgpr12
	s_branch .LBB56_2419
.LBB56_2411:
	s_trap 2
	s_or_b64 s[4:5], s[4:5], exec
                                        ; implicit-def: $vgpr14
	s_cbranch_execz .LBB56_2348
	s_branch .LBB56_2349
.LBB56_2412:
	s_mov_b64 s[18:19], -1
	s_mov_b64 s[16:17], 0
	s_mov_b64 s[6:7], 0
                                        ; implicit-def: $vgpr12
	s_branch .LBB56_2414
.LBB56_2413:
	s_mov_b64 s[6:7], -1
                                        ; implicit-def: $vgpr12
	s_mov_b64 s[16:17], 0
.LBB56_2414:
	s_and_b64 vcc, exec, s[18:19]
	s_cbranch_vccz .LBB56_2418
; %bb.2415:
	v_mov_b32_e32 v7, 44
	v_cmp_eq_u16_sdwa s[6:7], s25, v7 src0_sel:BYTE_0 src1_sel:DWORD
	s_and_b64 vcc, exec, s[6:7]
	s_cbranch_vccz .LBB56_2417
; %bb.2416:
	global_load_ubyte v7, v[10:11], off
	s_movk_i32 s16, 0xff
	v_mov_b32_e32 v12, 0x7e00
	s_mov_b64 s[6:7], 0
	s_waitcnt vmcnt(0)
	v_lshlrev_b32_e32 v9, 23, v7
	v_cvt_f16_f32_e32 v9, v9
	v_cmp_ne_u32_e32 vcc, s16, v7
	s_mov_b64 s[16:17], -1
	v_cndmask_b32_e32 v9, v12, v9, vcc
	v_cmp_ne_u32_e32 vcc, 0, v7
	v_cndmask_b32_e32 v12, 0, v9, vcc
	s_branch .LBB56_2418
.LBB56_2417:
	s_mov_b64 s[6:7], -1
                                        ; implicit-def: $vgpr12
.LBB56_2418:
	s_mov_b64 s[18:19], 0
.LBB56_2419:
	s_and_b64 vcc, exec, s[18:19]
	s_cbranch_vccz .LBB56_2423
; %bb.2420:
	v_mov_b32_e32 v7, 29
	v_cmp_eq_u16_sdwa s[6:7], s25, v7 src0_sel:BYTE_0 src1_sel:DWORD
	s_and_b64 vcc, exec, s[6:7]
	s_cbranch_vccz .LBB56_2422
; %bb.2421:
	global_load_dwordx2 v[12:13], v[10:11], off
	s_mov_b64 s[6:7], 0
	s_mov_b64 s[16:17], -1
	s_mov_b64 s[18:19], 0
	s_waitcnt vmcnt(0)
	v_ffbh_u32_e32 v7, v13
	v_min_u32_e32 v7, 32, v7
	v_lshlrev_b64 v[12:13], v7, v[12:13]
	v_min_u32_e32 v9, 1, v12
	v_or_b32_e32 v9, v13, v9
	v_cvt_f32_u32_e32 v9, v9
	v_sub_u32_e32 v7, 32, v7
	v_ldexp_f32 v7, v9, v7
	v_cvt_f16_f32_e32 v12, v7
	s_branch .LBB56_2424
.LBB56_2422:
	s_mov_b64 s[6:7], -1
                                        ; implicit-def: $vgpr12
.LBB56_2423:
	s_mov_b64 s[18:19], 0
.LBB56_2424:
	s_and_b64 vcc, exec, s[18:19]
	s_cbranch_vccz .LBB56_2442
; %bb.2425:
	v_mov_b32_e32 v7, 27
	v_cmp_lt_i16_sdwa s[16:17], s25, v7 src0_sel:BYTE_0 src1_sel:DWORD
	s_and_b64 vcc, exec, s[16:17]
	s_cbranch_vccnz .LBB56_2428
; %bb.2426:
	v_cmp_gt_i16_sdwa s[16:17], s25, v7 src0_sel:BYTE_0 src1_sel:DWORD
	s_and_b64 vcc, exec, s[16:17]
	s_cbranch_vccz .LBB56_2429
; %bb.2427:
	global_load_dword v7, v[10:11], off
	s_mov_b64 s[16:17], 0
	s_waitcnt vmcnt(0)
	v_cvt_f32_u32_e32 v7, v7
	v_cvt_f16_f32_e32 v12, v7
	s_branch .LBB56_2430
.LBB56_2428:
	s_mov_b64 s[16:17], -1
                                        ; implicit-def: $vgpr12
	s_branch .LBB56_2433
.LBB56_2429:
	s_mov_b64 s[16:17], -1
                                        ; implicit-def: $vgpr12
.LBB56_2430:
	s_andn2_b64 vcc, exec, s[16:17]
	s_cbranch_vccnz .LBB56_2432
; %bb.2431:
	global_load_ushort v7, v[10:11], off
	s_waitcnt vmcnt(0)
	v_cvt_f16_u16_e32 v12, v7
.LBB56_2432:
	s_mov_b64 s[16:17], 0
.LBB56_2433:
	s_andn2_b64 vcc, exec, s[16:17]
	s_cbranch_vccnz .LBB56_2441
; %bb.2434:
	global_load_ubyte v7, v[10:11], off
	s_movk_i32 s16, 0x7f
                                        ; implicit-def: $sgpr22
	s_waitcnt vmcnt(0)
	v_cmp_lt_i16_e32 vcc, s16, v7
	s_mov_b64 s[16:17], 0
	s_and_saveexec_b64 s[18:19], vcc
	s_xor_b64 s[18:19], exec, s[18:19]
	s_cbranch_execz .LBB56_2455
; %bb.2435:
	s_movk_i32 s16, 0x80
	v_cmp_eq_u16_e32 vcc, s16, v7
	s_mov_b64 s[16:17], -1
                                        ; implicit-def: $sgpr22
	s_and_saveexec_b64 s[20:21], vcc
; %bb.2436:
	s_movk_i32 s22, 0x7e00
	s_xor_b64 s[16:17], exec, -1
; %bb.2437:
	s_or_b64 exec, exec, s[20:21]
	s_and_b64 s[16:17], s[16:17], exec
	s_or_saveexec_b64 s[18:19], s[18:19]
	v_mov_b32_e32 v12, s22
	s_xor_b64 exec, exec, s[18:19]
	s_cbranch_execnz .LBB56_2456
.LBB56_2438:
	s_or_b64 exec, exec, s[18:19]
	s_and_saveexec_b64 s[18:19], s[16:17]
	s_cbranch_execz .LBB56_2440
.LBB56_2439:
	v_lshlrev_b32_e32 v9, 24, v7
	v_and_b32_e32 v7, 0xffff, v7
	v_and_b32_e32 v12, 7, v7
	v_ffbh_u32_e32 v15, v12
	v_min_u32_e32 v15, 32, v15
	v_subrev_u32_e32 v17, 28, v15
	v_bfe_u32 v13, v7, 3, 4
	v_lshlrev_b32_e32 v7, v17, v7
	v_sub_u32_e32 v15, 29, v15
	v_and_b32_e32 v7, 7, v7
	v_cmp_eq_u32_e32 vcc, 0, v13
	v_cndmask_b32_e32 v13, v13, v15, vcc
	v_cndmask_b32_e32 v7, v12, v7, vcc
	v_mov_b32_e32 v12, 0x3b800000
	v_lshlrev_b32_e32 v7, 20, v7
	v_and_b32_e32 v9, 0x80000000, v9
	v_lshl_add_u32 v12, v13, 23, v12
	v_or3_b32 v7, v9, v12, v7
	v_cvt_f16_f32_e32 v12, v7
.LBB56_2440:
	s_or_b64 exec, exec, s[18:19]
.LBB56_2441:
	s_mov_b64 s[16:17], -1
.LBB56_2442:
	s_mov_b64 s[18:19], 0
.LBB56_2443:
	s_and_b64 vcc, exec, s[18:19]
	s_cbranch_vccz .LBB56_2476
; %bb.2444:
	v_mov_b32_e32 v7, 22
	v_cmp_gt_i16_sdwa s[10:11], s25, v7 src0_sel:BYTE_0 src1_sel:DWORD
	s_and_b64 vcc, exec, s[10:11]
	s_cbranch_vccz .LBB56_2454
; %bb.2445:
	v_mov_b32_e32 v7, 24
	v_cmp_lt_i16_sdwa s[10:11], s25, v7 src0_sel:BYTE_0 src1_sel:DWORD
	s_and_b64 vcc, exec, s[10:11]
	s_cbranch_vccnz .LBB56_2457
; %bb.2446:
	v_cmp_gt_i16_sdwa s[10:11], s25, v7 src0_sel:BYTE_0 src1_sel:DWORD
	s_and_b64 vcc, exec, s[10:11]
	s_cbranch_vccz .LBB56_2458
; %bb.2447:
	global_load_ubyte v7, v[10:11], off
	s_movk_i32 s10, 0x7f
                                        ; implicit-def: $sgpr20
	s_waitcnt vmcnt(0)
	v_cmp_lt_i16_e32 vcc, s10, v7
	s_mov_b64 s[10:11], 0
	s_and_saveexec_b64 s[16:17], vcc
	s_xor_b64 s[16:17], exec, s[16:17]
	s_cbranch_execz .LBB56_2470
; %bb.2448:
	s_movk_i32 s10, 0x80
	v_cmp_eq_u16_e32 vcc, s10, v7
	s_mov_b64 s[10:11], -1
                                        ; implicit-def: $sgpr20
	s_and_saveexec_b64 s[18:19], vcc
; %bb.2449:
	s_movk_i32 s20, 0x7e00
	s_xor_b64 s[10:11], exec, -1
; %bb.2450:
	s_or_b64 exec, exec, s[18:19]
	s_and_b64 s[10:11], s[10:11], exec
	s_or_saveexec_b64 s[16:17], s[16:17]
	v_mov_b32_e32 v12, s20
	s_xor_b64 exec, exec, s[16:17]
	s_cbranch_execnz .LBB56_2471
.LBB56_2451:
	s_or_b64 exec, exec, s[16:17]
	s_and_saveexec_b64 s[16:17], s[10:11]
	s_cbranch_execz .LBB56_2453
.LBB56_2452:
	v_lshlrev_b32_e32 v9, 24, v7
	v_and_b32_e32 v7, 0xffff, v7
	v_and_b32_e32 v12, 3, v7
	v_ffbh_u32_e32 v15, v12
	v_min_u32_e32 v15, 32, v15
	v_subrev_u32_e32 v17, 29, v15
	v_bfe_u32 v13, v7, 2, 5
	v_lshlrev_b32_e32 v7, v17, v7
	v_sub_u32_e32 v15, 30, v15
	v_and_b32_e32 v7, 3, v7
	v_cmp_eq_u32_e32 vcc, 0, v13
	v_cndmask_b32_e32 v13, v13, v15, vcc
	v_cndmask_b32_e32 v7, v12, v7, vcc
	v_mov_b32_e32 v12, 0x37800000
	v_lshlrev_b32_e32 v7, 21, v7
	v_and_b32_e32 v9, 0x80000000, v9
	v_lshl_add_u32 v12, v13, 23, v12
	v_or3_b32 v7, v9, v12, v7
	v_cvt_f16_f32_e32 v12, v7
.LBB56_2453:
	s_or_b64 exec, exec, s[16:17]
	s_mov_b64 s[10:11], 0
	s_branch .LBB56_2459
.LBB56_2454:
	s_mov_b64 s[10:11], -1
                                        ; implicit-def: $vgpr12
	s_branch .LBB56_2465
.LBB56_2455:
	s_or_saveexec_b64 s[18:19], s[18:19]
	v_mov_b32_e32 v12, s22
	s_xor_b64 exec, exec, s[18:19]
	s_cbranch_execz .LBB56_2438
.LBB56_2456:
	v_cmp_ne_u16_e32 vcc, 0, v7
	s_andn2_b64 s[16:17], s[16:17], exec
	s_and_b64 s[20:21], vcc, exec
	s_or_b64 s[16:17], s[16:17], s[20:21]
	v_mov_b32_e32 v12, v7
	s_or_b64 exec, exec, s[18:19]
	s_and_saveexec_b64 s[18:19], s[16:17]
	s_cbranch_execnz .LBB56_2439
	s_branch .LBB56_2440
.LBB56_2457:
	s_mov_b64 s[10:11], -1
                                        ; implicit-def: $vgpr12
	s_branch .LBB56_2462
.LBB56_2458:
	s_mov_b64 s[10:11], -1
                                        ; implicit-def: $vgpr12
.LBB56_2459:
	s_and_b64 vcc, exec, s[10:11]
	s_cbranch_vccz .LBB56_2461
; %bb.2460:
	global_load_ubyte v7, v[10:11], off
	s_mov_b32 s10, 0x7f800000
	s_waitcnt vmcnt(0)
	v_lshlrev_b32_e32 v7, 24, v7
	v_and_b32_e32 v9, 0x7f000000, v7
	v_ffbh_u32_e32 v12, v9
	v_min_u32_e32 v12, 32, v12
	v_sub_u32_e64 v12, v12, 4 clamp
	v_lshlrev_b32_e32 v15, v12, v9
	v_lshlrev_b32_e32 v12, 23, v12
	v_lshrrev_b32_e32 v15, 4, v15
	v_add_u32_e32 v13, 0x1000000, v9
	v_sub_u32_e32 v12, v15, v12
	v_ashrrev_i32_e32 v13, 8, v13
	v_add_u32_e32 v12, 0x3c000000, v12
	v_and_or_b32 v12, v13, s10, v12
	v_cmp_ne_u32_e32 vcc, 0, v9
	v_cndmask_b32_e32 v9, 0, v12, vcc
	s_brev_b32 s10, 1
	v_and_or_b32 v7, v7, s10, v9
	v_cvt_f16_f32_e32 v12, v7
.LBB56_2461:
	s_mov_b64 s[10:11], 0
.LBB56_2462:
	s_andn2_b64 vcc, exec, s[10:11]
	s_cbranch_vccnz .LBB56_2464
; %bb.2463:
	global_load_ubyte v7, v[10:11], off
	s_movk_i32 s10, 0x7f00
	s_brev_b32 s11, 16
	s_waitcnt vmcnt(0)
	v_lshlrev_b16_e32 v9, 8, v7
	v_lshlrev_b32_e32 v7, 25, v7
	v_lshrrev_b32_e32 v12, 4, v7
	v_and_or_b32 v13, v9, s10, 0.5
	v_or_b32_e32 v12, 0x70000000, v12
	v_add_f32_e32 v13, -0.5, v13
	v_mul_f32_e32 v12, 0x7800000, v12
	v_cmp_gt_u32_e32 vcc, s11, v7
	v_bfe_i32 v9, v9, 0, 16
	v_cndmask_b32_e32 v7, v12, v13, vcc
	s_brev_b32 s10, 1
	v_and_or_b32 v7, v9, s10, v7
	v_cvt_f16_f32_e32 v12, v7
.LBB56_2464:
	s_mov_b64 s[10:11], 0
	s_mov_b64 s[16:17], -1
.LBB56_2465:
	s_andn2_b64 vcc, exec, s[10:11]
	s_mov_b64 s[10:11], 0
	s_cbranch_vccnz .LBB56_2476
; %bb.2466:
	v_mov_b32_e32 v7, 14
	v_cmp_gt_i16_sdwa s[10:11], s25, v7 src0_sel:BYTE_0 src1_sel:DWORD
	s_and_b64 vcc, exec, s[10:11]
	s_cbranch_vccz .LBB56_2469
; %bb.2467:
	v_mov_b32_e32 v7, 15
	v_cmp_eq_u16_sdwa s[6:7], s25, v7 src0_sel:BYTE_0 src1_sel:DWORD
	s_and_b64 vcc, exec, s[6:7]
	s_cbranch_vccz .LBB56_2472
; %bb.2468:
	global_load_ushort v7, v[10:11], off
	s_mov_b64 s[6:7], 0
	s_mov_b64 s[16:17], -1
	s_waitcnt vmcnt(0)
	v_lshlrev_b32_e32 v7, 16, v7
	v_cvt_f16_f32_e32 v12, v7
	s_branch .LBB56_2473
.LBB56_2469:
	s_mov_b64 s[18:19], -1
                                        ; implicit-def: $vgpr12
	s_branch .LBB56_2474
.LBB56_2470:
	s_or_saveexec_b64 s[16:17], s[16:17]
	v_mov_b32_e32 v12, s20
	s_xor_b64 exec, exec, s[16:17]
	s_cbranch_execz .LBB56_2451
.LBB56_2471:
	v_cmp_ne_u16_e32 vcc, 0, v7
	s_andn2_b64 s[10:11], s[10:11], exec
	s_and_b64 s[18:19], vcc, exec
	s_or_b64 s[10:11], s[10:11], s[18:19]
	v_mov_b32_e32 v12, v7
	s_or_b64 exec, exec, s[16:17]
	s_and_saveexec_b64 s[16:17], s[10:11]
	s_cbranch_execnz .LBB56_2452
	s_branch .LBB56_2453
.LBB56_2472:
	s_mov_b64 s[6:7], -1
                                        ; implicit-def: $vgpr12
.LBB56_2473:
	s_mov_b64 s[18:19], 0
.LBB56_2474:
	s_mov_b64 s[10:11], 0
	s_and_b64 vcc, exec, s[18:19]
	s_cbranch_vccz .LBB56_2476
; %bb.2475:
	v_mov_b32_e32 v7, 11
	v_cmp_ne_u16_sdwa s[6:7], s25, v7 src0_sel:BYTE_0 src1_sel:DWORD
	s_mov_b64 s[10:11], -1
                                        ; implicit-def: $vgpr12
.LBB56_2476:
	s_and_b64 vcc, exec, s[6:7]
	s_cbranch_vccnz .LBB56_2541
; %bb.2477:
	s_andn2_b64 vcc, exec, s[10:11]
	s_cbranch_vccnz .LBB56_2479
.LBB56_2478:
	global_load_ubyte v7, v[10:11], off
	v_mov_b32_e32 v9, 0x3c00
	s_mov_b64 s[16:17], -1
	s_waitcnt vmcnt(0)
	v_cmp_ne_u16_e32 vcc, 0, v7
	v_cndmask_b32_e32 v12, 0, v9, vcc
.LBB56_2479:
	s_mov_b64 s[6:7], 0
.LBB56_2480:
	s_and_b64 vcc, exec, s[6:7]
	s_cbranch_vccz .LBB56_2529
; %bb.2481:
	v_mov_b32_e32 v7, 5
	v_cmp_lt_i16_sdwa s[6:7], s25, v7 src0_sel:BYTE_0 src1_sel:DWORD
	s_and_b64 vcc, exec, s[6:7]
	s_cbranch_vccnz .LBB56_2486
; %bb.2482:
	v_mov_b32_e32 v7, 8
	v_cmp_lt_i16_sdwa s[6:7], s25, v7 src0_sel:BYTE_0 src1_sel:DWORD
	s_and_b64 vcc, exec, s[6:7]
	s_cbranch_vccnz .LBB56_2487
	;; [unrolled: 5-line block ×3, first 2 shown]
; %bb.2484:
	v_cmp_gt_i16_sdwa s[6:7], s25, v7 src0_sel:BYTE_0 src1_sel:DWORD
	s_and_b64 vcc, exec, s[6:7]
	s_cbranch_vccz .LBB56_2489
; %bb.2485:
	global_load_dwordx2 v[12:13], v[10:11], off
	s_mov_b64 s[6:7], 0
	s_waitcnt vmcnt(0)
	v_cvt_f32_f64_e32 v7, v[12:13]
	v_cvt_f16_f32_e32 v12, v7
	s_branch .LBB56_2490
.LBB56_2486:
	s_mov_b64 s[6:7], -1
                                        ; implicit-def: $vgpr12
	s_branch .LBB56_2508
.LBB56_2487:
	s_mov_b64 s[6:7], -1
                                        ; implicit-def: $vgpr12
	s_branch .LBB56_2496
.LBB56_2488:
	s_mov_b64 s[6:7], -1
                                        ; implicit-def: $vgpr12
	s_branch .LBB56_2493
.LBB56_2489:
	s_mov_b64 s[6:7], -1
                                        ; implicit-def: $vgpr12
.LBB56_2490:
	s_andn2_b64 vcc, exec, s[6:7]
	s_cbranch_vccnz .LBB56_2492
; %bb.2491:
	global_load_dword v7, v[10:11], off
	s_waitcnt vmcnt(0)
	v_cvt_f16_f32_e32 v12, v7
.LBB56_2492:
	s_mov_b64 s[6:7], 0
.LBB56_2493:
	s_andn2_b64 vcc, exec, s[6:7]
	s_cbranch_vccnz .LBB56_2495
; %bb.2494:
	global_load_dword v12, v[10:11], off
.LBB56_2495:
	s_mov_b64 s[6:7], 0
.LBB56_2496:
	s_andn2_b64 vcc, exec, s[6:7]
	s_cbranch_vccnz .LBB56_2507
; %bb.2497:
	v_mov_b32_e32 v7, 6
	v_cmp_lt_i16_sdwa s[6:7], s25, v7 src0_sel:BYTE_0 src1_sel:DWORD
	s_and_b64 vcc, exec, s[6:7]
	s_cbranch_vccnz .LBB56_2500
; %bb.2498:
	v_cmp_gt_i16_sdwa s[6:7], s25, v7 src0_sel:BYTE_0 src1_sel:DWORD
	s_and_b64 vcc, exec, s[6:7]
	s_cbranch_vccz .LBB56_2501
; %bb.2499:
	global_load_dwordx2 v[12:13], v[10:11], off
	s_mov_b64 s[6:7], 0
	s_waitcnt vmcnt(0)
	v_cvt_f32_f64_e32 v7, v[12:13]
	v_cvt_f16_f32_e32 v12, v7
	s_branch .LBB56_2502
.LBB56_2500:
	s_mov_b64 s[6:7], -1
                                        ; implicit-def: $vgpr12
	s_branch .LBB56_2505
.LBB56_2501:
	s_mov_b64 s[6:7], -1
                                        ; implicit-def: $vgpr12
.LBB56_2502:
	s_andn2_b64 vcc, exec, s[6:7]
	s_cbranch_vccnz .LBB56_2504
; %bb.2503:
	global_load_dword v7, v[10:11], off
	s_waitcnt vmcnt(0)
	v_cvt_f16_f32_e32 v12, v7
.LBB56_2504:
	s_mov_b64 s[6:7], 0
.LBB56_2505:
	s_andn2_b64 vcc, exec, s[6:7]
	s_cbranch_vccnz .LBB56_2507
; %bb.2506:
	global_load_ushort v12, v[10:11], off
.LBB56_2507:
	s_mov_b64 s[6:7], 0
.LBB56_2508:
	s_andn2_b64 vcc, exec, s[6:7]
	s_cbranch_vccnz .LBB56_2528
; %bb.2509:
	v_mov_b32_e32 v7, 2
	v_cmp_lt_i16_sdwa s[6:7], s25, v7 src0_sel:BYTE_0 src1_sel:DWORD
	s_and_b64 vcc, exec, s[6:7]
	s_cbranch_vccnz .LBB56_2513
; %bb.2510:
	v_mov_b32_e32 v7, 3
	v_cmp_lt_i16_sdwa s[6:7], s25, v7 src0_sel:BYTE_0 src1_sel:DWORD
	s_and_b64 vcc, exec, s[6:7]
	s_cbranch_vccnz .LBB56_2514
; %bb.2511:
	v_cmp_gt_i16_sdwa s[6:7], s25, v7 src0_sel:BYTE_0 src1_sel:DWORD
	s_and_b64 vcc, exec, s[6:7]
	s_cbranch_vccz .LBB56_2515
; %bb.2512:
	global_load_dwordx2 v[12:13], v[10:11], off
	s_mov_b64 s[6:7], 0
	s_waitcnt vmcnt(0)
	v_xor_b32_e32 v9, v12, v13
	v_ffbh_i32_e32 v7, v13
	v_ashrrev_i32_e32 v9, 31, v9
	v_add_u32_e32 v7, -1, v7
	v_add_u32_e32 v9, 32, v9
	v_min_u32_e32 v7, v7, v9
	v_lshlrev_b64 v[12:13], v7, v[12:13]
	v_min_u32_e32 v9, 1, v12
	v_or_b32_e32 v9, v13, v9
	v_cvt_f32_i32_e32 v9, v9
	v_sub_u32_e32 v7, 32, v7
	v_ldexp_f32 v7, v9, v7
	v_cvt_f16_f32_e32 v12, v7
	s_branch .LBB56_2516
.LBB56_2513:
	s_mov_b64 s[6:7], -1
                                        ; implicit-def: $vgpr12
	s_branch .LBB56_2522
.LBB56_2514:
	s_mov_b64 s[6:7], -1
                                        ; implicit-def: $vgpr12
	s_branch .LBB56_2519
.LBB56_2515:
	s_mov_b64 s[6:7], -1
                                        ; implicit-def: $vgpr12
.LBB56_2516:
	s_andn2_b64 vcc, exec, s[6:7]
	s_cbranch_vccnz .LBB56_2518
; %bb.2517:
	global_load_dword v7, v[10:11], off
	s_waitcnt vmcnt(0)
	v_cvt_f32_i32_e32 v7, v7
	v_cvt_f16_f32_e32 v12, v7
.LBB56_2518:
	s_mov_b64 s[6:7], 0
.LBB56_2519:
	s_andn2_b64 vcc, exec, s[6:7]
	s_cbranch_vccnz .LBB56_2521
; %bb.2520:
	global_load_ushort v7, v[10:11], off
	s_waitcnt vmcnt(0)
	v_cvt_f16_i16_e32 v12, v7
.LBB56_2521:
	s_mov_b64 s[6:7], 0
.LBB56_2522:
	s_andn2_b64 vcc, exec, s[6:7]
	s_cbranch_vccnz .LBB56_2528
; %bb.2523:
	v_mov_b32_e32 v7, 0
	v_cmp_gt_i16_sdwa s[6:7], s25, v7 src0_sel:BYTE_0 src1_sel:DWORD
	s_and_b64 vcc, exec, s[6:7]
	s_cbranch_vccz .LBB56_2525
; %bb.2524:
	global_load_sbyte v7, v[10:11], off
	s_mov_b64 s[6:7], 0
	s_waitcnt vmcnt(0)
	v_cvt_f16_i16_e32 v12, v7
	s_branch .LBB56_2526
.LBB56_2525:
	s_mov_b64 s[6:7], -1
                                        ; implicit-def: $vgpr12
.LBB56_2526:
	s_andn2_b64 vcc, exec, s[6:7]
	s_cbranch_vccnz .LBB56_2528
; %bb.2527:
	global_load_ubyte v7, v[10:11], off
	s_waitcnt vmcnt(0)
	v_cvt_f16_u16_e32 v12, v7
.LBB56_2528:
	s_mov_b64 s[16:17], -1
.LBB56_2529:
	s_andn2_b64 vcc, exec, s[16:17]
	s_cbranch_vccnz .LBB56_3113
; %bb.2530:
	v_mov_b32_e32 v7, s1
	v_add_co_u32_e32 v8, vcc, s0, v8
	v_addc_co_u32_e32 v9, vcc, 0, v7, vcc
	s_and_b64 vcc, exec, s[2:3]
	s_cbranch_vccnz .LBB56_2537
; %bb.2531:
	v_cmp_gt_i16_e64 s[0:1], s26, 25
	s_mov_b64 s[2:3], 0
	s_and_b64 vcc, exec, s[0:1]
	s_cbranch_vccz .LBB56_2538
; %bb.2532:
	v_cmp_gt_i16_e64 s[0:1], s26, 28
	s_and_b64 vcc, exec, s[0:1]
	s_cbranch_vccz .LBB56_2539
; %bb.2533:
	v_cmp_gt_i16_e64 s[0:1], s26, 43
	;; [unrolled: 4-line block ×3, first 2 shown]
	s_and_b64 vcc, exec, s[0:1]
	s_cbranch_vccz .LBB56_2542
; %bb.2535:
	v_cmp_eq_u16_e64 s[0:1], s26, 46
	s_mov_b64 s[10:11], 0
	s_and_b64 vcc, exec, s[0:1]
	s_cbranch_vccz .LBB56_2543
; %bb.2536:
	global_load_dword v7, v[8:9], off
	s_mov_b64 s[0:1], 0
	s_mov_b64 s[6:7], -1
	s_waitcnt vmcnt(0)
	v_lshlrev_b32_e32 v7, 16, v7
	v_cvt_f16_f32_e32 v10, v7
	s_branch .LBB56_2544
.LBB56_2537:
	s_mov_b64 s[0:1], -1
	s_mov_b64 s[6:7], 0
                                        ; implicit-def: $vgpr10
	s_branch .LBB56_2610
.LBB56_2538:
	s_mov_b64 s[10:11], -1
	s_mov_b64 s[6:7], 0
	s_mov_b64 s[0:1], 0
                                        ; implicit-def: $vgpr10
	s_branch .LBB56_2573
.LBB56_2539:
	s_mov_b64 s[10:11], -1
	s_mov_b64 s[6:7], 0
	s_mov_b64 s[0:1], 0
                                        ; implicit-def: $vgpr10
	s_branch .LBB56_2554
.LBB56_2540:
	s_mov_b64 s[10:11], -1
	s_mov_b64 s[6:7], 0
	s_mov_b64 s[0:1], 0
                                        ; implicit-def: $vgpr10
	s_branch .LBB56_2549
.LBB56_2541:
	s_trap 2
	s_or_b64 s[4:5], s[4:5], exec
                                        ; implicit-def: $vgpr12
	s_cbranch_execz .LBB56_2478
	s_branch .LBB56_2479
.LBB56_2542:
	s_mov_b64 s[10:11], -1
	s_mov_b64 s[6:7], 0
	s_mov_b64 s[0:1], 0
                                        ; implicit-def: $vgpr10
	s_branch .LBB56_2544
.LBB56_2543:
	s_mov_b64 s[0:1], -1
                                        ; implicit-def: $vgpr10
	s_mov_b64 s[6:7], 0
.LBB56_2544:
	s_and_b64 vcc, exec, s[10:11]
	s_cbranch_vccz .LBB56_2548
; %bb.2545:
	v_cmp_eq_u16_e64 s[0:1], s26, 44
	s_and_b64 vcc, exec, s[0:1]
	s_cbranch_vccz .LBB56_2547
; %bb.2546:
	global_load_ubyte v7, v[8:9], off
	s_movk_i32 s6, 0xff
	v_mov_b32_e32 v11, 0x7e00
	s_mov_b64 s[0:1], 0
	s_waitcnt vmcnt(0)
	v_lshlrev_b32_e32 v10, 23, v7
	v_cvt_f16_f32_e32 v10, v10
	v_cmp_ne_u32_e32 vcc, s6, v7
	s_mov_b64 s[6:7], -1
	v_cndmask_b32_e32 v10, v11, v10, vcc
	v_cmp_ne_u32_e32 vcc, 0, v7
	v_cndmask_b32_e32 v10, 0, v10, vcc
	s_branch .LBB56_2548
.LBB56_2547:
	s_mov_b64 s[0:1], -1
                                        ; implicit-def: $vgpr10
.LBB56_2548:
	s_mov_b64 s[10:11], 0
.LBB56_2549:
	s_and_b64 vcc, exec, s[10:11]
	s_cbranch_vccz .LBB56_2553
; %bb.2550:
	v_cmp_eq_u16_e64 s[0:1], s26, 29
	s_and_b64 vcc, exec, s[0:1]
	s_cbranch_vccz .LBB56_2552
; %bb.2551:
	global_load_dwordx2 v[10:11], v[8:9], off
	s_mov_b64 s[0:1], 0
	s_mov_b64 s[6:7], -1
	s_mov_b64 s[10:11], 0
	s_waitcnt vmcnt(0)
	v_ffbh_u32_e32 v7, v11
	v_min_u32_e32 v7, 32, v7
	v_lshlrev_b64 v[10:11], v7, v[10:11]
	v_min_u32_e32 v10, 1, v10
	v_or_b32_e32 v10, v11, v10
	v_cvt_f32_u32_e32 v10, v10
	v_sub_u32_e32 v7, 32, v7
	v_ldexp_f32 v7, v10, v7
	v_cvt_f16_f32_e32 v10, v7
	s_branch .LBB56_2554
.LBB56_2552:
	s_mov_b64 s[0:1], -1
                                        ; implicit-def: $vgpr10
.LBB56_2553:
	s_mov_b64 s[10:11], 0
.LBB56_2554:
	s_and_b64 vcc, exec, s[10:11]
	s_cbranch_vccz .LBB56_2572
; %bb.2555:
	v_cmp_lt_i16_e64 s[6:7], s26, 27
	s_and_b64 vcc, exec, s[6:7]
	s_cbranch_vccnz .LBB56_2558
; %bb.2556:
	v_cmp_gt_i16_e64 s[6:7], s26, 27
	s_and_b64 vcc, exec, s[6:7]
	s_cbranch_vccz .LBB56_2559
; %bb.2557:
	global_load_dword v7, v[8:9], off
	s_mov_b64 s[6:7], 0
	s_waitcnt vmcnt(0)
	v_cvt_f32_u32_e32 v7, v7
	v_cvt_f16_f32_e32 v10, v7
	s_branch .LBB56_2560
.LBB56_2558:
	s_mov_b64 s[6:7], -1
                                        ; implicit-def: $vgpr10
	s_branch .LBB56_2563
.LBB56_2559:
	s_mov_b64 s[6:7], -1
                                        ; implicit-def: $vgpr10
.LBB56_2560:
	s_andn2_b64 vcc, exec, s[6:7]
	s_cbranch_vccnz .LBB56_2562
; %bb.2561:
	global_load_ushort v7, v[8:9], off
	s_waitcnt vmcnt(0)
	v_cvt_f16_u16_e32 v10, v7
.LBB56_2562:
	s_mov_b64 s[6:7], 0
.LBB56_2563:
	s_andn2_b64 vcc, exec, s[6:7]
	s_cbranch_vccnz .LBB56_2571
; %bb.2564:
	global_load_ubyte v7, v[8:9], off
	s_movk_i32 s6, 0x7f
                                        ; implicit-def: $sgpr18
	s_waitcnt vmcnt(0)
	v_cmp_lt_i16_e32 vcc, s6, v7
	s_mov_b64 s[6:7], 0
	s_and_saveexec_b64 s[10:11], vcc
	s_xor_b64 s[10:11], exec, s[10:11]
	s_cbranch_execz .LBB56_2585
; %bb.2565:
	s_movk_i32 s6, 0x80
	v_cmp_eq_u16_e32 vcc, s6, v7
	s_mov_b64 s[6:7], -1
                                        ; implicit-def: $sgpr18
	s_and_saveexec_b64 s[16:17], vcc
; %bb.2566:
	s_movk_i32 s18, 0x7e00
	s_xor_b64 s[6:7], exec, -1
; %bb.2567:
	s_or_b64 exec, exec, s[16:17]
	s_and_b64 s[6:7], s[6:7], exec
	s_or_saveexec_b64 s[10:11], s[10:11]
	v_mov_b32_e32 v10, s18
	s_xor_b64 exec, exec, s[10:11]
	s_cbranch_execnz .LBB56_2586
.LBB56_2568:
	s_or_b64 exec, exec, s[10:11]
	s_and_saveexec_b64 s[10:11], s[6:7]
	s_cbranch_execz .LBB56_2570
.LBB56_2569:
	v_lshlrev_b32_e32 v10, 24, v7
	v_and_b32_e32 v7, 0xffff, v7
	v_and_b32_e32 v11, 7, v7
	v_ffbh_u32_e32 v15, v11
	v_min_u32_e32 v15, 32, v15
	v_subrev_u32_e32 v17, 28, v15
	v_bfe_u32 v13, v7, 3, 4
	v_lshlrev_b32_e32 v7, v17, v7
	v_sub_u32_e32 v15, 29, v15
	v_and_b32_e32 v7, 7, v7
	v_cmp_eq_u32_e32 vcc, 0, v13
	v_cndmask_b32_e32 v13, v13, v15, vcc
	v_cndmask_b32_e32 v7, v11, v7, vcc
	v_mov_b32_e32 v11, 0x3b800000
	v_lshlrev_b32_e32 v7, 20, v7
	v_and_b32_e32 v10, 0x80000000, v10
	v_lshl_add_u32 v11, v13, 23, v11
	v_or3_b32 v7, v10, v11, v7
	v_cvt_f16_f32_e32 v10, v7
.LBB56_2570:
	s_or_b64 exec, exec, s[10:11]
.LBB56_2571:
	s_mov_b64 s[6:7], -1
.LBB56_2572:
	s_mov_b64 s[10:11], 0
.LBB56_2573:
	s_and_b64 vcc, exec, s[10:11]
	s_cbranch_vccz .LBB56_2606
; %bb.2574:
	v_cmp_gt_i16_e64 s[2:3], s26, 22
	s_and_b64 vcc, exec, s[2:3]
	s_cbranch_vccz .LBB56_2584
; %bb.2575:
	v_cmp_lt_i16_e64 s[2:3], s26, 24
	s_and_b64 vcc, exec, s[2:3]
	s_cbranch_vccnz .LBB56_2587
; %bb.2576:
	v_cmp_gt_i16_e64 s[2:3], s26, 24
	s_and_b64 vcc, exec, s[2:3]
	s_cbranch_vccz .LBB56_2588
; %bb.2577:
	global_load_ubyte v7, v[8:9], off
	s_movk_i32 s2, 0x7f
                                        ; implicit-def: $sgpr16
	s_waitcnt vmcnt(0)
	v_cmp_lt_i16_e32 vcc, s2, v7
	s_mov_b64 s[2:3], 0
	s_and_saveexec_b64 s[6:7], vcc
	s_xor_b64 s[6:7], exec, s[6:7]
	s_cbranch_execz .LBB56_2600
; %bb.2578:
	s_movk_i32 s2, 0x80
	v_cmp_eq_u16_e32 vcc, s2, v7
	s_mov_b64 s[2:3], -1
                                        ; implicit-def: $sgpr16
	s_and_saveexec_b64 s[10:11], vcc
; %bb.2579:
	s_movk_i32 s16, 0x7e00
	s_xor_b64 s[2:3], exec, -1
; %bb.2580:
	s_or_b64 exec, exec, s[10:11]
	s_and_b64 s[2:3], s[2:3], exec
	s_or_saveexec_b64 s[6:7], s[6:7]
	v_mov_b32_e32 v10, s16
	s_xor_b64 exec, exec, s[6:7]
	s_cbranch_execnz .LBB56_2601
.LBB56_2581:
	s_or_b64 exec, exec, s[6:7]
	s_and_saveexec_b64 s[6:7], s[2:3]
	s_cbranch_execz .LBB56_2583
.LBB56_2582:
	v_lshlrev_b32_e32 v10, 24, v7
	v_and_b32_e32 v7, 0xffff, v7
	v_and_b32_e32 v11, 3, v7
	v_ffbh_u32_e32 v15, v11
	v_min_u32_e32 v15, 32, v15
	v_subrev_u32_e32 v17, 29, v15
	v_bfe_u32 v13, v7, 2, 5
	v_lshlrev_b32_e32 v7, v17, v7
	v_sub_u32_e32 v15, 30, v15
	v_and_b32_e32 v7, 3, v7
	v_cmp_eq_u32_e32 vcc, 0, v13
	v_cndmask_b32_e32 v13, v13, v15, vcc
	v_cndmask_b32_e32 v7, v11, v7, vcc
	v_mov_b32_e32 v11, 0x37800000
	v_lshlrev_b32_e32 v7, 21, v7
	v_and_b32_e32 v10, 0x80000000, v10
	v_lshl_add_u32 v11, v13, 23, v11
	v_or3_b32 v7, v10, v11, v7
	v_cvt_f16_f32_e32 v10, v7
.LBB56_2583:
	s_or_b64 exec, exec, s[6:7]
	s_mov_b64 s[2:3], 0
	s_branch .LBB56_2589
.LBB56_2584:
	s_mov_b64 s[2:3], -1
                                        ; implicit-def: $vgpr10
	s_branch .LBB56_2595
.LBB56_2585:
	s_or_saveexec_b64 s[10:11], s[10:11]
	v_mov_b32_e32 v10, s18
	s_xor_b64 exec, exec, s[10:11]
	s_cbranch_execz .LBB56_2568
.LBB56_2586:
	v_cmp_ne_u16_e32 vcc, 0, v7
	s_andn2_b64 s[6:7], s[6:7], exec
	s_and_b64 s[16:17], vcc, exec
	s_or_b64 s[6:7], s[6:7], s[16:17]
	v_mov_b32_e32 v10, v7
	s_or_b64 exec, exec, s[10:11]
	s_and_saveexec_b64 s[10:11], s[6:7]
	s_cbranch_execnz .LBB56_2569
	s_branch .LBB56_2570
.LBB56_2587:
	s_mov_b64 s[2:3], -1
                                        ; implicit-def: $vgpr10
	s_branch .LBB56_2592
.LBB56_2588:
	s_mov_b64 s[2:3], -1
                                        ; implicit-def: $vgpr10
.LBB56_2589:
	s_and_b64 vcc, exec, s[2:3]
	s_cbranch_vccz .LBB56_2591
; %bb.2590:
	global_load_ubyte v7, v[8:9], off
	s_mov_b32 s2, 0x7f800000
	s_waitcnt vmcnt(0)
	v_lshlrev_b32_e32 v7, 24, v7
	v_and_b32_e32 v10, 0x7f000000, v7
	v_ffbh_u32_e32 v11, v10
	v_min_u32_e32 v11, 32, v11
	v_sub_u32_e64 v11, v11, 4 clamp
	v_lshlrev_b32_e32 v15, v11, v10
	v_lshlrev_b32_e32 v11, 23, v11
	v_lshrrev_b32_e32 v15, 4, v15
	v_add_u32_e32 v13, 0x1000000, v10
	v_sub_u32_e32 v11, v15, v11
	v_ashrrev_i32_e32 v13, 8, v13
	v_add_u32_e32 v11, 0x3c000000, v11
	v_and_or_b32 v11, v13, s2, v11
	v_cmp_ne_u32_e32 vcc, 0, v10
	v_cndmask_b32_e32 v10, 0, v11, vcc
	s_brev_b32 s2, 1
	v_and_or_b32 v7, v7, s2, v10
	v_cvt_f16_f32_e32 v10, v7
.LBB56_2591:
	s_mov_b64 s[2:3], 0
.LBB56_2592:
	s_andn2_b64 vcc, exec, s[2:3]
	s_cbranch_vccnz .LBB56_2594
; %bb.2593:
	global_load_ubyte v7, v[8:9], off
	s_movk_i32 s2, 0x7f00
	s_brev_b32 s3, 16
	s_waitcnt vmcnt(0)
	v_lshlrev_b16_e32 v10, 8, v7
	v_lshlrev_b32_e32 v7, 25, v7
	v_lshrrev_b32_e32 v11, 4, v7
	v_and_or_b32 v13, v10, s2, 0.5
	v_or_b32_e32 v11, 0x70000000, v11
	v_add_f32_e32 v13, -0.5, v13
	v_mul_f32_e32 v11, 0x7800000, v11
	v_cmp_gt_u32_e32 vcc, s3, v7
	v_bfe_i32 v10, v10, 0, 16
	v_cndmask_b32_e32 v7, v11, v13, vcc
	s_brev_b32 s2, 1
	v_and_or_b32 v7, v10, s2, v7
	v_cvt_f16_f32_e32 v10, v7
.LBB56_2594:
	s_mov_b64 s[2:3], 0
	s_mov_b64 s[6:7], -1
.LBB56_2595:
	s_andn2_b64 vcc, exec, s[2:3]
	s_mov_b64 s[2:3], 0
	s_cbranch_vccnz .LBB56_2606
; %bb.2596:
	v_cmp_gt_i16_e64 s[2:3], s26, 14
	s_and_b64 vcc, exec, s[2:3]
	s_cbranch_vccz .LBB56_2599
; %bb.2597:
	v_cmp_eq_u16_e64 s[0:1], s26, 15
	s_and_b64 vcc, exec, s[0:1]
	s_cbranch_vccz .LBB56_2602
; %bb.2598:
	global_load_ushort v7, v[8:9], off
	s_mov_b64 s[0:1], 0
	s_mov_b64 s[6:7], -1
	s_waitcnt vmcnt(0)
	v_lshlrev_b32_e32 v7, 16, v7
	v_cvt_f16_f32_e32 v10, v7
	s_branch .LBB56_2603
.LBB56_2599:
	s_mov_b64 s[10:11], -1
                                        ; implicit-def: $vgpr10
	s_branch .LBB56_2604
.LBB56_2600:
	s_or_saveexec_b64 s[6:7], s[6:7]
	v_mov_b32_e32 v10, s16
	s_xor_b64 exec, exec, s[6:7]
	s_cbranch_execz .LBB56_2581
.LBB56_2601:
	v_cmp_ne_u16_e32 vcc, 0, v7
	s_andn2_b64 s[2:3], s[2:3], exec
	s_and_b64 s[10:11], vcc, exec
	s_or_b64 s[2:3], s[2:3], s[10:11]
	v_mov_b32_e32 v10, v7
	s_or_b64 exec, exec, s[6:7]
	s_and_saveexec_b64 s[6:7], s[2:3]
	s_cbranch_execnz .LBB56_2582
	s_branch .LBB56_2583
.LBB56_2602:
	s_mov_b64 s[0:1], -1
                                        ; implicit-def: $vgpr10
.LBB56_2603:
	s_mov_b64 s[10:11], 0
.LBB56_2604:
	s_mov_b64 s[2:3], 0
	s_and_b64 vcc, exec, s[10:11]
	s_cbranch_vccz .LBB56_2606
; %bb.2605:
	v_cmp_ne_u16_e64 s[0:1], s26, 11
	s_mov_b64 s[2:3], -1
                                        ; implicit-def: $vgpr10
.LBB56_2606:
	s_and_b64 vcc, exec, s[0:1]
	s_cbranch_vccnz .LBB56_2670
; %bb.2607:
	s_andn2_b64 vcc, exec, s[2:3]
	s_cbranch_vccnz .LBB56_2609
.LBB56_2608:
	global_load_ubyte v7, v[8:9], off
	v_mov_b32_e32 v10, 0x3c00
	s_mov_b64 s[6:7], -1
	s_waitcnt vmcnt(0)
	v_cmp_ne_u16_e32 vcc, 0, v7
	v_cndmask_b32_e32 v10, 0, v10, vcc
.LBB56_2609:
	s_mov_b64 s[0:1], 0
.LBB56_2610:
	s_and_b64 vcc, exec, s[0:1]
	s_cbranch_vccz .LBB56_2659
; %bb.2611:
	v_cmp_lt_i16_e64 s[0:1], s26, 5
	s_and_b64 vcc, exec, s[0:1]
	s_cbranch_vccnz .LBB56_2616
; %bb.2612:
	v_cmp_lt_i16_e64 s[0:1], s26, 8
	s_and_b64 vcc, exec, s[0:1]
	s_cbranch_vccnz .LBB56_2617
	;; [unrolled: 4-line block ×3, first 2 shown]
; %bb.2614:
	v_cmp_gt_i16_e64 s[0:1], s26, 9
	s_and_b64 vcc, exec, s[0:1]
	s_cbranch_vccz .LBB56_2619
; %bb.2615:
	global_load_dwordx2 v[10:11], v[8:9], off
	s_mov_b64 s[0:1], 0
	s_waitcnt vmcnt(0)
	v_cvt_f32_f64_e32 v7, v[10:11]
	v_cvt_f16_f32_e32 v10, v7
	s_branch .LBB56_2620
.LBB56_2616:
	s_mov_b64 s[0:1], -1
                                        ; implicit-def: $vgpr10
	s_branch .LBB56_2638
.LBB56_2617:
	s_mov_b64 s[0:1], -1
                                        ; implicit-def: $vgpr10
	s_branch .LBB56_2626
.LBB56_2618:
	s_mov_b64 s[0:1], -1
                                        ; implicit-def: $vgpr10
	s_branch .LBB56_2623
.LBB56_2619:
	s_mov_b64 s[0:1], -1
                                        ; implicit-def: $vgpr10
.LBB56_2620:
	s_andn2_b64 vcc, exec, s[0:1]
	s_cbranch_vccnz .LBB56_2622
; %bb.2621:
	global_load_dword v7, v[8:9], off
	s_waitcnt vmcnt(0)
	v_cvt_f16_f32_e32 v10, v7
.LBB56_2622:
	s_mov_b64 s[0:1], 0
.LBB56_2623:
	s_andn2_b64 vcc, exec, s[0:1]
	s_cbranch_vccnz .LBB56_2625
; %bb.2624:
	global_load_dword v10, v[8:9], off
.LBB56_2625:
	s_mov_b64 s[0:1], 0
.LBB56_2626:
	s_andn2_b64 vcc, exec, s[0:1]
	s_cbranch_vccnz .LBB56_2637
; %bb.2627:
	v_cmp_lt_i16_e64 s[0:1], s26, 6
	s_and_b64 vcc, exec, s[0:1]
	s_cbranch_vccnz .LBB56_2630
; %bb.2628:
	v_cmp_gt_i16_e64 s[0:1], s26, 6
	s_and_b64 vcc, exec, s[0:1]
	s_cbranch_vccz .LBB56_2631
; %bb.2629:
	global_load_dwordx2 v[10:11], v[8:9], off
	s_mov_b64 s[0:1], 0
	s_waitcnt vmcnt(0)
	v_cvt_f32_f64_e32 v7, v[10:11]
	v_cvt_f16_f32_e32 v10, v7
	s_branch .LBB56_2632
.LBB56_2630:
	s_mov_b64 s[0:1], -1
                                        ; implicit-def: $vgpr10
	s_branch .LBB56_2635
.LBB56_2631:
	s_mov_b64 s[0:1], -1
                                        ; implicit-def: $vgpr10
.LBB56_2632:
	s_andn2_b64 vcc, exec, s[0:1]
	s_cbranch_vccnz .LBB56_2634
; %bb.2633:
	global_load_dword v7, v[8:9], off
	s_waitcnt vmcnt(0)
	v_cvt_f16_f32_e32 v10, v7
.LBB56_2634:
	s_mov_b64 s[0:1], 0
.LBB56_2635:
	s_andn2_b64 vcc, exec, s[0:1]
	s_cbranch_vccnz .LBB56_2637
; %bb.2636:
	global_load_ushort v10, v[8:9], off
.LBB56_2637:
	s_mov_b64 s[0:1], 0
.LBB56_2638:
	s_andn2_b64 vcc, exec, s[0:1]
	s_cbranch_vccnz .LBB56_2658
; %bb.2639:
	v_cmp_lt_i16_e64 s[0:1], s26, 2
	s_and_b64 vcc, exec, s[0:1]
	s_cbranch_vccnz .LBB56_2643
; %bb.2640:
	v_cmp_lt_i16_e64 s[0:1], s26, 3
	s_and_b64 vcc, exec, s[0:1]
	s_cbranch_vccnz .LBB56_2644
; %bb.2641:
	v_cmp_gt_i16_e64 s[0:1], s26, 3
	s_and_b64 vcc, exec, s[0:1]
	s_cbranch_vccz .LBB56_2645
; %bb.2642:
	global_load_dwordx2 v[10:11], v[8:9], off
	s_mov_b64 s[0:1], 0
	s_waitcnt vmcnt(0)
	v_xor_b32_e32 v13, v10, v11
	v_ffbh_i32_e32 v7, v11
	v_ashrrev_i32_e32 v13, 31, v13
	v_add_u32_e32 v7, -1, v7
	v_add_u32_e32 v13, 32, v13
	v_min_u32_e32 v7, v7, v13
	v_lshlrev_b64 v[10:11], v7, v[10:11]
	v_min_u32_e32 v10, 1, v10
	v_or_b32_e32 v10, v11, v10
	v_cvt_f32_i32_e32 v10, v10
	v_sub_u32_e32 v7, 32, v7
	v_ldexp_f32 v7, v10, v7
	v_cvt_f16_f32_e32 v10, v7
	s_branch .LBB56_2646
.LBB56_2643:
	s_mov_b64 s[0:1], -1
                                        ; implicit-def: $vgpr10
	s_branch .LBB56_2652
.LBB56_2644:
	s_mov_b64 s[0:1], -1
                                        ; implicit-def: $vgpr10
	s_branch .LBB56_2649
.LBB56_2645:
	s_mov_b64 s[0:1], -1
                                        ; implicit-def: $vgpr10
.LBB56_2646:
	s_andn2_b64 vcc, exec, s[0:1]
	s_cbranch_vccnz .LBB56_2648
; %bb.2647:
	global_load_dword v7, v[8:9], off
	s_waitcnt vmcnt(0)
	v_cvt_f32_i32_e32 v7, v7
	v_cvt_f16_f32_e32 v10, v7
.LBB56_2648:
	s_mov_b64 s[0:1], 0
.LBB56_2649:
	s_andn2_b64 vcc, exec, s[0:1]
	s_cbranch_vccnz .LBB56_2651
; %bb.2650:
	global_load_ushort v7, v[8:9], off
	s_waitcnt vmcnt(0)
	v_cvt_f16_i16_e32 v10, v7
.LBB56_2651:
	s_mov_b64 s[0:1], 0
.LBB56_2652:
	s_andn2_b64 vcc, exec, s[0:1]
	s_cbranch_vccnz .LBB56_2658
; %bb.2653:
	v_cmp_gt_i16_e64 s[0:1], s26, 0
	s_and_b64 vcc, exec, s[0:1]
	s_cbranch_vccz .LBB56_2655
; %bb.2654:
	global_load_sbyte v7, v[8:9], off
	s_mov_b64 s[0:1], 0
	s_waitcnt vmcnt(0)
	v_cvt_f16_i16_e32 v10, v7
	s_branch .LBB56_2656
.LBB56_2655:
	s_mov_b64 s[0:1], -1
                                        ; implicit-def: $vgpr10
.LBB56_2656:
	s_andn2_b64 vcc, exec, s[0:1]
	s_cbranch_vccnz .LBB56_2658
; %bb.2657:
	global_load_ubyte v7, v[8:9], off
	s_waitcnt vmcnt(0)
	v_cvt_f16_u16_e32 v10, v7
.LBB56_2658:
	s_mov_b64 s[6:7], -1
.LBB56_2659:
	s_andn2_b64 vcc, exec, s[6:7]
	s_cbranch_vccnz .LBB56_3113
; %bb.2660:
	s_waitcnt vmcnt(0)
	v_mul_f16_e32 v3, v1, v3
	v_cmp_lt_f16_e32 vcc, 0, v1
	v_cndmask_b32_e32 v1, v3, v1, vcc
	v_mov_b32_e32 v3, s9
	v_add_co_u32_e32 v6, vcc, s8, v6
	s_lshr_b32 s18, s24, 8
	v_addc_co_u32_e32 v7, vcc, 0, v3, vcc
	v_mov_b32_e32 v3, 11
	v_cmp_lt_i16_sdwa s[0:1], s18, v3 src0_sel:BYTE_0 src1_sel:DWORD
	s_and_b64 vcc, exec, s[0:1]
	s_cbranch_vccnz .LBB56_2667
; %bb.2661:
	v_mov_b32_e32 v3, 25
	v_cmp_gt_i16_sdwa s[0:1], s18, v3 src0_sel:BYTE_0 src1_sel:DWORD
	s_mov_b64 s[10:11], -1
	s_mov_b64 s[2:3], 0
	s_and_b64 vcc, exec, s[0:1]
	s_mov_b64 s[6:7], 0
	s_mov_b64 s[0:1], 0
	s_cbranch_vccz .LBB56_2699
; %bb.2662:
	v_mov_b32_e32 v3, 28
	v_cmp_gt_i16_sdwa s[0:1], s18, v3 src0_sel:BYTE_0 src1_sel:DWORD
	s_and_b64 vcc, exec, s[0:1]
	s_cbranch_vccz .LBB56_2668
; %bb.2663:
	v_mov_b32_e32 v3, 43
	v_cmp_gt_i16_sdwa s[0:1], s18, v3 src0_sel:BYTE_0 src1_sel:DWORD
	s_and_b64 vcc, exec, s[0:1]
	;; [unrolled: 5-line block ×3, first 2 shown]
	s_cbranch_vccz .LBB56_2671
; %bb.2665:
	v_mov_b32_e32 v3, 46
	v_cmp_eq_u16_sdwa s[6:7], s18, v3 src0_sel:BYTE_0 src1_sel:DWORD
	s_mov_b64 s[0:1], -1
	s_mov_b64 s[10:11], 0
	s_and_b64 vcc, exec, s[6:7]
	s_mov_b64 s[6:7], 0
	s_cbranch_vccz .LBB56_2672
; %bb.2666:
	v_cvt_f32_f16_e32 v3, v1
	s_movk_i32 s0, 0x7fff
	v_mov_b32_e32 v8, 0x7fc0
	v_cmp_o_f16_e32 vcc, v1, v1
	v_bfe_u32 v9, v3, 16, 1
	v_add3_u32 v3, v3, v9, s0
	v_lshrrev_b32_e32 v3, 16, v3
	v_cndmask_b32_e32 v3, v8, v3, vcc
	global_store_dword v[6:7], v3, off
	s_mov_b64 s[0:1], 0
	s_mov_b64 s[6:7], -1
	s_branch .LBB56_2672
.LBB56_2667:
	s_mov_b64 s[0:1], -1
	s_mov_b64 s[6:7], 0
	s_branch .LBB56_2743
.LBB56_2668:
	s_mov_b64 s[0:1], 0
	s_branch .LBB56_2682
.LBB56_2669:
	s_mov_b64 s[0:1], 0
	s_branch .LBB56_2678
.LBB56_2670:
	s_trap 2
	s_or_b64 s[4:5], s[4:5], exec
                                        ; implicit-def: $vgpr10
	s_cbranch_execz .LBB56_2608
	s_branch .LBB56_2609
.LBB56_2671:
	s_mov_b64 s[0:1], 0
.LBB56_2672:
	s_and_b64 vcc, exec, s[10:11]
	s_cbranch_vccz .LBB56_2677
; %bb.2673:
	v_mov_b32_e32 v3, 44
	v_cmp_eq_u16_sdwa s[10:11], s18, v3 src0_sel:BYTE_0 src1_sel:DWORD
	s_mov_b64 s[0:1], -1
	s_and_b64 vcc, exec, s[10:11]
	s_cbranch_vccz .LBB56_2677
; %bb.2674:
	v_cvt_f32_f16_e32 v3, v1
	s_movk_i32 s0, 0xff
	v_mov_b32_e32 v9, 0xff
	v_bfe_u32 v8, v3, 23, 8
	v_cmp_ne_u32_e32 vcc, s0, v8
	s_and_saveexec_b64 s[6:7], vcc
; %bb.2675:
	s_mov_b32 s0, 0x3fffff
	v_lshrrev_b32_e32 v9, 23, v3
	v_and_b32_e32 v11, 0x400000, v3
	v_and_or_b32 v3, v3, s0, v8
	v_cmp_ne_u32_e32 vcc, 0, v11
	v_cmp_ne_u32_e64 s[0:1], 0, v3
	s_and_b64 s[0:1], vcc, s[0:1]
	v_cndmask_b32_e64 v3, 0, 1, s[0:1]
	v_add_u32_e32 v9, v9, v3
; %bb.2676:
	s_or_b64 exec, exec, s[6:7]
	s_mov_b64 s[0:1], 0
	s_mov_b64 s[6:7], -1
	global_store_byte v[6:7], v9, off
.LBB56_2677:
	s_mov_b64 s[10:11], 0
.LBB56_2678:
	s_and_b64 vcc, exec, s[10:11]
	s_cbranch_vccz .LBB56_2681
; %bb.2679:
	v_mov_b32_e32 v3, 29
	v_cmp_eq_u16_sdwa s[10:11], s18, v3 src0_sel:BYTE_0 src1_sel:DWORD
	s_mov_b64 s[0:1], -1
	s_and_b64 vcc, exec, s[10:11]
	s_cbranch_vccz .LBB56_2681
; %bb.2680:
	v_cvt_f32_f16_e32 v3, v1
	v_mov_b32_e32 v9, 0
	s_mov_b64 s[0:1], 0
	s_mov_b64 s[6:7], -1
	v_cvt_u32_f32_e32 v8, v3
	s_mov_b64 s[10:11], 0
	global_store_dwordx2 v[6:7], v[8:9], off
	s_branch .LBB56_2682
.LBB56_2681:
	s_mov_b64 s[10:11], 0
.LBB56_2682:
	s_and_b64 vcc, exec, s[10:11]
	s_cbranch_vccz .LBB56_2698
; %bb.2683:
	v_mov_b32_e32 v3, 27
	v_cmp_lt_i16_sdwa s[10:11], s18, v3 src0_sel:BYTE_0 src1_sel:DWORD
	s_mov_b64 s[6:7], -1
	s_and_b64 vcc, exec, s[10:11]
	s_cbranch_vccnz .LBB56_2689
; %bb.2684:
	v_cmp_gt_i16_sdwa s[10:11], s18, v3 src0_sel:BYTE_0 src1_sel:DWORD
	s_and_b64 vcc, exec, s[10:11]
	s_cbranch_vccz .LBB56_2686
; %bb.2685:
	v_cvt_f32_f16_e32 v3, v1
	s_mov_b64 s[6:7], 0
	v_cvt_u32_f32_e32 v3, v3
	global_store_dword v[6:7], v3, off
.LBB56_2686:
	s_andn2_b64 vcc, exec, s[6:7]
	s_cbranch_vccnz .LBB56_2688
; %bb.2687:
	v_cvt_u16_f16_e32 v3, v1
	global_store_short v[6:7], v3, off
.LBB56_2688:
	s_mov_b64 s[6:7], 0
.LBB56_2689:
	s_andn2_b64 vcc, exec, s[6:7]
	s_cbranch_vccnz .LBB56_2697
; %bb.2690:
	v_cvt_f32_f16_e32 v3, v1
	s_mov_b32 s6, 0x43800000
	v_mov_b32_e32 v9, 0x80
	v_and_b32_e32 v8, 0x7fffffff, v3
	v_cmp_gt_u32_e32 vcc, s6, v8
	s_and_saveexec_b64 s[6:7], vcc
	s_cbranch_execz .LBB56_2696
; %bb.2691:
	s_mov_b32 s10, 0x3bffffff
	v_cmp_lt_u32_e32 vcc, s10, v8
	s_mov_b64 s[10:11], 0
                                        ; implicit-def: $vgpr8
	s_and_saveexec_b64 s[16:17], vcc
	s_xor_b64 s[16:17], exec, s[16:17]
	s_cbranch_execz .LBB56_2792
; %bb.2692:
	v_bfe_u32 v8, v3, 20, 1
	s_mov_b32 s19, 0x487ffff
	v_add3_u32 v8, v3, v8, s19
	s_mov_b64 s[10:11], exec
	v_lshrrev_b32_e32 v8, 20, v8
	s_or_saveexec_b64 s[16:17], s[16:17]
                                        ; implicit-def: $sgpr19
	s_xor_b64 exec, exec, s[16:17]
	s_cbranch_execnz .LBB56_2793
.LBB56_2693:
	s_or_b64 exec, exec, s[16:17]
	v_mov_b32_e32 v9, s19
	s_and_saveexec_b64 s[16:17], s[10:11]
.LBB56_2694:
	v_lshrrev_b32_e32 v3, 24, v3
	s_movk_i32 s10, 0x80
	v_and_or_b32 v9, v3, s10, v8
.LBB56_2695:
	s_or_b64 exec, exec, s[16:17]
.LBB56_2696:
	s_or_b64 exec, exec, s[6:7]
	global_store_byte v[6:7], v9, off
.LBB56_2697:
	s_mov_b64 s[6:7], -1
.LBB56_2698:
	s_mov_b64 s[10:11], 0
.LBB56_2699:
	s_and_b64 vcc, exec, s[10:11]
	s_cbranch_vccz .LBB56_2739
; %bb.2700:
	v_mov_b32_e32 v3, 22
	v_cmp_gt_i16_sdwa s[10:11], s18, v3 src0_sel:BYTE_0 src1_sel:DWORD
	s_mov_b64 s[2:3], -1
	s_and_b64 vcc, exec, s[10:11]
	s_cbranch_vccz .LBB56_2732
; %bb.2701:
	v_mov_b32_e32 v3, 24
	v_cmp_lt_i16_sdwa s[6:7], s18, v3 src0_sel:BYTE_0 src1_sel:DWORD
	s_and_b64 vcc, exec, s[6:7]
	s_cbranch_vccnz .LBB56_2721
; %bb.2702:
	v_cmp_gt_i16_sdwa s[6:7], s18, v3 src0_sel:BYTE_0 src1_sel:DWORD
	s_and_b64 vcc, exec, s[6:7]
	s_cbranch_vccz .LBB56_2710
; %bb.2703:
	v_cvt_f32_f16_e32 v3, v1
	s_mov_b32 s2, 0x47800000
	v_mov_b32_e32 v9, 0x80
	v_and_b32_e32 v8, 0x7fffffff, v3
	v_cmp_gt_u32_e32 vcc, s2, v8
	s_and_saveexec_b64 s[2:3], vcc
	s_cbranch_execz .LBB56_2709
; %bb.2704:
	s_mov_b32 s6, 0x37ffffff
	v_cmp_lt_u32_e32 vcc, s6, v8
	s_mov_b64 s[6:7], 0
                                        ; implicit-def: $vgpr8
	s_and_saveexec_b64 s[10:11], vcc
	s_xor_b64 s[10:11], exec, s[10:11]
	s_cbranch_execz .LBB56_2796
; %bb.2705:
	v_bfe_u32 v8, v3, 21, 1
	s_mov_b32 s16, 0x88fffff
	v_add3_u32 v8, v3, v8, s16
	s_mov_b64 s[6:7], exec
	v_lshrrev_b32_e32 v8, 21, v8
	s_or_saveexec_b64 s[10:11], s[10:11]
                                        ; implicit-def: $sgpr16
	s_xor_b64 exec, exec, s[10:11]
	s_cbranch_execnz .LBB56_2797
.LBB56_2706:
	s_or_b64 exec, exec, s[10:11]
	v_mov_b32_e32 v9, s16
	s_and_saveexec_b64 s[10:11], s[6:7]
.LBB56_2707:
	v_lshrrev_b32_e32 v3, 24, v3
	s_movk_i32 s6, 0x80
	v_and_or_b32 v9, v3, s6, v8
.LBB56_2708:
	s_or_b64 exec, exec, s[10:11]
.LBB56_2709:
	s_or_b64 exec, exec, s[2:3]
	s_mov_b64 s[2:3], 0
	global_store_byte v[6:7], v9, off
.LBB56_2710:
	s_and_b64 vcc, exec, s[2:3]
	s_cbranch_vccz .LBB56_2720
; %bb.2711:
	v_cvt_f32_f16_e32 v3, v1
	s_mov_b32 s2, 0x43f00000
                                        ; implicit-def: $vgpr8
	v_and_b32_e32 v9, 0x7fffffff, v3
	v_cmp_gt_u32_e32 vcc, s2, v9
	s_and_saveexec_b64 s[2:3], vcc
	s_xor_b64 s[2:3], exec, s[2:3]
	s_cbranch_execz .LBB56_2717
; %bb.2712:
	s_mov_b32 s6, 0x3c7fffff
	v_cmp_lt_u32_e32 vcc, s6, v9
                                        ; implicit-def: $vgpr8
	s_and_saveexec_b64 s[6:7], vcc
	s_xor_b64 s[6:7], exec, s[6:7]
; %bb.2713:
	v_bfe_u32 v8, v3, 20, 1
	s_mov_b32 s10, 0x407ffff
	v_add3_u32 v8, v3, v8, s10
	v_lshrrev_b32_e32 v9, 20, v8
	v_and_b32_e32 v8, 0xff00000, v8
	s_mov_b32 s10, 0x7f00000
	v_mov_b32_e32 v11, 0x7e
	v_cmp_ne_u32_e32 vcc, s10, v8
	v_cndmask_b32_e32 v8, v11, v9, vcc
; %bb.2714:
	s_andn2_saveexec_b64 s[6:7], s[6:7]
; %bb.2715:
	s_mov_b32 s10, 0x46800000
	v_add_f32_e64 v8, |v3|, s10
; %bb.2716:
	s_or_b64 exec, exec, s[6:7]
                                        ; implicit-def: $vgpr9
.LBB56_2717:
	s_andn2_saveexec_b64 s[2:3], s[2:3]
; %bb.2718:
	s_mov_b32 s6, 0x7f800000
	v_mov_b32_e32 v8, 0x7e
	v_mov_b32_e32 v11, 0x7f
	v_cmp_lt_u32_e32 vcc, s6, v9
	v_cndmask_b32_e32 v8, v8, v11, vcc
; %bb.2719:
	s_or_b64 exec, exec, s[2:3]
	v_lshrrev_b32_e32 v3, 24, v3
	s_movk_i32 s2, 0x80
	v_and_or_b32 v3, v3, s2, v8
	global_store_byte v[6:7], v3, off
.LBB56_2720:
	s_mov_b64 s[2:3], 0
.LBB56_2721:
	s_andn2_b64 vcc, exec, s[2:3]
	s_cbranch_vccnz .LBB56_2731
; %bb.2722:
	v_cvt_f32_f16_e32 v3, v1
	s_mov_b32 s2, 0x47800000
                                        ; implicit-def: $vgpr8
	v_and_b32_e32 v9, 0x7fffffff, v3
	v_cmp_gt_u32_e32 vcc, s2, v9
	s_and_saveexec_b64 s[2:3], vcc
	s_xor_b64 s[2:3], exec, s[2:3]
	s_cbranch_execz .LBB56_2728
; %bb.2723:
	s_mov_b32 s6, 0x387fffff
	v_cmp_lt_u32_e32 vcc, s6, v9
                                        ; implicit-def: $vgpr8
	s_and_saveexec_b64 s[6:7], vcc
	s_xor_b64 s[6:7], exec, s[6:7]
; %bb.2724:
	v_bfe_u32 v8, v3, 21, 1
	s_mov_b32 s10, 0x80fffff
	v_add3_u32 v8, v3, v8, s10
	v_lshrrev_b32_e32 v8, 21, v8
; %bb.2725:
	s_andn2_saveexec_b64 s[6:7], s[6:7]
; %bb.2726:
	s_mov_b32 s10, 0x43000000
	v_add_f32_e64 v8, |v3|, s10
; %bb.2727:
	s_or_b64 exec, exec, s[6:7]
                                        ; implicit-def: $vgpr9
.LBB56_2728:
	s_andn2_saveexec_b64 s[2:3], s[2:3]
; %bb.2729:
	s_mov_b32 s6, 0x7f800000
	v_mov_b32_e32 v8, 0x7c
	v_mov_b32_e32 v11, 0x7f
	v_cmp_lt_u32_e32 vcc, s6, v9
	v_cndmask_b32_e32 v8, v8, v11, vcc
; %bb.2730:
	s_or_b64 exec, exec, s[2:3]
	v_lshrrev_b32_e32 v3, 24, v3
	s_movk_i32 s2, 0x80
	v_and_or_b32 v3, v3, s2, v8
	global_store_byte v[6:7], v3, off
.LBB56_2731:
	s_mov_b64 s[2:3], 0
	s_mov_b64 s[6:7], -1
.LBB56_2732:
	s_andn2_b64 vcc, exec, s[2:3]
	s_mov_b64 s[2:3], 0
	s_cbranch_vccnz .LBB56_2739
; %bb.2733:
	v_mov_b32_e32 v3, 14
	v_cmp_gt_i16_sdwa s[2:3], s18, v3 src0_sel:BYTE_0 src1_sel:DWORD
	s_mov_b64 s[10:11], -1
	s_and_b64 vcc, exec, s[2:3]
	s_cbranch_vccz .LBB56_2737
; %bb.2734:
	v_mov_b32_e32 v3, 15
	v_cmp_eq_u16_sdwa s[2:3], s18, v3 src0_sel:BYTE_0 src1_sel:DWORD
	s_mov_b64 s[0:1], -1
	s_and_b64 vcc, exec, s[2:3]
	s_cbranch_vccz .LBB56_2736
; %bb.2735:
	v_cvt_f32_f16_e32 v3, v1
	s_movk_i32 s0, 0x7fff
	v_mov_b32_e32 v8, 0x7fc0
	v_cmp_o_f16_e32 vcc, v1, v1
	v_bfe_u32 v9, v3, 16, 1
	v_add3_u32 v3, v3, v9, s0
	v_lshrrev_b32_e32 v3, 16, v3
	v_cndmask_b32_e32 v3, v8, v3, vcc
	global_store_short v[6:7], v3, off
	s_mov_b64 s[0:1], 0
	s_mov_b64 s[6:7], -1
.LBB56_2736:
	s_mov_b64 s[10:11], 0
.LBB56_2737:
	s_mov_b64 s[2:3], 0
	s_and_b64 vcc, exec, s[10:11]
	s_cbranch_vccz .LBB56_2739
; %bb.2738:
	v_mov_b32_e32 v3, 11
	v_cmp_ne_u16_sdwa s[0:1], s18, v3 src0_sel:BYTE_0 src1_sel:DWORD
	s_mov_b64 s[2:3], -1
.LBB56_2739:
	s_and_b64 vcc, exec, s[0:1]
	s_cbranch_vccnz .LBB56_2795
; %bb.2740:
	s_andn2_b64 vcc, exec, s[2:3]
	s_cbranch_vccnz .LBB56_2742
.LBB56_2741:
	v_and_b32_e32 v3, 0x7fff, v1
	v_cmp_ne_u16_e32 vcc, 0, v3
	v_cndmask_b32_e64 v3, 0, 1, vcc
	s_mov_b64 s[6:7], -1
	global_store_byte v[6:7], v3, off
.LBB56_2742:
	s_mov_b64 s[0:1], 0
.LBB56_2743:
	s_and_b64 vcc, exec, s[0:1]
	s_cbranch_vccz .LBB56_2782
; %bb.2744:
	v_mov_b32_e32 v3, 5
	v_cmp_lt_i16_sdwa s[2:3], s18, v3 src0_sel:BYTE_0 src1_sel:DWORD
	s_mov_b64 s[0:1], -1
	s_and_b64 vcc, exec, s[2:3]
	s_cbranch_vccnz .LBB56_2765
; %bb.2745:
	v_mov_b32_e32 v3, 8
	v_cmp_lt_i16_sdwa s[2:3], s18, v3 src0_sel:BYTE_0 src1_sel:DWORD
	s_and_b64 vcc, exec, s[2:3]
	s_cbranch_vccnz .LBB56_2755
; %bb.2746:
	v_mov_b32_e32 v3, 9
	v_cmp_lt_i16_sdwa s[2:3], s18, v3 src0_sel:BYTE_0 src1_sel:DWORD
	s_and_b64 vcc, exec, s[2:3]
	s_cbranch_vccnz .LBB56_2752
; %bb.2747:
	v_cmp_gt_i16_sdwa s[2:3], s18, v3 src0_sel:BYTE_0 src1_sel:DWORD
	s_and_b64 vcc, exec, s[2:3]
	s_cbranch_vccz .LBB56_2749
; %bb.2748:
	v_cvt_f32_f16_e32 v3, v1
	v_mov_b32_e32 v22, 0
	v_mov_b32_e32 v23, v22
	s_mov_b64 s[0:1], 0
	v_cvt_f64_f32_e32 v[20:21], v3
	global_store_dwordx4 v[6:7], v[20:23], off
.LBB56_2749:
	s_andn2_b64 vcc, exec, s[0:1]
	s_cbranch_vccnz .LBB56_2751
; %bb.2750:
	v_cvt_f32_f16_e32 v8, v1
	v_mov_b32_e32 v9, 0
	global_store_dwordx2 v[6:7], v[8:9], off
.LBB56_2751:
	s_mov_b64 s[0:1], 0
.LBB56_2752:
	s_andn2_b64 vcc, exec, s[0:1]
	s_cbranch_vccnz .LBB56_2754
; %bb.2753:
	v_and_b32_e32 v3, 0xffff, v1
	global_store_dword v[6:7], v3, off
.LBB56_2754:
	s_mov_b64 s[0:1], 0
.LBB56_2755:
	s_andn2_b64 vcc, exec, s[0:1]
	s_cbranch_vccnz .LBB56_2764
; %bb.2756:
	v_mov_b32_e32 v3, 6
	v_cmp_lt_i16_sdwa s[2:3], s18, v3 src0_sel:BYTE_0 src1_sel:DWORD
	s_mov_b64 s[0:1], -1
	s_and_b64 vcc, exec, s[2:3]
	s_cbranch_vccnz .LBB56_2762
; %bb.2757:
	v_cmp_gt_i16_sdwa s[2:3], s18, v3 src0_sel:BYTE_0 src1_sel:DWORD
	s_and_b64 vcc, exec, s[2:3]
	s_cbranch_vccz .LBB56_2759
; %bb.2758:
	v_cvt_f32_f16_e32 v3, v1
	s_mov_b64 s[0:1], 0
	v_cvt_f64_f32_e32 v[8:9], v3
	global_store_dwordx2 v[6:7], v[8:9], off
.LBB56_2759:
	s_andn2_b64 vcc, exec, s[0:1]
	s_cbranch_vccnz .LBB56_2761
; %bb.2760:
	v_cvt_f32_f16_e32 v3, v1
	global_store_dword v[6:7], v3, off
.LBB56_2761:
	s_mov_b64 s[0:1], 0
.LBB56_2762:
	s_andn2_b64 vcc, exec, s[0:1]
	s_cbranch_vccnz .LBB56_2764
; %bb.2763:
	global_store_short v[6:7], v1, off
.LBB56_2764:
	s_mov_b64 s[0:1], 0
.LBB56_2765:
	s_andn2_b64 vcc, exec, s[0:1]
	s_cbranch_vccnz .LBB56_2781
; %bb.2766:
	v_mov_b32_e32 v3, 2
	v_cmp_lt_i16_sdwa s[2:3], s18, v3 src0_sel:BYTE_0 src1_sel:DWORD
	s_mov_b64 s[0:1], -1
	s_and_b64 vcc, exec, s[2:3]
	s_cbranch_vccnz .LBB56_2776
; %bb.2767:
	v_mov_b32_e32 v3, 3
	v_cmp_lt_i16_sdwa s[2:3], s18, v3 src0_sel:BYTE_0 src1_sel:DWORD
	s_and_b64 vcc, exec, s[2:3]
	s_cbranch_vccnz .LBB56_2773
; %bb.2768:
	v_cmp_gt_i16_sdwa s[2:3], s18, v3 src0_sel:BYTE_0 src1_sel:DWORD
	s_and_b64 vcc, exec, s[2:3]
	s_cbranch_vccz .LBB56_2770
; %bb.2769:
	v_cvt_f32_f16_e32 v3, v1
	s_mov_b64 s[0:1], 0
	v_cvt_i32_f32_e32 v8, v3
	v_ashrrev_i32_e32 v9, 31, v8
	global_store_dwordx2 v[6:7], v[8:9], off
.LBB56_2770:
	s_andn2_b64 vcc, exec, s[0:1]
	s_cbranch_vccnz .LBB56_2772
; %bb.2771:
	v_cvt_f32_f16_e32 v3, v1
	v_cvt_i32_f32_e32 v3, v3
	global_store_dword v[6:7], v3, off
.LBB56_2772:
	s_mov_b64 s[0:1], 0
.LBB56_2773:
	s_andn2_b64 vcc, exec, s[0:1]
	s_cbranch_vccnz .LBB56_2775
; %bb.2774:
	v_cvt_i16_f16_e32 v3, v1
	global_store_short v[6:7], v3, off
.LBB56_2775:
	s_mov_b64 s[0:1], 0
.LBB56_2776:
	s_andn2_b64 vcc, exec, s[0:1]
	s_cbranch_vccnz .LBB56_2781
; %bb.2777:
	v_mov_b32_e32 v3, 0
	v_cmp_gt_i16_sdwa s[2:3], s18, v3 src0_sel:BYTE_0 src1_sel:DWORD
	s_mov_b64 s[0:1], -1
	s_and_b64 vcc, exec, s[2:3]
	s_cbranch_vccz .LBB56_2779
; %bb.2778:
	v_cvt_i16_f16_e32 v3, v1
	global_store_byte v[6:7], v3, off
	s_mov_b64 s[0:1], 0
.LBB56_2779:
	s_andn2_b64 vcc, exec, s[0:1]
	s_cbranch_vccnz .LBB56_2781
; %bb.2780:
	v_cvt_f32_f16_e32 v1, v1
	v_cvt_i32_f32_e32 v1, v1
	global_store_byte v[6:7], v1, off
.LBB56_2781:
	s_mov_b64 s[6:7], -1
.LBB56_2782:
	s_andn2_b64 vcc, exec, s[6:7]
	s_cbranch_vccnz .LBB56_3113
; %bb.2783:
	v_mul_f16_e32 v1, v5, v18
	v_cmp_lt_f16_e32 vcc, 0, v5
	v_cndmask_b32_e32 v1, v1, v5, vcc
	v_mov_b32_e32 v3, s9
	v_add_co_u32_e32 v4, vcc, s8, v4
	v_addc_co_u32_e32 v5, vcc, 0, v3, vcc
	v_mov_b32_e32 v3, 11
	v_cmp_lt_i16_sdwa s[0:1], s18, v3 src0_sel:BYTE_0 src1_sel:DWORD
	s_and_b64 vcc, exec, s[0:1]
	s_cbranch_vccnz .LBB56_2790
; %bb.2784:
	v_mov_b32_e32 v3, 25
	v_cmp_gt_i16_sdwa s[0:1], s18, v3 src0_sel:BYTE_0 src1_sel:DWORD
	s_mov_b64 s[10:11], -1
	s_mov_b64 s[2:3], 0
	s_and_b64 vcc, exec, s[0:1]
	s_mov_b64 s[6:7], 0
	s_mov_b64 s[0:1], 0
	s_cbranch_vccz .LBB56_2826
; %bb.2785:
	v_mov_b32_e32 v3, 28
	v_cmp_gt_i16_sdwa s[0:1], s18, v3 src0_sel:BYTE_0 src1_sel:DWORD
	s_and_b64 vcc, exec, s[0:1]
	s_cbranch_vccz .LBB56_2791
; %bb.2786:
	v_mov_b32_e32 v3, 43
	v_cmp_gt_i16_sdwa s[0:1], s18, v3 src0_sel:BYTE_0 src1_sel:DWORD
	s_and_b64 vcc, exec, s[0:1]
	;; [unrolled: 5-line block ×3, first 2 shown]
	s_cbranch_vccz .LBB56_2798
; %bb.2788:
	v_mov_b32_e32 v3, 46
	v_cmp_eq_u16_sdwa s[6:7], s18, v3 src0_sel:BYTE_0 src1_sel:DWORD
	s_mov_b64 s[0:1], -1
	s_mov_b64 s[10:11], 0
	s_and_b64 vcc, exec, s[6:7]
	s_mov_b64 s[6:7], 0
	s_cbranch_vccz .LBB56_2799
; %bb.2789:
	v_cvt_f32_f16_e32 v3, v1
	s_movk_i32 s0, 0x7fff
	v_mov_b32_e32 v6, 0x7fc0
	v_cmp_o_f16_e32 vcc, v1, v1
	v_bfe_u32 v7, v3, 16, 1
	v_add3_u32 v3, v3, v7, s0
	v_lshrrev_b32_e32 v3, 16, v3
	v_cndmask_b32_e32 v3, v6, v3, vcc
	global_store_dword v[4:5], v3, off
	s_mov_b64 s[0:1], 0
	s_mov_b64 s[6:7], -1
	s_branch .LBB56_2799
.LBB56_2790:
	s_mov_b64 s[0:1], -1
	s_mov_b64 s[6:7], 0
	s_branch .LBB56_2870
.LBB56_2791:
	s_mov_b64 s[0:1], 0
	s_branch .LBB56_2809
.LBB56_2792:
	s_or_saveexec_b64 s[16:17], s[16:17]
                                        ; implicit-def: $sgpr19
	s_xor_b64 exec, exec, s[16:17]
	s_cbranch_execz .LBB56_2693
.LBB56_2793:
	s_mov_b32 s19, 0x46000000
	v_add_f32_e64 v8, |v3|, s19
	v_and_b32_e32 v8, 0xff, v8
	v_cmp_ne_u32_e32 vcc, 0, v8
	s_andn2_b64 s[10:11], s[10:11], exec
	s_and_b64 s[20:21], vcc, exec
	s_mov_b32 s19, 0
	s_or_b64 s[10:11], s[10:11], s[20:21]
	s_or_b64 exec, exec, s[16:17]
	v_mov_b32_e32 v9, s19
	s_and_saveexec_b64 s[16:17], s[10:11]
	s_cbranch_execnz .LBB56_2694
	s_branch .LBB56_2695
.LBB56_2794:
	s_mov_b64 s[0:1], 0
	s_branch .LBB56_2805
.LBB56_2795:
	s_trap 2
	s_or_b64 s[4:5], s[4:5], exec
	s_cbranch_execz .LBB56_2741
	s_branch .LBB56_2742
.LBB56_2796:
	s_or_saveexec_b64 s[10:11], s[10:11]
                                        ; implicit-def: $sgpr16
	s_xor_b64 exec, exec, s[10:11]
	s_cbranch_execz .LBB56_2706
.LBB56_2797:
	s_mov_b32 s16, 0x42800000
	v_add_f32_e64 v8, |v3|, s16
	v_and_b32_e32 v8, 0xff, v8
	v_cmp_ne_u32_e32 vcc, 0, v8
	s_andn2_b64 s[6:7], s[6:7], exec
	s_and_b64 s[20:21], vcc, exec
	s_mov_b32 s16, 0
	s_or_b64 s[6:7], s[6:7], s[20:21]
	s_or_b64 exec, exec, s[10:11]
	v_mov_b32_e32 v9, s16
	s_and_saveexec_b64 s[10:11], s[6:7]
	s_cbranch_execnz .LBB56_2707
	s_branch .LBB56_2708
.LBB56_2798:
	s_mov_b64 s[0:1], 0
.LBB56_2799:
	s_and_b64 vcc, exec, s[10:11]
	s_cbranch_vccz .LBB56_2804
; %bb.2800:
	v_mov_b32_e32 v3, 44
	v_cmp_eq_u16_sdwa s[10:11], s18, v3 src0_sel:BYTE_0 src1_sel:DWORD
	s_mov_b64 s[0:1], -1
	s_and_b64 vcc, exec, s[10:11]
	s_cbranch_vccz .LBB56_2804
; %bb.2801:
	v_cvt_f32_f16_e32 v3, v1
	s_movk_i32 s0, 0xff
	v_mov_b32_e32 v7, 0xff
	v_bfe_u32 v6, v3, 23, 8
	v_cmp_ne_u32_e32 vcc, s0, v6
	s_and_saveexec_b64 s[6:7], vcc
; %bb.2802:
	s_mov_b32 s0, 0x3fffff
	v_lshrrev_b32_e32 v7, 23, v3
	v_and_b32_e32 v8, 0x400000, v3
	v_and_or_b32 v3, v3, s0, v6
	v_cmp_ne_u32_e32 vcc, 0, v8
	v_cmp_ne_u32_e64 s[0:1], 0, v3
	s_and_b64 s[0:1], vcc, s[0:1]
	v_cndmask_b32_e64 v3, 0, 1, s[0:1]
	v_add_u32_e32 v7, v7, v3
; %bb.2803:
	s_or_b64 exec, exec, s[6:7]
	s_mov_b64 s[0:1], 0
	s_mov_b64 s[6:7], -1
	global_store_byte v[4:5], v7, off
.LBB56_2804:
	s_mov_b64 s[10:11], 0
.LBB56_2805:
	s_and_b64 vcc, exec, s[10:11]
	s_cbranch_vccz .LBB56_2808
; %bb.2806:
	v_mov_b32_e32 v3, 29
	v_cmp_eq_u16_sdwa s[10:11], s18, v3 src0_sel:BYTE_0 src1_sel:DWORD
	s_mov_b64 s[0:1], -1
	s_and_b64 vcc, exec, s[10:11]
	s_cbranch_vccz .LBB56_2808
; %bb.2807:
	v_cvt_f32_f16_e32 v3, v1
	v_mov_b32_e32 v7, 0
	s_mov_b64 s[0:1], 0
	s_mov_b64 s[6:7], -1
	v_cvt_u32_f32_e32 v6, v3
	s_mov_b64 s[10:11], 0
	global_store_dwordx2 v[4:5], v[6:7], off
	s_branch .LBB56_2809
.LBB56_2808:
	s_mov_b64 s[10:11], 0
.LBB56_2809:
	s_and_b64 vcc, exec, s[10:11]
	s_cbranch_vccz .LBB56_2825
; %bb.2810:
	v_mov_b32_e32 v3, 27
	v_cmp_lt_i16_sdwa s[10:11], s18, v3 src0_sel:BYTE_0 src1_sel:DWORD
	s_mov_b64 s[6:7], -1
	s_and_b64 vcc, exec, s[10:11]
	s_cbranch_vccnz .LBB56_2816
; %bb.2811:
	v_cmp_gt_i16_sdwa s[10:11], s18, v3 src0_sel:BYTE_0 src1_sel:DWORD
	s_and_b64 vcc, exec, s[10:11]
	s_cbranch_vccz .LBB56_2813
; %bb.2812:
	v_cvt_f32_f16_e32 v3, v1
	s_mov_b64 s[6:7], 0
	v_cvt_u32_f32_e32 v3, v3
	global_store_dword v[4:5], v3, off
.LBB56_2813:
	s_andn2_b64 vcc, exec, s[6:7]
	s_cbranch_vccnz .LBB56_2815
; %bb.2814:
	v_cvt_u16_f16_e32 v3, v1
	global_store_short v[4:5], v3, off
.LBB56_2815:
	s_mov_b64 s[6:7], 0
.LBB56_2816:
	s_andn2_b64 vcc, exec, s[6:7]
	s_cbranch_vccnz .LBB56_2824
; %bb.2817:
	v_cvt_f32_f16_e32 v3, v1
	s_mov_b32 s6, 0x43800000
	v_mov_b32_e32 v7, 0x80
	v_and_b32_e32 v6, 0x7fffffff, v3
	v_cmp_gt_u32_e32 vcc, s6, v6
	s_and_saveexec_b64 s[6:7], vcc
	s_cbranch_execz .LBB56_2823
; %bb.2818:
	s_mov_b32 s10, 0x3bffffff
	v_cmp_lt_u32_e32 vcc, s10, v6
	s_mov_b64 s[10:11], 0
                                        ; implicit-def: $vgpr6
	s_and_saveexec_b64 s[16:17], vcc
	s_xor_b64 s[16:17], exec, s[16:17]
	s_cbranch_execz .LBB56_2919
; %bb.2819:
	v_bfe_u32 v6, v3, 20, 1
	s_mov_b32 s19, 0x487ffff
	v_add3_u32 v6, v3, v6, s19
	s_mov_b64 s[10:11], exec
	v_lshrrev_b32_e32 v6, 20, v6
	s_or_saveexec_b64 s[16:17], s[16:17]
                                        ; implicit-def: $sgpr19
	s_xor_b64 exec, exec, s[16:17]
	s_cbranch_execnz .LBB56_2920
.LBB56_2820:
	s_or_b64 exec, exec, s[16:17]
	v_mov_b32_e32 v7, s19
	s_and_saveexec_b64 s[16:17], s[10:11]
.LBB56_2821:
	v_lshrrev_b32_e32 v3, 24, v3
	s_movk_i32 s10, 0x80
	v_and_or_b32 v7, v3, s10, v6
.LBB56_2822:
	s_or_b64 exec, exec, s[16:17]
.LBB56_2823:
	s_or_b64 exec, exec, s[6:7]
	global_store_byte v[4:5], v7, off
.LBB56_2824:
	s_mov_b64 s[6:7], -1
.LBB56_2825:
	s_mov_b64 s[10:11], 0
.LBB56_2826:
	s_and_b64 vcc, exec, s[10:11]
	s_cbranch_vccz .LBB56_2866
; %bb.2827:
	v_mov_b32_e32 v3, 22
	v_cmp_gt_i16_sdwa s[10:11], s18, v3 src0_sel:BYTE_0 src1_sel:DWORD
	s_mov_b64 s[2:3], -1
	s_and_b64 vcc, exec, s[10:11]
	s_cbranch_vccz .LBB56_2859
; %bb.2828:
	v_mov_b32_e32 v3, 24
	v_cmp_lt_i16_sdwa s[6:7], s18, v3 src0_sel:BYTE_0 src1_sel:DWORD
	s_and_b64 vcc, exec, s[6:7]
	s_cbranch_vccnz .LBB56_2848
; %bb.2829:
	v_cmp_gt_i16_sdwa s[6:7], s18, v3 src0_sel:BYTE_0 src1_sel:DWORD
	s_and_b64 vcc, exec, s[6:7]
	s_cbranch_vccz .LBB56_2837
; %bb.2830:
	v_cvt_f32_f16_e32 v3, v1
	s_mov_b32 s2, 0x47800000
	v_mov_b32_e32 v7, 0x80
	v_and_b32_e32 v6, 0x7fffffff, v3
	v_cmp_gt_u32_e32 vcc, s2, v6
	s_and_saveexec_b64 s[2:3], vcc
	s_cbranch_execz .LBB56_2836
; %bb.2831:
	s_mov_b32 s6, 0x37ffffff
	v_cmp_lt_u32_e32 vcc, s6, v6
	s_mov_b64 s[6:7], 0
                                        ; implicit-def: $vgpr6
	s_and_saveexec_b64 s[10:11], vcc
	s_xor_b64 s[10:11], exec, s[10:11]
	s_cbranch_execz .LBB56_2923
; %bb.2832:
	v_bfe_u32 v6, v3, 21, 1
	s_mov_b32 s16, 0x88fffff
	v_add3_u32 v6, v3, v6, s16
	s_mov_b64 s[6:7], exec
	v_lshrrev_b32_e32 v6, 21, v6
	s_or_saveexec_b64 s[10:11], s[10:11]
                                        ; implicit-def: $sgpr16
	s_xor_b64 exec, exec, s[10:11]
	s_cbranch_execnz .LBB56_2924
.LBB56_2833:
	s_or_b64 exec, exec, s[10:11]
	v_mov_b32_e32 v7, s16
	s_and_saveexec_b64 s[10:11], s[6:7]
.LBB56_2834:
	v_lshrrev_b32_e32 v3, 24, v3
	s_movk_i32 s6, 0x80
	v_and_or_b32 v7, v3, s6, v6
.LBB56_2835:
	s_or_b64 exec, exec, s[10:11]
.LBB56_2836:
	s_or_b64 exec, exec, s[2:3]
	s_mov_b64 s[2:3], 0
	global_store_byte v[4:5], v7, off
.LBB56_2837:
	s_and_b64 vcc, exec, s[2:3]
	s_cbranch_vccz .LBB56_2847
; %bb.2838:
	v_cvt_f32_f16_e32 v3, v1
	s_mov_b32 s2, 0x43f00000
                                        ; implicit-def: $vgpr6
	v_and_b32_e32 v7, 0x7fffffff, v3
	v_cmp_gt_u32_e32 vcc, s2, v7
	s_and_saveexec_b64 s[2:3], vcc
	s_xor_b64 s[2:3], exec, s[2:3]
	s_cbranch_execz .LBB56_2844
; %bb.2839:
	s_mov_b32 s6, 0x3c7fffff
	v_cmp_lt_u32_e32 vcc, s6, v7
                                        ; implicit-def: $vgpr6
	s_and_saveexec_b64 s[6:7], vcc
	s_xor_b64 s[6:7], exec, s[6:7]
; %bb.2840:
	v_bfe_u32 v6, v3, 20, 1
	s_mov_b32 s10, 0x407ffff
	v_add3_u32 v6, v3, v6, s10
	v_lshrrev_b32_e32 v7, 20, v6
	v_and_b32_e32 v6, 0xff00000, v6
	s_mov_b32 s10, 0x7f00000
	v_mov_b32_e32 v8, 0x7e
	v_cmp_ne_u32_e32 vcc, s10, v6
	v_cndmask_b32_e32 v6, v8, v7, vcc
; %bb.2841:
	s_andn2_saveexec_b64 s[6:7], s[6:7]
; %bb.2842:
	s_mov_b32 s10, 0x46800000
	v_add_f32_e64 v6, |v3|, s10
; %bb.2843:
	s_or_b64 exec, exec, s[6:7]
                                        ; implicit-def: $vgpr7
.LBB56_2844:
	s_andn2_saveexec_b64 s[2:3], s[2:3]
; %bb.2845:
	s_mov_b32 s6, 0x7f800000
	v_mov_b32_e32 v6, 0x7e
	v_mov_b32_e32 v8, 0x7f
	v_cmp_lt_u32_e32 vcc, s6, v7
	v_cndmask_b32_e32 v6, v6, v8, vcc
; %bb.2846:
	s_or_b64 exec, exec, s[2:3]
	v_lshrrev_b32_e32 v3, 24, v3
	s_movk_i32 s2, 0x80
	v_and_or_b32 v3, v3, s2, v6
	global_store_byte v[4:5], v3, off
.LBB56_2847:
	s_mov_b64 s[2:3], 0
.LBB56_2848:
	s_andn2_b64 vcc, exec, s[2:3]
	s_cbranch_vccnz .LBB56_2858
; %bb.2849:
	v_cvt_f32_f16_e32 v3, v1
	s_mov_b32 s2, 0x47800000
                                        ; implicit-def: $vgpr6
	v_and_b32_e32 v7, 0x7fffffff, v3
	v_cmp_gt_u32_e32 vcc, s2, v7
	s_and_saveexec_b64 s[2:3], vcc
	s_xor_b64 s[2:3], exec, s[2:3]
	s_cbranch_execz .LBB56_2855
; %bb.2850:
	s_mov_b32 s6, 0x387fffff
	v_cmp_lt_u32_e32 vcc, s6, v7
                                        ; implicit-def: $vgpr6
	s_and_saveexec_b64 s[6:7], vcc
	s_xor_b64 s[6:7], exec, s[6:7]
; %bb.2851:
	v_bfe_u32 v6, v3, 21, 1
	s_mov_b32 s10, 0x80fffff
	v_add3_u32 v6, v3, v6, s10
	v_lshrrev_b32_e32 v6, 21, v6
; %bb.2852:
	s_andn2_saveexec_b64 s[6:7], s[6:7]
; %bb.2853:
	s_mov_b32 s10, 0x43000000
	v_add_f32_e64 v6, |v3|, s10
; %bb.2854:
	s_or_b64 exec, exec, s[6:7]
                                        ; implicit-def: $vgpr7
.LBB56_2855:
	s_andn2_saveexec_b64 s[2:3], s[2:3]
; %bb.2856:
	s_mov_b32 s6, 0x7f800000
	v_mov_b32_e32 v6, 0x7c
	v_mov_b32_e32 v8, 0x7f
	v_cmp_lt_u32_e32 vcc, s6, v7
	v_cndmask_b32_e32 v6, v6, v8, vcc
; %bb.2857:
	s_or_b64 exec, exec, s[2:3]
	v_lshrrev_b32_e32 v3, 24, v3
	s_movk_i32 s2, 0x80
	v_and_or_b32 v3, v3, s2, v6
	global_store_byte v[4:5], v3, off
.LBB56_2858:
	s_mov_b64 s[2:3], 0
	s_mov_b64 s[6:7], -1
.LBB56_2859:
	s_andn2_b64 vcc, exec, s[2:3]
	s_mov_b64 s[2:3], 0
	s_cbranch_vccnz .LBB56_2866
; %bb.2860:
	v_mov_b32_e32 v3, 14
	v_cmp_gt_i16_sdwa s[2:3], s18, v3 src0_sel:BYTE_0 src1_sel:DWORD
	s_mov_b64 s[10:11], -1
	s_and_b64 vcc, exec, s[2:3]
	s_cbranch_vccz .LBB56_2864
; %bb.2861:
	v_mov_b32_e32 v3, 15
	v_cmp_eq_u16_sdwa s[2:3], s18, v3 src0_sel:BYTE_0 src1_sel:DWORD
	s_mov_b64 s[0:1], -1
	s_and_b64 vcc, exec, s[2:3]
	s_cbranch_vccz .LBB56_2863
; %bb.2862:
	v_cvt_f32_f16_e32 v3, v1
	s_movk_i32 s0, 0x7fff
	v_mov_b32_e32 v6, 0x7fc0
	v_cmp_o_f16_e32 vcc, v1, v1
	v_bfe_u32 v7, v3, 16, 1
	v_add3_u32 v3, v3, v7, s0
	v_lshrrev_b32_e32 v3, 16, v3
	v_cndmask_b32_e32 v3, v6, v3, vcc
	global_store_short v[4:5], v3, off
	s_mov_b64 s[0:1], 0
	s_mov_b64 s[6:7], -1
.LBB56_2863:
	s_mov_b64 s[10:11], 0
.LBB56_2864:
	s_mov_b64 s[2:3], 0
	s_and_b64 vcc, exec, s[10:11]
	s_cbranch_vccz .LBB56_2866
; %bb.2865:
	v_mov_b32_e32 v3, 11
	v_cmp_ne_u16_sdwa s[0:1], s18, v3 src0_sel:BYTE_0 src1_sel:DWORD
	s_mov_b64 s[2:3], -1
.LBB56_2866:
	s_and_b64 vcc, exec, s[0:1]
	s_cbranch_vccnz .LBB56_2922
; %bb.2867:
	s_andn2_b64 vcc, exec, s[2:3]
	s_cbranch_vccnz .LBB56_2869
.LBB56_2868:
	v_and_b32_e32 v3, 0x7fff, v1
	v_cmp_ne_u16_e32 vcc, 0, v3
	v_cndmask_b32_e64 v3, 0, 1, vcc
	s_mov_b64 s[6:7], -1
	global_store_byte v[4:5], v3, off
.LBB56_2869:
	s_mov_b64 s[0:1], 0
.LBB56_2870:
	s_and_b64 vcc, exec, s[0:1]
	s_cbranch_vccz .LBB56_2909
; %bb.2871:
	v_mov_b32_e32 v3, 5
	v_cmp_lt_i16_sdwa s[2:3], s18, v3 src0_sel:BYTE_0 src1_sel:DWORD
	s_mov_b64 s[0:1], -1
	s_and_b64 vcc, exec, s[2:3]
	s_cbranch_vccnz .LBB56_2892
; %bb.2872:
	v_mov_b32_e32 v3, 8
	v_cmp_lt_i16_sdwa s[2:3], s18, v3 src0_sel:BYTE_0 src1_sel:DWORD
	s_and_b64 vcc, exec, s[2:3]
	s_cbranch_vccnz .LBB56_2882
; %bb.2873:
	v_mov_b32_e32 v3, 9
	v_cmp_lt_i16_sdwa s[2:3], s18, v3 src0_sel:BYTE_0 src1_sel:DWORD
	s_and_b64 vcc, exec, s[2:3]
	s_cbranch_vccnz .LBB56_2879
; %bb.2874:
	v_cmp_gt_i16_sdwa s[2:3], s18, v3 src0_sel:BYTE_0 src1_sel:DWORD
	s_and_b64 vcc, exec, s[2:3]
	s_cbranch_vccz .LBB56_2876
; %bb.2875:
	v_cvt_f32_f16_e32 v3, v1
	v_mov_b32_e32 v8, 0
	v_mov_b32_e32 v9, v8
	s_mov_b64 s[0:1], 0
	v_cvt_f64_f32_e32 v[6:7], v3
	global_store_dwordx4 v[4:5], v[6:9], off
.LBB56_2876:
	s_andn2_b64 vcc, exec, s[0:1]
	s_cbranch_vccnz .LBB56_2878
; %bb.2877:
	v_cvt_f32_f16_e32 v6, v1
	v_mov_b32_e32 v7, 0
	global_store_dwordx2 v[4:5], v[6:7], off
.LBB56_2878:
	s_mov_b64 s[0:1], 0
.LBB56_2879:
	s_andn2_b64 vcc, exec, s[0:1]
	s_cbranch_vccnz .LBB56_2881
; %bb.2880:
	v_and_b32_e32 v3, 0xffff, v1
	global_store_dword v[4:5], v3, off
.LBB56_2881:
	s_mov_b64 s[0:1], 0
.LBB56_2882:
	s_andn2_b64 vcc, exec, s[0:1]
	s_cbranch_vccnz .LBB56_2891
; %bb.2883:
	v_mov_b32_e32 v3, 6
	v_cmp_lt_i16_sdwa s[2:3], s18, v3 src0_sel:BYTE_0 src1_sel:DWORD
	s_mov_b64 s[0:1], -1
	s_and_b64 vcc, exec, s[2:3]
	s_cbranch_vccnz .LBB56_2889
; %bb.2884:
	v_cmp_gt_i16_sdwa s[2:3], s18, v3 src0_sel:BYTE_0 src1_sel:DWORD
	s_and_b64 vcc, exec, s[2:3]
	s_cbranch_vccz .LBB56_2886
; %bb.2885:
	v_cvt_f32_f16_e32 v3, v1
	s_mov_b64 s[0:1], 0
	v_cvt_f64_f32_e32 v[6:7], v3
	global_store_dwordx2 v[4:5], v[6:7], off
.LBB56_2886:
	s_andn2_b64 vcc, exec, s[0:1]
	s_cbranch_vccnz .LBB56_2888
; %bb.2887:
	v_cvt_f32_f16_e32 v3, v1
	global_store_dword v[4:5], v3, off
.LBB56_2888:
	s_mov_b64 s[0:1], 0
.LBB56_2889:
	s_andn2_b64 vcc, exec, s[0:1]
	s_cbranch_vccnz .LBB56_2891
; %bb.2890:
	global_store_short v[4:5], v1, off
.LBB56_2891:
	s_mov_b64 s[0:1], 0
.LBB56_2892:
	s_andn2_b64 vcc, exec, s[0:1]
	s_cbranch_vccnz .LBB56_2908
; %bb.2893:
	v_mov_b32_e32 v3, 2
	v_cmp_lt_i16_sdwa s[2:3], s18, v3 src0_sel:BYTE_0 src1_sel:DWORD
	s_mov_b64 s[0:1], -1
	s_and_b64 vcc, exec, s[2:3]
	s_cbranch_vccnz .LBB56_2903
; %bb.2894:
	v_mov_b32_e32 v3, 3
	v_cmp_lt_i16_sdwa s[2:3], s18, v3 src0_sel:BYTE_0 src1_sel:DWORD
	s_and_b64 vcc, exec, s[2:3]
	s_cbranch_vccnz .LBB56_2900
; %bb.2895:
	v_cmp_gt_i16_sdwa s[2:3], s18, v3 src0_sel:BYTE_0 src1_sel:DWORD
	s_and_b64 vcc, exec, s[2:3]
	s_cbranch_vccz .LBB56_2897
; %bb.2896:
	v_cvt_f32_f16_e32 v3, v1
	s_mov_b64 s[0:1], 0
	v_cvt_i32_f32_e32 v6, v3
	v_ashrrev_i32_e32 v7, 31, v6
	global_store_dwordx2 v[4:5], v[6:7], off
.LBB56_2897:
	s_andn2_b64 vcc, exec, s[0:1]
	s_cbranch_vccnz .LBB56_2899
; %bb.2898:
	v_cvt_f32_f16_e32 v3, v1
	v_cvt_i32_f32_e32 v3, v3
	global_store_dword v[4:5], v3, off
.LBB56_2899:
	s_mov_b64 s[0:1], 0
.LBB56_2900:
	s_andn2_b64 vcc, exec, s[0:1]
	s_cbranch_vccnz .LBB56_2902
; %bb.2901:
	v_cvt_i16_f16_e32 v3, v1
	global_store_short v[4:5], v3, off
.LBB56_2902:
	s_mov_b64 s[0:1], 0
.LBB56_2903:
	s_andn2_b64 vcc, exec, s[0:1]
	s_cbranch_vccnz .LBB56_2908
; %bb.2904:
	v_mov_b32_e32 v3, 0
	v_cmp_gt_i16_sdwa s[2:3], s18, v3 src0_sel:BYTE_0 src1_sel:DWORD
	s_mov_b64 s[0:1], -1
	s_and_b64 vcc, exec, s[2:3]
	s_cbranch_vccz .LBB56_2906
; %bb.2905:
	v_cvt_i16_f16_e32 v3, v1
	global_store_byte v[4:5], v3, off
	s_mov_b64 s[0:1], 0
.LBB56_2906:
	s_andn2_b64 vcc, exec, s[0:1]
	s_cbranch_vccnz .LBB56_2908
; %bb.2907:
	v_cvt_f32_f16_e32 v1, v1
	v_cvt_i32_f32_e32 v1, v1
	global_store_byte v[4:5], v1, off
.LBB56_2908:
	s_mov_b64 s[6:7], -1
.LBB56_2909:
	s_andn2_b64 vcc, exec, s[6:7]
	s_cbranch_vccnz .LBB56_3113
; %bb.2910:
	v_mul_f16_e32 v1, v16, v14
	v_cmp_lt_f16_e32 vcc, 0, v16
	v_cndmask_b32_e32 v1, v1, v16, vcc
	v_mov_b32_e32 v3, s9
	v_add_co_u32_e32 v2, vcc, s8, v2
	v_mov_b32_e32 v4, 11
	v_addc_co_u32_e32 v3, vcc, 0, v3, vcc
	v_cmp_lt_i16_sdwa s[0:1], s18, v4 src0_sel:BYTE_0 src1_sel:DWORD
	s_and_b64 vcc, exec, s[0:1]
	s_cbranch_vccnz .LBB56_2917
; %bb.2911:
	v_mov_b32_e32 v4, 25
	v_cmp_gt_i16_sdwa s[0:1], s18, v4 src0_sel:BYTE_0 src1_sel:DWORD
	s_mov_b64 s[10:11], -1
	s_mov_b64 s[2:3], 0
	s_and_b64 vcc, exec, s[0:1]
	s_mov_b64 s[6:7], 0
	s_mov_b64 s[0:1], 0
	s_cbranch_vccz .LBB56_2953
; %bb.2912:
	v_mov_b32_e32 v4, 28
	v_cmp_gt_i16_sdwa s[0:1], s18, v4 src0_sel:BYTE_0 src1_sel:DWORD
	s_and_b64 vcc, exec, s[0:1]
	s_cbranch_vccz .LBB56_2918
; %bb.2913:
	v_mov_b32_e32 v4, 43
	v_cmp_gt_i16_sdwa s[0:1], s18, v4 src0_sel:BYTE_0 src1_sel:DWORD
	s_and_b64 vcc, exec, s[0:1]
	;; [unrolled: 5-line block ×3, first 2 shown]
	s_cbranch_vccz .LBB56_2925
; %bb.2915:
	v_mov_b32_e32 v4, 46
	v_cmp_eq_u16_sdwa s[6:7], s18, v4 src0_sel:BYTE_0 src1_sel:DWORD
	s_mov_b64 s[0:1], -1
	s_mov_b64 s[10:11], 0
	s_and_b64 vcc, exec, s[6:7]
	s_mov_b64 s[6:7], 0
	s_cbranch_vccz .LBB56_2926
; %bb.2916:
	v_cvt_f32_f16_e32 v4, v1
	s_movk_i32 s0, 0x7fff
	v_mov_b32_e32 v5, 0x7fc0
	v_cmp_o_f16_e32 vcc, v1, v1
	v_bfe_u32 v6, v4, 16, 1
	v_add3_u32 v4, v4, v6, s0
	v_lshrrev_b32_e32 v4, 16, v4
	v_cndmask_b32_e32 v4, v5, v4, vcc
	global_store_dword v[2:3], v4, off
	s_mov_b64 s[0:1], 0
	s_mov_b64 s[6:7], -1
	s_branch .LBB56_2926
.LBB56_2917:
	s_mov_b64 s[0:1], -1
	s_mov_b64 s[6:7], 0
	s_branch .LBB56_2997
.LBB56_2918:
	s_mov_b64 s[0:1], 0
	s_branch .LBB56_2936
.LBB56_2919:
	s_or_saveexec_b64 s[16:17], s[16:17]
                                        ; implicit-def: $sgpr19
	s_xor_b64 exec, exec, s[16:17]
	s_cbranch_execz .LBB56_2820
.LBB56_2920:
	s_mov_b32 s19, 0x46000000
	v_add_f32_e64 v6, |v3|, s19
	v_and_b32_e32 v6, 0xff, v6
	v_cmp_ne_u32_e32 vcc, 0, v6
	s_andn2_b64 s[10:11], s[10:11], exec
	s_and_b64 s[20:21], vcc, exec
	s_mov_b32 s19, 0
	s_or_b64 s[10:11], s[10:11], s[20:21]
	s_or_b64 exec, exec, s[16:17]
	v_mov_b32_e32 v7, s19
	s_and_saveexec_b64 s[16:17], s[10:11]
	s_cbranch_execnz .LBB56_2821
	s_branch .LBB56_2822
.LBB56_2921:
	s_mov_b64 s[0:1], 0
	s_branch .LBB56_2932
.LBB56_2922:
	s_trap 2
	s_or_b64 s[4:5], s[4:5], exec
	s_cbranch_execz .LBB56_2868
	s_branch .LBB56_2869
.LBB56_2923:
	s_or_saveexec_b64 s[10:11], s[10:11]
                                        ; implicit-def: $sgpr16
	s_xor_b64 exec, exec, s[10:11]
	s_cbranch_execz .LBB56_2833
.LBB56_2924:
	s_mov_b32 s16, 0x42800000
	v_add_f32_e64 v6, |v3|, s16
	v_and_b32_e32 v6, 0xff, v6
	v_cmp_ne_u32_e32 vcc, 0, v6
	s_andn2_b64 s[6:7], s[6:7], exec
	s_and_b64 s[20:21], vcc, exec
	s_mov_b32 s16, 0
	s_or_b64 s[6:7], s[6:7], s[20:21]
	s_or_b64 exec, exec, s[10:11]
	v_mov_b32_e32 v7, s16
	s_and_saveexec_b64 s[10:11], s[6:7]
	s_cbranch_execnz .LBB56_2834
	s_branch .LBB56_2835
.LBB56_2925:
	s_mov_b64 s[0:1], 0
.LBB56_2926:
	s_and_b64 vcc, exec, s[10:11]
	s_cbranch_vccz .LBB56_2931
; %bb.2927:
	v_mov_b32_e32 v4, 44
	v_cmp_eq_u16_sdwa s[10:11], s18, v4 src0_sel:BYTE_0 src1_sel:DWORD
	s_mov_b64 s[0:1], -1
	s_and_b64 vcc, exec, s[10:11]
	s_cbranch_vccz .LBB56_2931
; %bb.2928:
	v_cvt_f32_f16_e32 v4, v1
	s_movk_i32 s0, 0xff
	v_mov_b32_e32 v6, 0xff
	v_bfe_u32 v5, v4, 23, 8
	v_cmp_ne_u32_e32 vcc, s0, v5
	s_and_saveexec_b64 s[6:7], vcc
; %bb.2929:
	s_mov_b32 s0, 0x3fffff
	v_lshrrev_b32_e32 v6, 23, v4
	v_and_b32_e32 v7, 0x400000, v4
	v_and_or_b32 v4, v4, s0, v5
	v_cmp_ne_u32_e32 vcc, 0, v7
	v_cmp_ne_u32_e64 s[0:1], 0, v4
	s_and_b64 s[0:1], vcc, s[0:1]
	v_cndmask_b32_e64 v4, 0, 1, s[0:1]
	v_add_u32_e32 v6, v6, v4
; %bb.2930:
	s_or_b64 exec, exec, s[6:7]
	s_mov_b64 s[0:1], 0
	s_mov_b64 s[6:7], -1
	global_store_byte v[2:3], v6, off
.LBB56_2931:
	s_mov_b64 s[10:11], 0
.LBB56_2932:
	s_and_b64 vcc, exec, s[10:11]
	s_cbranch_vccz .LBB56_2935
; %bb.2933:
	v_mov_b32_e32 v4, 29
	v_cmp_eq_u16_sdwa s[10:11], s18, v4 src0_sel:BYTE_0 src1_sel:DWORD
	s_mov_b64 s[0:1], -1
	s_and_b64 vcc, exec, s[10:11]
	s_cbranch_vccz .LBB56_2935
; %bb.2934:
	v_cvt_f32_f16_e32 v4, v1
	v_mov_b32_e32 v5, 0
	s_mov_b64 s[0:1], 0
	s_mov_b64 s[6:7], -1
	v_cvt_u32_f32_e32 v4, v4
	s_mov_b64 s[10:11], 0
	global_store_dwordx2 v[2:3], v[4:5], off
	s_branch .LBB56_2936
.LBB56_2935:
	s_mov_b64 s[10:11], 0
.LBB56_2936:
	s_and_b64 vcc, exec, s[10:11]
	s_cbranch_vccz .LBB56_2952
; %bb.2937:
	v_mov_b32_e32 v4, 27
	v_cmp_lt_i16_sdwa s[10:11], s18, v4 src0_sel:BYTE_0 src1_sel:DWORD
	s_mov_b64 s[6:7], -1
	s_and_b64 vcc, exec, s[10:11]
	s_cbranch_vccnz .LBB56_2943
; %bb.2938:
	v_cmp_gt_i16_sdwa s[10:11], s18, v4 src0_sel:BYTE_0 src1_sel:DWORD
	s_and_b64 vcc, exec, s[10:11]
	s_cbranch_vccz .LBB56_2940
; %bb.2939:
	v_cvt_f32_f16_e32 v4, v1
	s_mov_b64 s[6:7], 0
	v_cvt_u32_f32_e32 v4, v4
	global_store_dword v[2:3], v4, off
.LBB56_2940:
	s_andn2_b64 vcc, exec, s[6:7]
	s_cbranch_vccnz .LBB56_2942
; %bb.2941:
	v_cvt_u16_f16_e32 v4, v1
	global_store_short v[2:3], v4, off
.LBB56_2942:
	s_mov_b64 s[6:7], 0
.LBB56_2943:
	s_andn2_b64 vcc, exec, s[6:7]
	s_cbranch_vccnz .LBB56_2951
; %bb.2944:
	v_cvt_f32_f16_e32 v4, v1
	s_mov_b32 s6, 0x43800000
	v_mov_b32_e32 v6, 0x80
	v_and_b32_e32 v5, 0x7fffffff, v4
	v_cmp_gt_u32_e32 vcc, s6, v5
	s_and_saveexec_b64 s[6:7], vcc
	s_cbranch_execz .LBB56_2950
; %bb.2945:
	s_mov_b32 s10, 0x3bffffff
	v_cmp_lt_u32_e32 vcc, s10, v5
	s_mov_b64 s[10:11], 0
                                        ; implicit-def: $vgpr5
	s_and_saveexec_b64 s[16:17], vcc
	s_xor_b64 s[16:17], exec, s[16:17]
	s_cbranch_execz .LBB56_3159
; %bb.2946:
	v_bfe_u32 v5, v4, 20, 1
	s_mov_b32 s19, 0x487ffff
	v_add3_u32 v5, v4, v5, s19
	s_mov_b64 s[10:11], exec
	v_lshrrev_b32_e32 v5, 20, v5
	s_or_saveexec_b64 s[16:17], s[16:17]
                                        ; implicit-def: $sgpr19
	s_xor_b64 exec, exec, s[16:17]
	s_cbranch_execnz .LBB56_3160
.LBB56_2947:
	s_or_b64 exec, exec, s[16:17]
	v_mov_b32_e32 v6, s19
	s_and_saveexec_b64 s[16:17], s[10:11]
.LBB56_2948:
	v_lshrrev_b32_e32 v4, 24, v4
	s_movk_i32 s10, 0x80
	v_and_or_b32 v6, v4, s10, v5
.LBB56_2949:
	s_or_b64 exec, exec, s[16:17]
.LBB56_2950:
	s_or_b64 exec, exec, s[6:7]
	global_store_byte v[2:3], v6, off
.LBB56_2951:
	s_mov_b64 s[6:7], -1
.LBB56_2952:
	s_mov_b64 s[10:11], 0
.LBB56_2953:
	s_and_b64 vcc, exec, s[10:11]
	s_cbranch_vccz .LBB56_2993
; %bb.2954:
	v_mov_b32_e32 v4, 22
	v_cmp_gt_i16_sdwa s[10:11], s18, v4 src0_sel:BYTE_0 src1_sel:DWORD
	s_mov_b64 s[2:3], -1
	s_and_b64 vcc, exec, s[10:11]
	s_cbranch_vccz .LBB56_2986
; %bb.2955:
	v_mov_b32_e32 v4, 24
	v_cmp_lt_i16_sdwa s[6:7], s18, v4 src0_sel:BYTE_0 src1_sel:DWORD
	s_and_b64 vcc, exec, s[6:7]
	s_cbranch_vccnz .LBB56_2975
; %bb.2956:
	v_cmp_gt_i16_sdwa s[6:7], s18, v4 src0_sel:BYTE_0 src1_sel:DWORD
	s_and_b64 vcc, exec, s[6:7]
	s_cbranch_vccz .LBB56_2964
; %bb.2957:
	v_cvt_f32_f16_e32 v4, v1
	s_mov_b32 s2, 0x47800000
	v_mov_b32_e32 v6, 0x80
	v_and_b32_e32 v5, 0x7fffffff, v4
	v_cmp_gt_u32_e32 vcc, s2, v5
	s_and_saveexec_b64 s[2:3], vcc
	s_cbranch_execz .LBB56_2963
; %bb.2958:
	s_mov_b32 s6, 0x37ffffff
	v_cmp_lt_u32_e32 vcc, s6, v5
	s_mov_b64 s[6:7], 0
                                        ; implicit-def: $vgpr5
	s_and_saveexec_b64 s[10:11], vcc
	s_xor_b64 s[10:11], exec, s[10:11]
	s_cbranch_execz .LBB56_3162
; %bb.2959:
	v_bfe_u32 v5, v4, 21, 1
	s_mov_b32 s16, 0x88fffff
	v_add3_u32 v5, v4, v5, s16
	s_mov_b64 s[6:7], exec
	v_lshrrev_b32_e32 v5, 21, v5
	s_or_saveexec_b64 s[10:11], s[10:11]
                                        ; implicit-def: $sgpr16
	s_xor_b64 exec, exec, s[10:11]
	s_cbranch_execnz .LBB56_3163
.LBB56_2960:
	s_or_b64 exec, exec, s[10:11]
	v_mov_b32_e32 v6, s16
	s_and_saveexec_b64 s[10:11], s[6:7]
.LBB56_2961:
	v_lshrrev_b32_e32 v4, 24, v4
	s_movk_i32 s6, 0x80
	v_and_or_b32 v6, v4, s6, v5
.LBB56_2962:
	s_or_b64 exec, exec, s[10:11]
.LBB56_2963:
	s_or_b64 exec, exec, s[2:3]
	s_mov_b64 s[2:3], 0
	global_store_byte v[2:3], v6, off
.LBB56_2964:
	s_and_b64 vcc, exec, s[2:3]
	s_cbranch_vccz .LBB56_2974
; %bb.2965:
	v_cvt_f32_f16_e32 v4, v1
	s_mov_b32 s2, 0x43f00000
                                        ; implicit-def: $vgpr5
	v_and_b32_e32 v6, 0x7fffffff, v4
	v_cmp_gt_u32_e32 vcc, s2, v6
	s_and_saveexec_b64 s[2:3], vcc
	s_xor_b64 s[2:3], exec, s[2:3]
	s_cbranch_execz .LBB56_2971
; %bb.2966:
	s_mov_b32 s6, 0x3c7fffff
	v_cmp_lt_u32_e32 vcc, s6, v6
                                        ; implicit-def: $vgpr5
	s_and_saveexec_b64 s[6:7], vcc
	s_xor_b64 s[6:7], exec, s[6:7]
; %bb.2967:
	v_bfe_u32 v5, v4, 20, 1
	s_mov_b32 s10, 0x407ffff
	v_add3_u32 v5, v4, v5, s10
	v_lshrrev_b32_e32 v6, 20, v5
	v_and_b32_e32 v5, 0xff00000, v5
	s_mov_b32 s10, 0x7f00000
	v_mov_b32_e32 v7, 0x7e
	v_cmp_ne_u32_e32 vcc, s10, v5
	v_cndmask_b32_e32 v5, v7, v6, vcc
; %bb.2968:
	s_andn2_saveexec_b64 s[6:7], s[6:7]
; %bb.2969:
	s_mov_b32 s10, 0x46800000
	v_add_f32_e64 v5, |v4|, s10
; %bb.2970:
	s_or_b64 exec, exec, s[6:7]
                                        ; implicit-def: $vgpr6
.LBB56_2971:
	s_andn2_saveexec_b64 s[2:3], s[2:3]
; %bb.2972:
	s_mov_b32 s6, 0x7f800000
	v_mov_b32_e32 v5, 0x7e
	v_mov_b32_e32 v7, 0x7f
	v_cmp_lt_u32_e32 vcc, s6, v6
	v_cndmask_b32_e32 v5, v5, v7, vcc
; %bb.2973:
	s_or_b64 exec, exec, s[2:3]
	v_lshrrev_b32_e32 v4, 24, v4
	s_movk_i32 s2, 0x80
	v_and_or_b32 v4, v4, s2, v5
	global_store_byte v[2:3], v4, off
.LBB56_2974:
	s_mov_b64 s[2:3], 0
.LBB56_2975:
	s_andn2_b64 vcc, exec, s[2:3]
	s_cbranch_vccnz .LBB56_2985
; %bb.2976:
	v_cvt_f32_f16_e32 v4, v1
	s_mov_b32 s2, 0x47800000
                                        ; implicit-def: $vgpr5
	v_and_b32_e32 v6, 0x7fffffff, v4
	v_cmp_gt_u32_e32 vcc, s2, v6
	s_and_saveexec_b64 s[2:3], vcc
	s_xor_b64 s[2:3], exec, s[2:3]
	s_cbranch_execz .LBB56_2982
; %bb.2977:
	s_mov_b32 s6, 0x387fffff
	v_cmp_lt_u32_e32 vcc, s6, v6
                                        ; implicit-def: $vgpr5
	s_and_saveexec_b64 s[6:7], vcc
	s_xor_b64 s[6:7], exec, s[6:7]
; %bb.2978:
	v_bfe_u32 v5, v4, 21, 1
	s_mov_b32 s10, 0x80fffff
	v_add3_u32 v5, v4, v5, s10
	v_lshrrev_b32_e32 v5, 21, v5
; %bb.2979:
	s_andn2_saveexec_b64 s[6:7], s[6:7]
; %bb.2980:
	s_mov_b32 s10, 0x43000000
	v_add_f32_e64 v5, |v4|, s10
; %bb.2981:
	s_or_b64 exec, exec, s[6:7]
                                        ; implicit-def: $vgpr6
.LBB56_2982:
	s_andn2_saveexec_b64 s[2:3], s[2:3]
; %bb.2983:
	s_mov_b32 s6, 0x7f800000
	v_mov_b32_e32 v5, 0x7c
	v_mov_b32_e32 v7, 0x7f
	v_cmp_lt_u32_e32 vcc, s6, v6
	v_cndmask_b32_e32 v5, v5, v7, vcc
; %bb.2984:
	s_or_b64 exec, exec, s[2:3]
	v_lshrrev_b32_e32 v4, 24, v4
	s_movk_i32 s2, 0x80
	v_and_or_b32 v4, v4, s2, v5
	global_store_byte v[2:3], v4, off
.LBB56_2985:
	s_mov_b64 s[2:3], 0
	s_mov_b64 s[6:7], -1
.LBB56_2986:
	s_andn2_b64 vcc, exec, s[2:3]
	s_mov_b64 s[2:3], 0
	s_cbranch_vccnz .LBB56_2993
; %bb.2987:
	v_mov_b32_e32 v4, 14
	v_cmp_gt_i16_sdwa s[2:3], s18, v4 src0_sel:BYTE_0 src1_sel:DWORD
	s_mov_b64 s[10:11], -1
	s_and_b64 vcc, exec, s[2:3]
	s_cbranch_vccz .LBB56_2991
; %bb.2988:
	v_mov_b32_e32 v4, 15
	v_cmp_eq_u16_sdwa s[2:3], s18, v4 src0_sel:BYTE_0 src1_sel:DWORD
	s_mov_b64 s[0:1], -1
	s_and_b64 vcc, exec, s[2:3]
	s_cbranch_vccz .LBB56_2990
; %bb.2989:
	v_cvt_f32_f16_e32 v4, v1
	s_movk_i32 s0, 0x7fff
	v_mov_b32_e32 v5, 0x7fc0
	v_cmp_o_f16_e32 vcc, v1, v1
	v_bfe_u32 v6, v4, 16, 1
	v_add3_u32 v4, v4, v6, s0
	v_lshrrev_b32_e32 v4, 16, v4
	v_cndmask_b32_e32 v4, v5, v4, vcc
	global_store_short v[2:3], v4, off
	s_mov_b64 s[0:1], 0
	s_mov_b64 s[6:7], -1
.LBB56_2990:
	s_mov_b64 s[10:11], 0
.LBB56_2991:
	s_mov_b64 s[2:3], 0
	s_and_b64 vcc, exec, s[10:11]
	s_cbranch_vccz .LBB56_2993
; %bb.2992:
	v_mov_b32_e32 v4, 11
	v_cmp_ne_u16_sdwa s[0:1], s18, v4 src0_sel:BYTE_0 src1_sel:DWORD
	s_mov_b64 s[2:3], -1
.LBB56_2993:
	s_and_b64 vcc, exec, s[0:1]
	s_cbranch_vccnz .LBB56_3161
; %bb.2994:
	s_andn2_b64 vcc, exec, s[2:3]
	s_cbranch_vccnz .LBB56_2996
.LBB56_2995:
	v_and_b32_e32 v4, 0x7fff, v1
	v_cmp_ne_u16_e32 vcc, 0, v4
	v_cndmask_b32_e64 v4, 0, 1, vcc
	s_mov_b64 s[6:7], -1
	global_store_byte v[2:3], v4, off
.LBB56_2996:
	s_mov_b64 s[0:1], 0
.LBB56_2997:
	s_and_b64 vcc, exec, s[0:1]
	s_cbranch_vccz .LBB56_3036
; %bb.2998:
	v_mov_b32_e32 v4, 5
	v_cmp_lt_i16_sdwa s[2:3], s18, v4 src0_sel:BYTE_0 src1_sel:DWORD
	s_mov_b64 s[0:1], -1
	s_and_b64 vcc, exec, s[2:3]
	s_cbranch_vccnz .LBB56_3019
; %bb.2999:
	v_mov_b32_e32 v4, 8
	v_cmp_lt_i16_sdwa s[2:3], s18, v4 src0_sel:BYTE_0 src1_sel:DWORD
	s_and_b64 vcc, exec, s[2:3]
	s_cbranch_vccnz .LBB56_3009
; %bb.3000:
	v_mov_b32_e32 v4, 9
	v_cmp_lt_i16_sdwa s[2:3], s18, v4 src0_sel:BYTE_0 src1_sel:DWORD
	s_and_b64 vcc, exec, s[2:3]
	s_cbranch_vccnz .LBB56_3006
; %bb.3001:
	v_cmp_gt_i16_sdwa s[2:3], s18, v4 src0_sel:BYTE_0 src1_sel:DWORD
	s_and_b64 vcc, exec, s[2:3]
	s_cbranch_vccz .LBB56_3003
; %bb.3002:
	v_cvt_f32_f16_e32 v4, v1
	v_mov_b32_e32 v6, 0
	v_mov_b32_e32 v7, v6
	s_mov_b64 s[0:1], 0
	v_cvt_f64_f32_e32 v[4:5], v4
	global_store_dwordx4 v[2:3], v[4:7], off
.LBB56_3003:
	s_andn2_b64 vcc, exec, s[0:1]
	s_cbranch_vccnz .LBB56_3005
; %bb.3004:
	v_cvt_f32_f16_e32 v4, v1
	v_mov_b32_e32 v5, 0
	global_store_dwordx2 v[2:3], v[4:5], off
.LBB56_3005:
	s_mov_b64 s[0:1], 0
.LBB56_3006:
	s_andn2_b64 vcc, exec, s[0:1]
	s_cbranch_vccnz .LBB56_3008
; %bb.3007:
	v_and_b32_e32 v4, 0xffff, v1
	global_store_dword v[2:3], v4, off
.LBB56_3008:
	s_mov_b64 s[0:1], 0
.LBB56_3009:
	s_andn2_b64 vcc, exec, s[0:1]
	s_cbranch_vccnz .LBB56_3018
; %bb.3010:
	v_mov_b32_e32 v4, 6
	v_cmp_lt_i16_sdwa s[2:3], s18, v4 src0_sel:BYTE_0 src1_sel:DWORD
	s_mov_b64 s[0:1], -1
	s_and_b64 vcc, exec, s[2:3]
	s_cbranch_vccnz .LBB56_3016
; %bb.3011:
	v_cmp_gt_i16_sdwa s[2:3], s18, v4 src0_sel:BYTE_0 src1_sel:DWORD
	s_and_b64 vcc, exec, s[2:3]
	s_cbranch_vccz .LBB56_3013
; %bb.3012:
	v_cvt_f32_f16_e32 v4, v1
	s_mov_b64 s[0:1], 0
	v_cvt_f64_f32_e32 v[4:5], v4
	global_store_dwordx2 v[2:3], v[4:5], off
.LBB56_3013:
	s_andn2_b64 vcc, exec, s[0:1]
	s_cbranch_vccnz .LBB56_3015
; %bb.3014:
	v_cvt_f32_f16_e32 v4, v1
	global_store_dword v[2:3], v4, off
.LBB56_3015:
	s_mov_b64 s[0:1], 0
.LBB56_3016:
	s_andn2_b64 vcc, exec, s[0:1]
	s_cbranch_vccnz .LBB56_3018
; %bb.3017:
	global_store_short v[2:3], v1, off
.LBB56_3018:
	s_mov_b64 s[0:1], 0
.LBB56_3019:
	s_andn2_b64 vcc, exec, s[0:1]
	s_cbranch_vccnz .LBB56_3035
; %bb.3020:
	v_mov_b32_e32 v4, 2
	v_cmp_lt_i16_sdwa s[2:3], s18, v4 src0_sel:BYTE_0 src1_sel:DWORD
	s_mov_b64 s[0:1], -1
	s_and_b64 vcc, exec, s[2:3]
	s_cbranch_vccnz .LBB56_3030
; %bb.3021:
	v_mov_b32_e32 v4, 3
	v_cmp_lt_i16_sdwa s[2:3], s18, v4 src0_sel:BYTE_0 src1_sel:DWORD
	s_and_b64 vcc, exec, s[2:3]
	s_cbranch_vccnz .LBB56_3027
; %bb.3022:
	v_cmp_gt_i16_sdwa s[2:3], s18, v4 src0_sel:BYTE_0 src1_sel:DWORD
	s_and_b64 vcc, exec, s[2:3]
	s_cbranch_vccz .LBB56_3024
; %bb.3023:
	v_cvt_f32_f16_e32 v4, v1
	s_mov_b64 s[0:1], 0
	v_cvt_i32_f32_e32 v4, v4
	v_ashrrev_i32_e32 v5, 31, v4
	global_store_dwordx2 v[2:3], v[4:5], off
.LBB56_3024:
	s_andn2_b64 vcc, exec, s[0:1]
	s_cbranch_vccnz .LBB56_3026
; %bb.3025:
	v_cvt_f32_f16_e32 v4, v1
	v_cvt_i32_f32_e32 v4, v4
	global_store_dword v[2:3], v4, off
.LBB56_3026:
	s_mov_b64 s[0:1], 0
.LBB56_3027:
	s_andn2_b64 vcc, exec, s[0:1]
	s_cbranch_vccnz .LBB56_3029
; %bb.3028:
	v_cvt_i16_f16_e32 v4, v1
	global_store_short v[2:3], v4, off
.LBB56_3029:
	s_mov_b64 s[0:1], 0
.LBB56_3030:
	s_andn2_b64 vcc, exec, s[0:1]
	s_cbranch_vccnz .LBB56_3035
; %bb.3031:
	v_mov_b32_e32 v4, 0
	v_cmp_gt_i16_sdwa s[2:3], s18, v4 src0_sel:BYTE_0 src1_sel:DWORD
	s_mov_b64 s[0:1], -1
	s_and_b64 vcc, exec, s[2:3]
	s_cbranch_vccz .LBB56_3033
; %bb.3032:
	v_cvt_i16_f16_e32 v4, v1
	global_store_byte v[2:3], v4, off
	s_mov_b64 s[0:1], 0
.LBB56_3033:
	s_andn2_b64 vcc, exec, s[0:1]
	s_cbranch_vccnz .LBB56_3035
; %bb.3034:
	v_cvt_f32_f16_e32 v1, v1
	v_cvt_i32_f32_e32 v1, v1
	global_store_byte v[2:3], v1, off
.LBB56_3035:
	s_mov_b64 s[6:7], -1
.LBB56_3036:
	s_andn2_b64 vcc, exec, s[6:7]
	s_cbranch_vccnz .LBB56_3113
; %bb.3037:
	v_mul_f16_e32 v1, v12, v10
	v_cmp_lt_f16_e32 vcc, 0, v12
	v_cndmask_b32_e32 v2, v1, v12, vcc
	v_mov_b32_e32 v1, 0xff
	v_and_b32_e32 v3, s18, v1
	v_mov_b32_e32 v1, s9
	v_add_co_u32_e32 v0, vcc, s8, v0
	v_addc_co_u32_e32 v1, vcc, 0, v1, vcc
	v_cmp_gt_i16_e32 vcc, 11, v3
	s_cbranch_vccnz .LBB56_3158
; %bb.3038:
	v_cmp_lt_i16_e32 vcc, 25, v3
	s_mov_b64 s[6:7], -1
	s_mov_b64 s[2:3], 0
	s_mov_b64 s[0:1], 0
	s_cbranch_vccz .LBB56_3071
; %bb.3039:
	v_cmp_lt_i16_e32 vcc, 28, v3
	s_cbranch_vccz .LBB56_3055
; %bb.3040:
	v_cmp_lt_i16_e32 vcc, 43, v3
	s_cbranch_vccz .LBB56_3051
; %bb.3041:
	v_cmp_lt_i16_e32 vcc, 45, v3
	s_cbranch_vccz .LBB56_3045
; %bb.3042:
	v_cmp_eq_u16_e32 vcc, 46, v3
	s_mov_b64 s[0:1], -1
	s_cbranch_vccz .LBB56_3044
; %bb.3043:
	v_cvt_f32_f16_e32 v4, v2
	s_movk_i32 s0, 0x7fff
	v_mov_b32_e32 v5, 0x7fc0
	v_cmp_o_f16_e32 vcc, v2, v2
	v_bfe_u32 v6, v4, 16, 1
	v_add3_u32 v4, v4, v6, s0
	v_lshrrev_b32_e32 v4, 16, v4
	v_cndmask_b32_e32 v4, v5, v4, vcc
	global_store_dword v[0:1], v4, off
	s_mov_b64 s[0:1], 0
.LBB56_3044:
	s_mov_b64 s[6:7], 0
.LBB56_3045:
	s_and_b64 vcc, exec, s[6:7]
	s_cbranch_vccz .LBB56_3050
; %bb.3046:
	v_cmp_eq_u16_e32 vcc, 44, v3
	s_mov_b64 s[0:1], -1
	s_cbranch_vccz .LBB56_3050
; %bb.3047:
	v_cvt_f32_f16_e32 v4, v2
	s_movk_i32 s0, 0xff
	v_mov_b32_e32 v6, 0xff
	v_bfe_u32 v5, v4, 23, 8
	v_cmp_ne_u32_e32 vcc, s0, v5
	s_and_saveexec_b64 s[6:7], vcc
; %bb.3048:
	s_mov_b32 s0, 0x3fffff
	v_lshrrev_b32_e32 v6, 23, v4
	v_and_b32_e32 v7, 0x400000, v4
	v_and_or_b32 v4, v4, s0, v5
	v_cmp_ne_u32_e32 vcc, 0, v7
	v_cmp_ne_u32_e64 s[0:1], 0, v4
	s_and_b64 s[0:1], vcc, s[0:1]
	v_cndmask_b32_e64 v4, 0, 1, s[0:1]
	v_add_u32_e32 v6, v6, v4
; %bb.3049:
	s_or_b64 exec, exec, s[6:7]
	s_mov_b64 s[0:1], 0
	global_store_byte v[0:1], v6, off
.LBB56_3050:
	s_mov_b64 s[6:7], 0
.LBB56_3051:
	s_and_b64 vcc, exec, s[6:7]
	s_cbranch_vccz .LBB56_3054
; %bb.3052:
	v_cmp_eq_u16_e32 vcc, 29, v3
	s_mov_b64 s[0:1], -1
	s_cbranch_vccz .LBB56_3054
; %bb.3053:
	v_cvt_f32_f16_e32 v4, v2
	v_mov_b32_e32 v5, 0
	s_mov_b64 s[0:1], 0
	v_cvt_u32_f32_e32 v4, v4
	global_store_dwordx2 v[0:1], v[4:5], off
.LBB56_3054:
	s_mov_b64 s[6:7], 0
.LBB56_3055:
	s_and_b64 vcc, exec, s[6:7]
	s_cbranch_vccz .LBB56_3070
; %bb.3056:
	v_cmp_gt_i16_e32 vcc, 27, v3
	s_mov_b64 s[6:7], -1
	s_cbranch_vccnz .LBB56_3062
; %bb.3057:
	v_cmp_lt_i16_e32 vcc, 27, v3
	s_cbranch_vccz .LBB56_3059
; %bb.3058:
	v_cvt_f32_f16_e32 v4, v2
	s_mov_b64 s[6:7], 0
	v_cvt_u32_f32_e32 v4, v4
	global_store_dword v[0:1], v4, off
.LBB56_3059:
	s_andn2_b64 vcc, exec, s[6:7]
	s_cbranch_vccnz .LBB56_3061
; %bb.3060:
	v_cvt_u16_f16_e32 v4, v2
	global_store_short v[0:1], v4, off
.LBB56_3061:
	s_mov_b64 s[6:7], 0
.LBB56_3062:
	s_andn2_b64 vcc, exec, s[6:7]
	s_cbranch_vccnz .LBB56_3070
; %bb.3063:
	v_cvt_f32_f16_e32 v4, v2
	s_mov_b32 s6, 0x43800000
	v_mov_b32_e32 v6, 0x80
	v_and_b32_e32 v5, 0x7fffffff, v4
	v_cmp_gt_u32_e32 vcc, s6, v5
	s_and_saveexec_b64 s[6:7], vcc
	s_cbranch_execz .LBB56_3069
; %bb.3064:
	s_mov_b32 s8, 0x3bffffff
	v_cmp_lt_u32_e32 vcc, s8, v5
	s_mov_b64 s[8:9], 0
                                        ; implicit-def: $vgpr5
	s_and_saveexec_b64 s[10:11], vcc
	s_xor_b64 s[10:11], exec, s[10:11]
	s_cbranch_execz .LBB56_3164
; %bb.3065:
	v_bfe_u32 v5, v4, 20, 1
	s_mov_b32 s16, 0x487ffff
	v_add3_u32 v5, v4, v5, s16
	s_mov_b64 s[8:9], exec
	v_lshrrev_b32_e32 v5, 20, v5
	s_or_saveexec_b64 s[10:11], s[10:11]
                                        ; implicit-def: $sgpr16
	s_xor_b64 exec, exec, s[10:11]
	s_cbranch_execnz .LBB56_3165
.LBB56_3066:
	s_or_b64 exec, exec, s[10:11]
	v_mov_b32_e32 v6, s16
	s_and_saveexec_b64 s[10:11], s[8:9]
.LBB56_3067:
	v_lshrrev_b32_e32 v4, 24, v4
	s_movk_i32 s8, 0x80
	v_and_or_b32 v6, v4, s8, v5
.LBB56_3068:
	s_or_b64 exec, exec, s[10:11]
.LBB56_3069:
	s_or_b64 exec, exec, s[6:7]
	global_store_byte v[0:1], v6, off
.LBB56_3070:
	s_mov_b64 s[6:7], 0
.LBB56_3071:
	s_and_b64 vcc, exec, s[6:7]
	s_cbranch_vccz .LBB56_3111
; %bb.3072:
	v_cmp_lt_i16_e32 vcc, 22, v3
	s_mov_b64 s[2:3], -1
	s_cbranch_vccz .LBB56_3104
; %bb.3073:
	v_cmp_gt_i16_e32 vcc, 24, v3
	s_cbranch_vccnz .LBB56_3093
; %bb.3074:
	v_cmp_lt_i16_e32 vcc, 24, v3
	s_cbranch_vccz .LBB56_3082
; %bb.3075:
	v_cvt_f32_f16_e32 v4, v2
	s_mov_b32 s2, 0x47800000
	v_mov_b32_e32 v6, 0x80
	v_and_b32_e32 v5, 0x7fffffff, v4
	v_cmp_gt_u32_e32 vcc, s2, v5
	s_and_saveexec_b64 s[2:3], vcc
	s_cbranch_execz .LBB56_3081
; %bb.3076:
	s_mov_b32 s6, 0x37ffffff
	v_cmp_lt_u32_e32 vcc, s6, v5
	s_mov_b64 s[6:7], 0
                                        ; implicit-def: $vgpr5
	s_and_saveexec_b64 s[8:9], vcc
	s_xor_b64 s[8:9], exec, s[8:9]
	s_cbranch_execz .LBB56_3167
; %bb.3077:
	v_bfe_u32 v5, v4, 21, 1
	s_mov_b32 s10, 0x88fffff
	v_add3_u32 v5, v4, v5, s10
	s_mov_b64 s[6:7], exec
	v_lshrrev_b32_e32 v5, 21, v5
	s_or_saveexec_b64 s[8:9], s[8:9]
                                        ; implicit-def: $sgpr10
	s_xor_b64 exec, exec, s[8:9]
	s_cbranch_execnz .LBB56_3168
.LBB56_3078:
	s_or_b64 exec, exec, s[8:9]
	v_mov_b32_e32 v6, s10
	s_and_saveexec_b64 s[8:9], s[6:7]
.LBB56_3079:
	v_lshrrev_b32_e32 v4, 24, v4
	s_movk_i32 s6, 0x80
	v_and_or_b32 v6, v4, s6, v5
.LBB56_3080:
	s_or_b64 exec, exec, s[8:9]
.LBB56_3081:
	s_or_b64 exec, exec, s[2:3]
	s_mov_b64 s[2:3], 0
	global_store_byte v[0:1], v6, off
.LBB56_3082:
	s_and_b64 vcc, exec, s[2:3]
	s_cbranch_vccz .LBB56_3092
; %bb.3083:
	v_cvt_f32_f16_e32 v4, v2
	s_mov_b32 s2, 0x43f00000
                                        ; implicit-def: $vgpr5
	v_and_b32_e32 v6, 0x7fffffff, v4
	v_cmp_gt_u32_e32 vcc, s2, v6
	s_and_saveexec_b64 s[2:3], vcc
	s_xor_b64 s[2:3], exec, s[2:3]
	s_cbranch_execz .LBB56_3089
; %bb.3084:
	s_mov_b32 s6, 0x3c7fffff
	v_cmp_lt_u32_e32 vcc, s6, v6
                                        ; implicit-def: $vgpr5
	s_and_saveexec_b64 s[6:7], vcc
	s_xor_b64 s[6:7], exec, s[6:7]
; %bb.3085:
	v_bfe_u32 v5, v4, 20, 1
	s_mov_b32 s8, 0x407ffff
	v_add3_u32 v5, v4, v5, s8
	v_lshrrev_b32_e32 v6, 20, v5
	v_and_b32_e32 v5, 0xff00000, v5
	s_mov_b32 s8, 0x7f00000
	v_mov_b32_e32 v7, 0x7e
	v_cmp_ne_u32_e32 vcc, s8, v5
	v_cndmask_b32_e32 v5, v7, v6, vcc
; %bb.3086:
	s_andn2_saveexec_b64 s[6:7], s[6:7]
; %bb.3087:
	s_mov_b32 s8, 0x46800000
	v_add_f32_e64 v5, |v4|, s8
; %bb.3088:
	s_or_b64 exec, exec, s[6:7]
                                        ; implicit-def: $vgpr6
.LBB56_3089:
	s_andn2_saveexec_b64 s[2:3], s[2:3]
; %bb.3090:
	s_mov_b32 s6, 0x7f800000
	v_mov_b32_e32 v5, 0x7e
	v_mov_b32_e32 v7, 0x7f
	v_cmp_lt_u32_e32 vcc, s6, v6
	v_cndmask_b32_e32 v5, v5, v7, vcc
; %bb.3091:
	s_or_b64 exec, exec, s[2:3]
	v_lshrrev_b32_e32 v4, 24, v4
	s_movk_i32 s2, 0x80
	v_and_or_b32 v4, v4, s2, v5
	global_store_byte v[0:1], v4, off
.LBB56_3092:
	s_mov_b64 s[2:3], 0
.LBB56_3093:
	s_andn2_b64 vcc, exec, s[2:3]
	s_cbranch_vccnz .LBB56_3103
; %bb.3094:
	v_cvt_f32_f16_e32 v4, v2
	s_mov_b32 s2, 0x47800000
                                        ; implicit-def: $vgpr5
	v_and_b32_e32 v6, 0x7fffffff, v4
	v_cmp_gt_u32_e32 vcc, s2, v6
	s_and_saveexec_b64 s[2:3], vcc
	s_xor_b64 s[2:3], exec, s[2:3]
	s_cbranch_execz .LBB56_3100
; %bb.3095:
	s_mov_b32 s6, 0x387fffff
	v_cmp_lt_u32_e32 vcc, s6, v6
                                        ; implicit-def: $vgpr5
	s_and_saveexec_b64 s[6:7], vcc
	s_xor_b64 s[6:7], exec, s[6:7]
; %bb.3096:
	v_bfe_u32 v5, v4, 21, 1
	s_mov_b32 s8, 0x80fffff
	v_add3_u32 v5, v4, v5, s8
	v_lshrrev_b32_e32 v5, 21, v5
; %bb.3097:
	s_andn2_saveexec_b64 s[6:7], s[6:7]
; %bb.3098:
	s_mov_b32 s8, 0x43000000
	v_add_f32_e64 v5, |v4|, s8
; %bb.3099:
	s_or_b64 exec, exec, s[6:7]
                                        ; implicit-def: $vgpr6
.LBB56_3100:
	s_andn2_saveexec_b64 s[2:3], s[2:3]
; %bb.3101:
	s_mov_b32 s6, 0x7f800000
	v_mov_b32_e32 v5, 0x7c
	v_mov_b32_e32 v7, 0x7f
	v_cmp_lt_u32_e32 vcc, s6, v6
	v_cndmask_b32_e32 v5, v5, v7, vcc
; %bb.3102:
	s_or_b64 exec, exec, s[2:3]
	v_lshrrev_b32_e32 v4, 24, v4
	s_movk_i32 s2, 0x80
	v_and_or_b32 v4, v4, s2, v5
	global_store_byte v[0:1], v4, off
.LBB56_3103:
	s_mov_b64 s[2:3], 0
.LBB56_3104:
	s_andn2_b64 vcc, exec, s[2:3]
	s_mov_b64 s[2:3], 0
	s_cbranch_vccnz .LBB56_3111
; %bb.3105:
	v_cmp_lt_i16_e32 vcc, 14, v3
	s_mov_b64 s[6:7], -1
	s_cbranch_vccz .LBB56_3109
; %bb.3106:
	v_cmp_eq_u16_e32 vcc, 15, v3
	s_mov_b64 s[0:1], -1
	s_cbranch_vccz .LBB56_3108
; %bb.3107:
	v_cvt_f32_f16_e32 v4, v2
	s_movk_i32 s0, 0x7fff
	v_mov_b32_e32 v5, 0x7fc0
	v_cmp_o_f16_e32 vcc, v2, v2
	v_bfe_u32 v6, v4, 16, 1
	v_add3_u32 v4, v4, v6, s0
	v_lshrrev_b32_e32 v4, 16, v4
	v_cndmask_b32_e32 v4, v5, v4, vcc
	global_store_short v[0:1], v4, off
	s_mov_b64 s[0:1], 0
.LBB56_3108:
	s_mov_b64 s[6:7], 0
.LBB56_3109:
	s_and_b64 vcc, exec, s[6:7]
	s_cbranch_vccz .LBB56_3111
; %bb.3110:
	v_cmp_ne_u16_e64 s[0:1], 11, v3
	s_mov_b64 s[2:3], -1
.LBB56_3111:
	s_and_b64 vcc, exec, s[0:1]
	s_cbranch_vccnz .LBB56_3166
.LBB56_3112:
	s_mov_b64 s[0:1], 0
	s_branch .LBB56_3114
.LBB56_3113:
	s_mov_b64 s[0:1], 0
	s_mov_b64 s[2:3], 0
                                        ; implicit-def: $vgpr0_vgpr1
                                        ; implicit-def: $vgpr3
                                        ; implicit-def: $vgpr2
.LBB56_3114:
	s_and_b64 s[6:7], s[2:3], exec
	s_andn2_b64 s[2:3], s[12:13], exec
	s_and_b64 s[4:5], s[4:5], exec
	s_and_b64 s[0:1], s[0:1], exec
	s_or_b64 s[12:13], s[2:3], s[4:5]
.LBB56_3115:
	s_or_b64 exec, exec, s[14:15]
	s_and_saveexec_b64 s[2:3], s[12:13]
	s_cbranch_execz .LBB56_3118
; %bb.3116:
	; divergent unreachable
	s_or_b64 exec, exec, s[2:3]
	s_and_saveexec_b64 s[2:3], s[6:7]
	s_xor_b64 s[2:3], exec, s[2:3]
	s_cbranch_execnz .LBB56_3119
.LBB56_3117:
	s_or_b64 exec, exec, s[2:3]
	s_and_saveexec_b64 s[2:3], s[0:1]
	s_cbranch_execnz .LBB56_3120
	s_branch .LBB56_3157
.LBB56_3118:
	s_or_b64 exec, exec, s[2:3]
	s_and_saveexec_b64 s[2:3], s[6:7]
	s_xor_b64 s[2:3], exec, s[2:3]
	s_cbranch_execz .LBB56_3117
.LBB56_3119:
	s_waitcnt vmcnt(0)
	v_and_b32_e32 v4, 0x7fff, v2
	v_cmp_ne_u16_e32 vcc, 0, v4
	v_cndmask_b32_e64 v4, 0, 1, vcc
	global_store_byte v[0:1], v4, off
	s_or_b64 exec, exec, s[2:3]
	s_and_saveexec_b64 s[2:3], s[0:1]
	s_cbranch_execz .LBB56_3157
.LBB56_3120:
	s_waitcnt vmcnt(0)
	v_cmp_gt_i16_e32 vcc, 5, v3
	s_mov_b64 s[0:1], -1
	s_cbranch_vccnz .LBB56_3141
; %bb.3121:
	v_cmp_gt_i16_e32 vcc, 8, v3
	s_cbranch_vccnz .LBB56_3131
; %bb.3122:
	v_cmp_gt_i16_e32 vcc, 9, v3
	s_cbranch_vccnz .LBB56_3128
; %bb.3123:
	v_cmp_lt_i16_e32 vcc, 9, v3
	s_cbranch_vccz .LBB56_3125
; %bb.3124:
	v_cvt_f32_f16_e32 v4, v2
	v_mov_b32_e32 v6, 0
	v_mov_b32_e32 v7, v6
	s_mov_b64 s[0:1], 0
	v_cvt_f64_f32_e32 v[4:5], v4
	global_store_dwordx4 v[0:1], v[4:7], off
.LBB56_3125:
	s_andn2_b64 vcc, exec, s[0:1]
	s_cbranch_vccnz .LBB56_3127
; %bb.3126:
	v_cvt_f32_f16_e32 v4, v2
	v_mov_b32_e32 v5, 0
	global_store_dwordx2 v[0:1], v[4:5], off
.LBB56_3127:
	s_mov_b64 s[0:1], 0
.LBB56_3128:
	s_andn2_b64 vcc, exec, s[0:1]
	s_cbranch_vccnz .LBB56_3130
; %bb.3129:
	v_and_b32_e32 v4, 0xffff, v2
	global_store_dword v[0:1], v4, off
.LBB56_3130:
	s_mov_b64 s[0:1], 0
.LBB56_3131:
	s_andn2_b64 vcc, exec, s[0:1]
	s_cbranch_vccnz .LBB56_3140
; %bb.3132:
	v_cmp_gt_i16_e32 vcc, 6, v3
	s_mov_b64 s[0:1], -1
	s_cbranch_vccnz .LBB56_3138
; %bb.3133:
	v_cmp_lt_i16_e32 vcc, 6, v3
	s_cbranch_vccz .LBB56_3135
; %bb.3134:
	v_cvt_f32_f16_e32 v4, v2
	s_mov_b64 s[0:1], 0
	v_cvt_f64_f32_e32 v[4:5], v4
	global_store_dwordx2 v[0:1], v[4:5], off
.LBB56_3135:
	s_andn2_b64 vcc, exec, s[0:1]
	s_cbranch_vccnz .LBB56_3137
; %bb.3136:
	v_cvt_f32_f16_e32 v4, v2
	global_store_dword v[0:1], v4, off
.LBB56_3137:
	s_mov_b64 s[0:1], 0
.LBB56_3138:
	s_andn2_b64 vcc, exec, s[0:1]
	s_cbranch_vccnz .LBB56_3140
; %bb.3139:
	global_store_short v[0:1], v2, off
.LBB56_3140:
	s_mov_b64 s[0:1], 0
.LBB56_3141:
	s_andn2_b64 vcc, exec, s[0:1]
	s_cbranch_vccnz .LBB56_3157
; %bb.3142:
	v_cmp_gt_i16_e32 vcc, 2, v3
	s_mov_b64 s[0:1], -1
	s_cbranch_vccnz .LBB56_3152
; %bb.3143:
	v_cmp_gt_i16_e32 vcc, 3, v3
	s_cbranch_vccnz .LBB56_3149
; %bb.3144:
	v_cmp_lt_i16_e32 vcc, 3, v3
	s_cbranch_vccz .LBB56_3146
; %bb.3145:
	v_cvt_f32_f16_e32 v4, v2
	s_mov_b64 s[0:1], 0
	v_cvt_i32_f32_e32 v4, v4
	v_ashrrev_i32_e32 v5, 31, v4
	global_store_dwordx2 v[0:1], v[4:5], off
.LBB56_3146:
	s_andn2_b64 vcc, exec, s[0:1]
	s_cbranch_vccnz .LBB56_3148
; %bb.3147:
	v_cvt_f32_f16_e32 v4, v2
	v_cvt_i32_f32_e32 v4, v4
	global_store_dword v[0:1], v4, off
.LBB56_3148:
	s_mov_b64 s[0:1], 0
.LBB56_3149:
	s_andn2_b64 vcc, exec, s[0:1]
	s_cbranch_vccnz .LBB56_3151
; %bb.3150:
	v_cvt_i16_f16_e32 v4, v2
	global_store_short v[0:1], v4, off
.LBB56_3151:
	s_mov_b64 s[0:1], 0
.LBB56_3152:
	s_andn2_b64 vcc, exec, s[0:1]
	s_cbranch_vccnz .LBB56_3157
; %bb.3153:
	v_cmp_lt_i16_e32 vcc, 0, v3
	s_mov_b64 s[0:1], -1
	s_cbranch_vccz .LBB56_3155
; %bb.3154:
	v_cvt_i16_f16_e32 v3, v2
	global_store_byte v[0:1], v3, off
	s_mov_b64 s[0:1], 0
.LBB56_3155:
	s_andn2_b64 vcc, exec, s[0:1]
	s_cbranch_vccnz .LBB56_3157
; %bb.3156:
	v_cvt_f32_f16_e32 v2, v2
	v_cvt_i32_f32_e32 v2, v2
	global_store_byte v[0:1], v2, off
	s_endpgm
.LBB56_3157:
	s_endpgm
.LBB56_3158:
	s_mov_b64 s[2:3], 0
	s_mov_b64 s[0:1], -1
	s_branch .LBB56_3114
.LBB56_3159:
	s_or_saveexec_b64 s[16:17], s[16:17]
                                        ; implicit-def: $sgpr19
	s_xor_b64 exec, exec, s[16:17]
	s_cbranch_execz .LBB56_2947
.LBB56_3160:
	s_mov_b32 s19, 0x46000000
	v_add_f32_e64 v5, |v4|, s19
	v_and_b32_e32 v5, 0xff, v5
	v_cmp_ne_u32_e32 vcc, 0, v5
	s_andn2_b64 s[10:11], s[10:11], exec
	s_and_b64 s[20:21], vcc, exec
	s_mov_b32 s19, 0
	s_or_b64 s[10:11], s[10:11], s[20:21]
	s_or_b64 exec, exec, s[16:17]
	v_mov_b32_e32 v6, s19
	s_and_saveexec_b64 s[16:17], s[10:11]
	s_cbranch_execnz .LBB56_2948
	s_branch .LBB56_2949
.LBB56_3161:
	s_trap 2
	s_or_b64 s[4:5], s[4:5], exec
	s_cbranch_execz .LBB56_2995
	s_branch .LBB56_2996
.LBB56_3162:
	s_or_saveexec_b64 s[10:11], s[10:11]
                                        ; implicit-def: $sgpr16
	s_xor_b64 exec, exec, s[10:11]
	s_cbranch_execz .LBB56_2960
.LBB56_3163:
	s_mov_b32 s16, 0x42800000
	v_add_f32_e64 v5, |v4|, s16
	v_and_b32_e32 v5, 0xff, v5
	v_cmp_ne_u32_e32 vcc, 0, v5
	s_andn2_b64 s[6:7], s[6:7], exec
	s_and_b64 s[20:21], vcc, exec
	s_mov_b32 s16, 0
	s_or_b64 s[6:7], s[6:7], s[20:21]
	s_or_b64 exec, exec, s[10:11]
	v_mov_b32_e32 v6, s16
	s_and_saveexec_b64 s[10:11], s[6:7]
	s_cbranch_execnz .LBB56_2961
	s_branch .LBB56_2962
.LBB56_3164:
	s_or_saveexec_b64 s[10:11], s[10:11]
                                        ; implicit-def: $sgpr16
	s_xor_b64 exec, exec, s[10:11]
	s_cbranch_execz .LBB56_3066
.LBB56_3165:
	s_mov_b32 s16, 0x46000000
	v_add_f32_e64 v5, |v4|, s16
	v_and_b32_e32 v5, 0xff, v5
	v_cmp_ne_u32_e32 vcc, 0, v5
	s_andn2_b64 s[8:9], s[8:9], exec
	s_and_b64 s[18:19], vcc, exec
	s_mov_b32 s16, 0
	s_or_b64 s[8:9], s[8:9], s[18:19]
	s_or_b64 exec, exec, s[10:11]
	v_mov_b32_e32 v6, s16
	s_and_saveexec_b64 s[10:11], s[8:9]
	s_cbranch_execnz .LBB56_3067
	s_branch .LBB56_3068
.LBB56_3166:
	s_mov_b64 s[2:3], 0
	s_or_b64 s[4:5], s[4:5], exec
	s_trap 2
	s_branch .LBB56_3112
.LBB56_3167:
	s_or_saveexec_b64 s[8:9], s[8:9]
                                        ; implicit-def: $sgpr10
	s_xor_b64 exec, exec, s[8:9]
	s_cbranch_execz .LBB56_3078
.LBB56_3168:
	s_mov_b32 s10, 0x42800000
	v_add_f32_e64 v5, |v4|, s10
	v_and_b32_e32 v5, 0xff, v5
	v_cmp_ne_u32_e32 vcc, 0, v5
	s_andn2_b64 s[6:7], s[6:7], exec
	s_and_b64 s[16:17], vcc, exec
	s_mov_b32 s10, 0
	s_or_b64 s[6:7], s[6:7], s[16:17]
	s_or_b64 exec, exec, s[8:9]
	v_mov_b32_e32 v6, s10
	s_and_saveexec_b64 s[8:9], s[6:7]
	s_cbranch_execnz .LBB56_3079
	s_branch .LBB56_3080
	.section	.rodata,"a",@progbits
	.p2align	6, 0x0
	.amdhsa_kernel _ZN2at6native32elementwise_kernel_manual_unrollILi128ELi4EZNS0_15gpu_kernel_implIZZZNS0_12prelu_kernelERNS_14TensorIteratorEENKUlvE_clEvENKUlvE2_clEvEUlN3c104HalfES8_E_EEvRNS_18TensorIteratorBaseERKT_EUlibE0_EEviT1_
		.amdhsa_group_segment_fixed_size 0
		.amdhsa_private_segment_fixed_size 0
		.amdhsa_kernarg_size 432
		.amdhsa_user_sgpr_count 6
		.amdhsa_user_sgpr_private_segment_buffer 1
		.amdhsa_user_sgpr_dispatch_ptr 0
		.amdhsa_user_sgpr_queue_ptr 0
		.amdhsa_user_sgpr_kernarg_segment_ptr 1
		.amdhsa_user_sgpr_dispatch_id 0
		.amdhsa_user_sgpr_flat_scratch_init 0
		.amdhsa_user_sgpr_kernarg_preload_length 0
		.amdhsa_user_sgpr_kernarg_preload_offset 0
		.amdhsa_user_sgpr_private_segment_size 0
		.amdhsa_uses_dynamic_stack 0
		.amdhsa_system_sgpr_private_segment_wavefront_offset 0
		.amdhsa_system_sgpr_workgroup_id_x 1
		.amdhsa_system_sgpr_workgroup_id_y 0
		.amdhsa_system_sgpr_workgroup_id_z 0
		.amdhsa_system_sgpr_workgroup_info 0
		.amdhsa_system_vgpr_workitem_id 0
		.amdhsa_next_free_vgpr 26
		.amdhsa_next_free_sgpr 78
		.amdhsa_accum_offset 28
		.amdhsa_reserve_vcc 1
		.amdhsa_reserve_flat_scratch 0
		.amdhsa_float_round_mode_32 0
		.amdhsa_float_round_mode_16_64 0
		.amdhsa_float_denorm_mode_32 3
		.amdhsa_float_denorm_mode_16_64 3
		.amdhsa_dx10_clamp 1
		.amdhsa_ieee_mode 1
		.amdhsa_fp16_overflow 0
		.amdhsa_tg_split 0
		.amdhsa_exception_fp_ieee_invalid_op 0
		.amdhsa_exception_fp_denorm_src 0
		.amdhsa_exception_fp_ieee_div_zero 0
		.amdhsa_exception_fp_ieee_overflow 0
		.amdhsa_exception_fp_ieee_underflow 0
		.amdhsa_exception_fp_ieee_inexact 0
		.amdhsa_exception_int_div_zero 0
	.end_amdhsa_kernel
	.section	.text._ZN2at6native32elementwise_kernel_manual_unrollILi128ELi4EZNS0_15gpu_kernel_implIZZZNS0_12prelu_kernelERNS_14TensorIteratorEENKUlvE_clEvENKUlvE2_clEvEUlN3c104HalfES8_E_EEvRNS_18TensorIteratorBaseERKT_EUlibE0_EEviT1_,"axG",@progbits,_ZN2at6native32elementwise_kernel_manual_unrollILi128ELi4EZNS0_15gpu_kernel_implIZZZNS0_12prelu_kernelERNS_14TensorIteratorEENKUlvE_clEvENKUlvE2_clEvEUlN3c104HalfES8_E_EEvRNS_18TensorIteratorBaseERKT_EUlibE0_EEviT1_,comdat
.Lfunc_end56:
	.size	_ZN2at6native32elementwise_kernel_manual_unrollILi128ELi4EZNS0_15gpu_kernel_implIZZZNS0_12prelu_kernelERNS_14TensorIteratorEENKUlvE_clEvENKUlvE2_clEvEUlN3c104HalfES8_E_EEvRNS_18TensorIteratorBaseERKT_EUlibE0_EEviT1_, .Lfunc_end56-_ZN2at6native32elementwise_kernel_manual_unrollILi128ELi4EZNS0_15gpu_kernel_implIZZZNS0_12prelu_kernelERNS_14TensorIteratorEENKUlvE_clEvENKUlvE2_clEvEUlN3c104HalfES8_E_EEvRNS_18TensorIteratorBaseERKT_EUlibE0_EEviT1_
                                        ; -- End function
	.section	.AMDGPU.csdata,"",@progbits
; Kernel info:
; codeLenInByte = 57748
; NumSgprs: 82
; NumVgprs: 26
; NumAgprs: 0
; TotalNumVgprs: 26
; ScratchSize: 0
; MemoryBound: 0
; FloatMode: 240
; IeeeMode: 1
; LDSByteSize: 0 bytes/workgroup (compile time only)
; SGPRBlocks: 10
; VGPRBlocks: 3
; NumSGPRsForWavesPerEU: 82
; NumVGPRsForWavesPerEU: 26
; AccumOffset: 28
; Occupancy: 8
; WaveLimiterHint : 1
; COMPUTE_PGM_RSRC2:SCRATCH_EN: 0
; COMPUTE_PGM_RSRC2:USER_SGPR: 6
; COMPUTE_PGM_RSRC2:TRAP_HANDLER: 0
; COMPUTE_PGM_RSRC2:TGID_X_EN: 1
; COMPUTE_PGM_RSRC2:TGID_Y_EN: 0
; COMPUTE_PGM_RSRC2:TGID_Z_EN: 0
; COMPUTE_PGM_RSRC2:TIDIG_COMP_CNT: 0
; COMPUTE_PGM_RSRC3_GFX90A:ACCUM_OFFSET: 6
; COMPUTE_PGM_RSRC3_GFX90A:TG_SPLIT: 0
	.section	.text._ZN2at6native12_GLOBAL__N_145unrolled_elementwise_kernel_for_multi_outputsILi2EZZZNS0_21prelu_backward_kernelERNS_14TensorIteratorEENKUlvE_clEvENKUlvE_clEvEUldddE_St5arrayIPcLm5EE23TrivialOffsetCalculatorILi3EjESB_ILi2EjEEEviT0_T1_T2_T3_,"axG",@progbits,_ZN2at6native12_GLOBAL__N_145unrolled_elementwise_kernel_for_multi_outputsILi2EZZZNS0_21prelu_backward_kernelERNS_14TensorIteratorEENKUlvE_clEvENKUlvE_clEvEUldddE_St5arrayIPcLm5EE23TrivialOffsetCalculatorILi3EjESB_ILi2EjEEEviT0_T1_T2_T3_,comdat
	.globl	_ZN2at6native12_GLOBAL__N_145unrolled_elementwise_kernel_for_multi_outputsILi2EZZZNS0_21prelu_backward_kernelERNS_14TensorIteratorEENKUlvE_clEvENKUlvE_clEvEUldddE_St5arrayIPcLm5EE23TrivialOffsetCalculatorILi3EjESB_ILi2EjEEEviT0_T1_T2_T3_ ; -- Begin function _ZN2at6native12_GLOBAL__N_145unrolled_elementwise_kernel_for_multi_outputsILi2EZZZNS0_21prelu_backward_kernelERNS_14TensorIteratorEENKUlvE_clEvENKUlvE_clEvEUldddE_St5arrayIPcLm5EE23TrivialOffsetCalculatorILi3EjESB_ILi2EjEEEviT0_T1_T2_T3_
	.p2align	8
	.type	_ZN2at6native12_GLOBAL__N_145unrolled_elementwise_kernel_for_multi_outputsILi2EZZZNS0_21prelu_backward_kernelERNS_14TensorIteratorEENKUlvE_clEvENKUlvE_clEvEUldddE_St5arrayIPcLm5EE23TrivialOffsetCalculatorILi3EjESB_ILi2EjEEEviT0_T1_T2_T3_,@function
_ZN2at6native12_GLOBAL__N_145unrolled_elementwise_kernel_for_multi_outputsILi2EZZZNS0_21prelu_backward_kernelERNS_14TensorIteratorEENKUlvE_clEvENKUlvE_clEvEUldddE_St5arrayIPcLm5EE23TrivialOffsetCalculatorILi3EjESB_ILi2EjEEEviT0_T1_T2_T3_: ; @_ZN2at6native12_GLOBAL__N_145unrolled_elementwise_kernel_for_multi_outputsILi2EZZZNS0_21prelu_backward_kernelERNS_14TensorIteratorEENKUlvE_clEvENKUlvE_clEvEUldddE_St5arrayIPcLm5EE23TrivialOffsetCalculatorILi3EjESB_ILi2EjEEEviT0_T1_T2_T3_
; %bb.0:
	s_add_u32 s0, s0, s9
	s_load_dword s9, s[4:5], 0x0
	s_load_dwordx8 s[12:19], s[4:5], 0x8
	s_load_dwordx2 s[6:7], s[4:5], 0x28
	s_addc_u32 s1, s1, 0
	s_lshl_b32 s20, s8, 10
	s_waitcnt lgkmcnt(0)
	s_sub_i32 s21, s9, s20
	v_mov_b32_e32 v3, 0
	v_cmp_gt_i32_e32 vcc, s21, v0
	buffer_store_dword v3, off, s[0:3], 0 offset:4
	buffer_store_dword v3, off, s[0:3], 0
	buffer_store_dword v3, off, s[0:3], 0 offset:12
	buffer_store_dword v3, off, s[0:3], 0 offset:8
	;; [unrolled: 1-line block ×38, first 2 shown]
	s_and_saveexec_b64 s[8:9], vcc
	s_cbranch_execz .LBB57_4
; %bb.1:
	v_mov_b32_e32 v1, 64
	s_mov_b32 s22, 0
	s_mov_b64 s[10:11], 0
	v_mov_b32_e32 v4, s17
	v_mov_b32_e32 v5, s19
	;; [unrolled: 1-line block ×4, first 2 shown]
.LBB57_2:                               ; =>This Inner Loop Header: Depth=1
	v_add_u32_e32 v2, s20, v7
	v_lshlrev_b64 v[8:9], 3, v[2:3]
	v_add_co_u32_e64 v10, s[4:5], s16, v8
	v_addc_co_u32_e64 v11, s[4:5], v4, v9, s[4:5]
	v_add_co_u32_e64 v12, s[4:5], s18, v8
	v_addc_co_u32_e64 v13, s[4:5], v5, v9, s[4:5]
	;; [unrolled: 2-line block ×3, first 2 shown]
	global_load_dwordx2 v[14:15], v[10:11], off
	global_load_dwordx2 v[16:17], v[12:13], off
	;; [unrolled: 1-line block ×3, first 2 shown]
	s_add_i32 s7, s22, 1
	v_add_u32_e32 v7, 0x100, v7
	s_cmp_gt_u32 s22, 2
	v_cmp_le_i32_e64 s[4:5], s21, v7
	s_cselect_b64 s[24:25], -1, 0
	s_or_b64 s[4:5], s[24:25], s[4:5]
	s_and_b64 s[4:5], exec, s[4:5]
	s_mov_b32 s22, s7
	s_or_b64 s[10:11], s[4:5], s[10:11]
	s_waitcnt vmcnt(2)
	buffer_store_dword v15, v1, s[0:3], 0 offen offset:20
	buffer_store_dword v14, v1, s[0:3], 0 offen offset:16
	s_waitcnt vmcnt(3)
	buffer_store_dword v17, v1, s[0:3], 0 offen offset:12
	buffer_store_dword v16, v1, s[0:3], 0 offen offset:8
	s_waitcnt vmcnt(4)
	buffer_store_dword v19, v1, s[0:3], 0 offen offset:4
	buffer_store_dword v18, v1, s[0:3], 0 offen
	v_add_u32_e32 v1, 24, v1
	s_andn2_b64 exec, exec, s[10:11]
	s_cbranch_execnz .LBB57_2
; %bb.3:
	s_or_b64 exec, exec, s[10:11]
	buffer_load_dword v2, off, s[0:3], 0 offset:64
	buffer_load_dword v3, off, s[0:3], 0 offset:68
	buffer_load_dword v4, off, s[0:3], 0 offset:72
	buffer_load_dword v5, off, s[0:3], 0 offset:76
	buffer_load_dword v6, off, s[0:3], 0 offset:80
	buffer_load_dword v7, off, s[0:3], 0 offset:84
	s_waitcnt vmcnt(2)
	v_mul_f64 v[4:5], v[4:5], v[2:3]
	s_waitcnt vmcnt(0)
	v_cmp_lt_f64_e64 s[4:5], 0, v[6:7]
	v_mul_f64 v[8:9], v[6:7], v[2:3]
	v_cndmask_b32_e64 v1, v4, v2, s[4:5]
	v_cndmask_b32_e64 v2, v5, v3, s[4:5]
	;; [unrolled: 1-line block ×4, first 2 shown]
	buffer_store_dword v2, off, s[0:3], 0 offset:4
	buffer_store_dword v1, off, s[0:3], 0
	buffer_store_dword v4, off, s[0:3], 0 offset:12
	buffer_store_dword v3, off, s[0:3], 0 offset:8
.LBB57_4:
	s_or_b64 exec, exec, s[8:9]
	v_or_b32_e32 v1, 0x100, v0
	v_cmp_gt_i32_e64 s[4:5], s21, v1
	s_and_saveexec_b64 s[6:7], s[4:5]
	s_cbranch_execz .LBB57_6
; %bb.5:
	buffer_load_dword v2, off, s[0:3], 0 offset:88
	buffer_load_dword v3, off, s[0:3], 0 offset:92
	buffer_load_dword v4, off, s[0:3], 0 offset:96
	buffer_load_dword v5, off, s[0:3], 0 offset:100
	buffer_load_dword v6, off, s[0:3], 0 offset:104
	buffer_load_dword v7, off, s[0:3], 0 offset:108
	s_waitcnt vmcnt(2)
	v_mul_f64 v[4:5], v[4:5], v[2:3]
	s_waitcnt vmcnt(0)
	v_cmp_lt_f64_e64 s[4:5], 0, v[6:7]
	v_mul_f64 v[8:9], v[6:7], v[2:3]
	v_cndmask_b32_e64 v1, v4, v2, s[4:5]
	v_cndmask_b32_e64 v2, v5, v3, s[4:5]
	v_cndmask_b32_e64 v3, v8, 0, s[4:5]
	v_cndmask_b32_e64 v4, v9, 0, s[4:5]
	buffer_store_dword v2, off, s[0:3], 0 offset:20
	buffer_store_dword v1, off, s[0:3], 0 offset:16
	buffer_store_dword v4, off, s[0:3], 0 offset:28
	buffer_store_dword v3, off, s[0:3], 0 offset:24
.LBB57_6:
	s_or_b64 exec, exec, s[6:7]
	v_or_b32_e32 v1, 0x200, v0
	v_cmp_gt_i32_e64 s[4:5], s21, v1
	s_and_saveexec_b64 s[6:7], s[4:5]
	s_cbranch_execz .LBB57_8
; %bb.7:
	buffer_load_dword v2, off, s[0:3], 0 offset:112
	buffer_load_dword v3, off, s[0:3], 0 offset:116
	buffer_load_dword v4, off, s[0:3], 0 offset:120
	buffer_load_dword v5, off, s[0:3], 0 offset:124
	buffer_load_dword v6, off, s[0:3], 0 offset:128
	buffer_load_dword v7, off, s[0:3], 0 offset:132
	s_waitcnt vmcnt(2)
	v_mul_f64 v[4:5], v[4:5], v[2:3]
	s_waitcnt vmcnt(0)
	v_cmp_lt_f64_e64 s[4:5], 0, v[6:7]
	v_mul_f64 v[8:9], v[6:7], v[2:3]
	v_cndmask_b32_e64 v1, v4, v2, s[4:5]
	v_cndmask_b32_e64 v2, v5, v3, s[4:5]
	v_cndmask_b32_e64 v3, v8, 0, s[4:5]
	v_cndmask_b32_e64 v4, v9, 0, s[4:5]
	buffer_store_dword v2, off, s[0:3], 0 offset:36
	buffer_store_dword v1, off, s[0:3], 0 offset:32
	buffer_store_dword v4, off, s[0:3], 0 offset:44
	buffer_store_dword v3, off, s[0:3], 0 offset:40
.LBB57_8:
	;; [unrolled: 26-line block ×3, first 2 shown]
	s_or_b64 exec, exec, s[6:7]
	s_and_saveexec_b64 s[4:5], vcc
	s_xor_b64 s[4:5], exec, s[4:5]
	s_cbranch_execz .LBB57_13
; %bb.11:
	v_mov_b32_e32 v1, 0
	s_mov_b32 s8, 0
	s_mov_b64 s[6:7], 0
	v_mov_b32_e32 v3, 0
	v_mov_b32_e32 v4, s13
	;; [unrolled: 1-line block ×3, first 2 shown]
.LBB57_12:                              ; =>This Inner Loop Header: Depth=1
	buffer_load_dword v6, v1, s[0:3], 0 offen
	buffer_load_dword v7, v1, s[0:3], 0 offen offset:4
	buffer_load_dword v8, v1, s[0:3], 0 offen offset:8
	;; [unrolled: 1-line block ×3, first 2 shown]
	v_add_u32_e32 v2, s20, v0
	s_add_i32 s4, s8, 1
	v_lshlrev_b64 v[10:11], 3, v[2:3]
	s_cmp_gt_u32 s8, 2
	s_mov_b32 s8, s4
	v_add_co_u32_e64 v12, s[4:5], s12, v10
	v_addc_co_u32_e64 v13, s[4:5], v4, v11, s[4:5]
	v_add_co_u32_e64 v10, s[4:5], s14, v10
	v_add_u32_e32 v0, 0x100, v0
	v_addc_co_u32_e64 v11, s[4:5], v5, v11, s[4:5]
	v_cmp_le_i32_e32 vcc, s21, v0
	s_cselect_b64 s[4:5], -1, 0
	s_or_b64 s[4:5], s[4:5], vcc
	s_and_b64 s[4:5], exec, s[4:5]
	v_add_u32_e32 v1, 16, v1
	s_or_b64 s[6:7], s[4:5], s[6:7]
	s_waitcnt vmcnt(2)
	global_store_dwordx2 v[12:13], v[6:7], off
	s_waitcnt vmcnt(1)
	global_store_dwordx2 v[10:11], v[8:9], off
	s_andn2_b64 exec, exec, s[6:7]
	s_cbranch_execnz .LBB57_12
.LBB57_13:
	s_endpgm
	.section	.rodata,"a",@progbits
	.p2align	6, 0x0
	.amdhsa_kernel _ZN2at6native12_GLOBAL__N_145unrolled_elementwise_kernel_for_multi_outputsILi2EZZZNS0_21prelu_backward_kernelERNS_14TensorIteratorEENKUlvE_clEvENKUlvE_clEvEUldddE_St5arrayIPcLm5EE23TrivialOffsetCalculatorILi3EjESB_ILi2EjEEEviT0_T1_T2_T3_
		.amdhsa_group_segment_fixed_size 0
		.amdhsa_private_segment_fixed_size 176
		.amdhsa_kernarg_size 52
		.amdhsa_user_sgpr_count 8
		.amdhsa_user_sgpr_private_segment_buffer 1
		.amdhsa_user_sgpr_dispatch_ptr 0
		.amdhsa_user_sgpr_queue_ptr 0
		.amdhsa_user_sgpr_kernarg_segment_ptr 1
		.amdhsa_user_sgpr_dispatch_id 0
		.amdhsa_user_sgpr_flat_scratch_init 1
		.amdhsa_user_sgpr_kernarg_preload_length 0
		.amdhsa_user_sgpr_kernarg_preload_offset 0
		.amdhsa_user_sgpr_private_segment_size 0
		.amdhsa_uses_dynamic_stack 0
		.amdhsa_system_sgpr_private_segment_wavefront_offset 1
		.amdhsa_system_sgpr_workgroup_id_x 1
		.amdhsa_system_sgpr_workgroup_id_y 0
		.amdhsa_system_sgpr_workgroup_id_z 0
		.amdhsa_system_sgpr_workgroup_info 0
		.amdhsa_system_vgpr_workitem_id 0
		.amdhsa_next_free_vgpr 20
		.amdhsa_next_free_sgpr 26
		.amdhsa_accum_offset 20
		.amdhsa_reserve_vcc 1
		.amdhsa_reserve_flat_scratch 0
		.amdhsa_float_round_mode_32 0
		.amdhsa_float_round_mode_16_64 0
		.amdhsa_float_denorm_mode_32 3
		.amdhsa_float_denorm_mode_16_64 3
		.amdhsa_dx10_clamp 1
		.amdhsa_ieee_mode 1
		.amdhsa_fp16_overflow 0
		.amdhsa_tg_split 0
		.amdhsa_exception_fp_ieee_invalid_op 0
		.amdhsa_exception_fp_denorm_src 0
		.amdhsa_exception_fp_ieee_div_zero 0
		.amdhsa_exception_fp_ieee_overflow 0
		.amdhsa_exception_fp_ieee_underflow 0
		.amdhsa_exception_fp_ieee_inexact 0
		.amdhsa_exception_int_div_zero 0
	.end_amdhsa_kernel
	.section	.text._ZN2at6native12_GLOBAL__N_145unrolled_elementwise_kernel_for_multi_outputsILi2EZZZNS0_21prelu_backward_kernelERNS_14TensorIteratorEENKUlvE_clEvENKUlvE_clEvEUldddE_St5arrayIPcLm5EE23TrivialOffsetCalculatorILi3EjESB_ILi2EjEEEviT0_T1_T2_T3_,"axG",@progbits,_ZN2at6native12_GLOBAL__N_145unrolled_elementwise_kernel_for_multi_outputsILi2EZZZNS0_21prelu_backward_kernelERNS_14TensorIteratorEENKUlvE_clEvENKUlvE_clEvEUldddE_St5arrayIPcLm5EE23TrivialOffsetCalculatorILi3EjESB_ILi2EjEEEviT0_T1_T2_T3_,comdat
.Lfunc_end57:
	.size	_ZN2at6native12_GLOBAL__N_145unrolled_elementwise_kernel_for_multi_outputsILi2EZZZNS0_21prelu_backward_kernelERNS_14TensorIteratorEENKUlvE_clEvENKUlvE_clEvEUldddE_St5arrayIPcLm5EE23TrivialOffsetCalculatorILi3EjESB_ILi2EjEEEviT0_T1_T2_T3_, .Lfunc_end57-_ZN2at6native12_GLOBAL__N_145unrolled_elementwise_kernel_for_multi_outputsILi2EZZZNS0_21prelu_backward_kernelERNS_14TensorIteratorEENKUlvE_clEvENKUlvE_clEvEUldddE_St5arrayIPcLm5EE23TrivialOffsetCalculatorILi3EjESB_ILi2EjEEEviT0_T1_T2_T3_
                                        ; -- End function
	.section	.AMDGPU.csdata,"",@progbits
; Kernel info:
; codeLenInByte = 1468
; NumSgprs: 30
; NumVgprs: 20
; NumAgprs: 0
; TotalNumVgprs: 20
; ScratchSize: 176
; MemoryBound: 0
; FloatMode: 240
; IeeeMode: 1
; LDSByteSize: 0 bytes/workgroup (compile time only)
; SGPRBlocks: 3
; VGPRBlocks: 2
; NumSGPRsForWavesPerEU: 30
; NumVGPRsForWavesPerEU: 20
; AccumOffset: 20
; Occupancy: 8
; WaveLimiterHint : 0
; COMPUTE_PGM_RSRC2:SCRATCH_EN: 1
; COMPUTE_PGM_RSRC2:USER_SGPR: 8
; COMPUTE_PGM_RSRC2:TRAP_HANDLER: 0
; COMPUTE_PGM_RSRC2:TGID_X_EN: 1
; COMPUTE_PGM_RSRC2:TGID_Y_EN: 0
; COMPUTE_PGM_RSRC2:TGID_Z_EN: 0
; COMPUTE_PGM_RSRC2:TIDIG_COMP_CNT: 0
; COMPUTE_PGM_RSRC3_GFX90A:ACCUM_OFFSET: 4
; COMPUTE_PGM_RSRC3_GFX90A:TG_SPLIT: 0
	.section	.text._ZN2at6native12_GLOBAL__N_145unrolled_elementwise_kernel_for_multi_outputsILi2EZZZNS0_21prelu_backward_kernelERNS_14TensorIteratorEENKUlvE_clEvENKUlvE_clEvEUldddE_St5arrayIPcLm5EE16OffsetCalculatorILi3EjLb0EESB_ILi2EjLb0EEEEviT0_T1_T2_T3_,"axG",@progbits,_ZN2at6native12_GLOBAL__N_145unrolled_elementwise_kernel_for_multi_outputsILi2EZZZNS0_21prelu_backward_kernelERNS_14TensorIteratorEENKUlvE_clEvENKUlvE_clEvEUldddE_St5arrayIPcLm5EE16OffsetCalculatorILi3EjLb0EESB_ILi2EjLb0EEEEviT0_T1_T2_T3_,comdat
	.globl	_ZN2at6native12_GLOBAL__N_145unrolled_elementwise_kernel_for_multi_outputsILi2EZZZNS0_21prelu_backward_kernelERNS_14TensorIteratorEENKUlvE_clEvENKUlvE_clEvEUldddE_St5arrayIPcLm5EE16OffsetCalculatorILi3EjLb0EESB_ILi2EjLb0EEEEviT0_T1_T2_T3_ ; -- Begin function _ZN2at6native12_GLOBAL__N_145unrolled_elementwise_kernel_for_multi_outputsILi2EZZZNS0_21prelu_backward_kernelERNS_14TensorIteratorEENKUlvE_clEvENKUlvE_clEvEUldddE_St5arrayIPcLm5EE16OffsetCalculatorILi3EjLb0EESB_ILi2EjLb0EEEEviT0_T1_T2_T3_
	.p2align	8
	.type	_ZN2at6native12_GLOBAL__N_145unrolled_elementwise_kernel_for_multi_outputsILi2EZZZNS0_21prelu_backward_kernelERNS_14TensorIteratorEENKUlvE_clEvENKUlvE_clEvEUldddE_St5arrayIPcLm5EE16OffsetCalculatorILi3EjLb0EESB_ILi2EjLb0EEEEviT0_T1_T2_T3_,@function
_ZN2at6native12_GLOBAL__N_145unrolled_elementwise_kernel_for_multi_outputsILi2EZZZNS0_21prelu_backward_kernelERNS_14TensorIteratorEENKUlvE_clEvENKUlvE_clEvEUldddE_St5arrayIPcLm5EE16OffsetCalculatorILi3EjLb0EESB_ILi2EjLb0EEEEviT0_T1_T2_T3_: ; @_ZN2at6native12_GLOBAL__N_145unrolled_elementwise_kernel_for_multi_outputsILi2EZZZNS0_21prelu_backward_kernelERNS_14TensorIteratorEENKUlvE_clEvENKUlvE_clEvEUldddE_St5arrayIPcLm5EE16OffsetCalculatorILi3EjLb0EESB_ILi2EjLb0EEEEviT0_T1_T2_T3_
; %bb.0:
	s_load_dword s6, s[4:5], 0x0
	s_load_dwordx8 s[16:23], s[4:5], 0x8
	s_load_dword s7, s[4:5], 0x2f4
	s_load_dwordx2 s[34:35], s[4:5], 0x28
	s_load_dwordx8 s[24:31], s[4:5], 0x1f4
	s_add_u32 s0, s0, s9
	s_addc_u32 s1, s1, 0
	s_lshl_b32 s33, s8, 10
	s_waitcnt lgkmcnt(0)
	v_mov_b32_e32 v1, s7
	s_load_dwordx8 s[8:15], s[4:5], 0x214
	buffer_store_dword v1, off, s[0:3], 0 offset:752
	v_mov_b32_e32 v1, s31
	buffer_store_dword v1, off, s[0:3], 0 offset:524
	v_mov_b32_e32 v1, s30
	buffer_store_dword v1, off, s[0:3], 0 offset:520
	v_mov_b32_e32 v1, s29
	buffer_store_dword v1, off, s[0:3], 0 offset:516
	v_mov_b32_e32 v1, s28
	buffer_store_dword v1, off, s[0:3], 0 offset:512
	s_waitcnt lgkmcnt(0)
	v_mov_b32_e32 v1, s11
	buffer_store_dword v1, off, s[0:3], 0 offset:540
	v_mov_b32_e32 v1, s10
	buffer_store_dword v1, off, s[0:3], 0 offset:536
	v_mov_b32_e32 v1, s9
	buffer_store_dword v1, off, s[0:3], 0 offset:532
	v_mov_b32_e32 v1, s8
	s_load_dwordx8 s[40:47], s[4:5], 0x234
	buffer_store_dword v1, off, s[0:3], 0 offset:528
	v_mov_b32_e32 v1, s15
	buffer_store_dword v1, off, s[0:3], 0 offset:556
	v_mov_b32_e32 v1, s14
	buffer_store_dword v1, off, s[0:3], 0 offset:552
	v_mov_b32_e32 v1, s13
	buffer_store_dword v1, off, s[0:3], 0 offset:548
	v_mov_b32_e32 v1, s12
	buffer_store_dword v1, off, s[0:3], 0 offset:544
	s_waitcnt lgkmcnt(0)
	v_mov_b32_e32 v1, s43
	buffer_store_dword v1, off, s[0:3], 0 offset:572
	v_mov_b32_e32 v1, s42
	buffer_store_dword v1, off, s[0:3], 0 offset:568
	v_mov_b32_e32 v1, s41
	buffer_store_dword v1, off, s[0:3], 0 offset:564
	;; [unrolled: 18-line block ×7, first 2 shown]
	v_mov_b32_e32 v1, s8
	s_load_dwordx8 s[40:47], s[4:5], 0x1b4
	buffer_store_dword v1, off, s[0:3], 0 offset:720
	v_mov_b32_e32 v1, s15
	buffer_store_dword v1, off, s[0:3], 0 offset:748
	v_mov_b32_e32 v1, s14
	;; [unrolled: 2-line block ×4, first 2 shown]
	buffer_store_dword v1, off, s[0:3], 0 offset:736
	s_waitcnt lgkmcnt(0)
	v_mov_b32_e32 v1, s43
	buffer_store_dword v1, off, s[0:3], 0 offset:444
	v_mov_b32_e32 v1, s42
	buffer_store_dword v1, off, s[0:3], 0 offset:440
	v_mov_b32_e32 v1, s41
	s_load_dwordx8 s[8:15], s[4:5], 0x1d4
	buffer_store_dword v1, off, s[0:3], 0 offset:436
	v_mov_b32_e32 v1, s40
	buffer_store_dword v1, off, s[0:3], 0 offset:432
	v_mov_b32_e32 v1, s47
	buffer_store_dword v1, off, s[0:3], 0 offset:460
	v_mov_b32_e32 v1, s46
	buffer_store_dword v1, off, s[0:3], 0 offset:456
	v_mov_b32_e32 v1, s45
	buffer_store_dword v1, off, s[0:3], 0 offset:452
	v_mov_b32_e32 v1, s44
	buffer_store_dword v1, off, s[0:3], 0 offset:448
	s_waitcnt lgkmcnt(0)
	v_mov_b32_e32 v1, s11
	buffer_store_dword v1, off, s[0:3], 0 offset:476
	v_mov_b32_e32 v1, s10
	buffer_store_dword v1, off, s[0:3], 0 offset:472
	;; [unrolled: 2-line block ×6, first 2 shown]
	v_mov_b32_e32 v1, s13
	s_sub_i32 s36, s6, s33
	buffer_store_dword v1, off, s[0:3], 0 offset:484
	v_mov_b32_e32 v1, s12
	s_load_dword s6, s[4:5], 0x1b0
	buffer_store_dword v1, off, s[0:3], 0 offset:480
	v_mov_b32_e32 v1, s27
	s_load_dwordx8 s[8:15], s[4:5], 0xb0
	buffer_store_dword v1, off, s[0:3], 0 offset:508
	v_mov_b32_e32 v1, s26
	buffer_store_dword v1, off, s[0:3], 0 offset:504
	v_mov_b32_e32 v1, s25
	;; [unrolled: 2-line block ×3, first 2 shown]
	buffer_store_dword v1, off, s[0:3], 0 offset:496
	s_waitcnt lgkmcnt(0)
	v_mov_b32_e32 v1, s6
	s_load_dwordx8 s[24:31], s[4:5], 0xd0
	buffer_store_dword v1, off, s[0:3], 0 offset:428
	v_mov_b32_e32 v1, s15
	buffer_store_dword v1, off, s[0:3], 0 offset:200
	v_mov_b32_e32 v1, s14
	buffer_store_dword v1, off, s[0:3], 0 offset:196
	v_mov_b32_e32 v1, s13
	buffer_store_dword v1, off, s[0:3], 0 offset:192
	v_mov_b32_e32 v1, s12
	buffer_store_dword v1, off, s[0:3], 0 offset:188
	s_waitcnt lgkmcnt(0)
	v_mov_b32_e32 v1, s27
	buffer_store_dword v1, off, s[0:3], 0 offset:216
	v_mov_b32_e32 v1, s26
	buffer_store_dword v1, off, s[0:3], 0 offset:212
	v_mov_b32_e32 v1, s25
	buffer_store_dword v1, off, s[0:3], 0 offset:208
	v_mov_b32_e32 v1, s24
	s_load_dwordx8 s[40:47], s[4:5], 0xf0
	buffer_store_dword v1, off, s[0:3], 0 offset:204
	v_mov_b32_e32 v1, s31
	buffer_store_dword v1, off, s[0:3], 0 offset:232
	v_mov_b32_e32 v1, s30
	buffer_store_dword v1, off, s[0:3], 0 offset:228
	v_mov_b32_e32 v1, s29
	buffer_store_dword v1, off, s[0:3], 0 offset:224
	v_mov_b32_e32 v1, s28
	buffer_store_dword v1, off, s[0:3], 0 offset:220
	s_waitcnt lgkmcnt(0)
	v_mov_b32_e32 v1, s43
	buffer_store_dword v1, off, s[0:3], 0 offset:248
	v_mov_b32_e32 v1, s42
	buffer_store_dword v1, off, s[0:3], 0 offset:244
	v_mov_b32_e32 v1, s41
	buffer_store_dword v1, off, s[0:3], 0 offset:240
	;; [unrolled: 18-line block ×7, first 2 shown]
	v_mov_b32_e32 v1, s24
	s_load_dwordx8 s[40:47], s[4:5], 0x30
	buffer_store_dword v1, off, s[0:3], 0 offset:396
	v_mov_b32_e32 v1, s31
	buffer_store_dword v1, off, s[0:3], 0 offset:424
	v_mov_b32_e32 v1, s30
	;; [unrolled: 2-line block ×4, first 2 shown]
	buffer_store_dword v1, off, s[0:3], 0 offset:412
	s_waitcnt lgkmcnt(0)
	v_mov_b32_e32 v1, s43
	buffer_store_dword v1, off, s[0:3], 0 offset:56
	v_mov_b32_e32 v1, s42
	buffer_store_dword v1, off, s[0:3], 0 offset:52
	v_mov_b32_e32 v1, s41
	s_load_dwordx8 s[24:31], s[4:5], 0x50
	buffer_store_dword v1, off, s[0:3], 0 offset:48
	v_mov_b32_e32 v1, s40
	buffer_store_dword v1, off, s[0:3], 0 offset:44
	v_mov_b32_e32 v1, s47
	buffer_store_dword v1, off, s[0:3], 0 offset:72
	v_mov_b32_e32 v1, s46
	buffer_store_dword v1, off, s[0:3], 0 offset:68
	v_mov_b32_e32 v1, s45
	buffer_store_dword v1, off, s[0:3], 0 offset:64
	v_mov_b32_e32 v1, s44
	buffer_store_dword v1, off, s[0:3], 0 offset:60
	s_waitcnt lgkmcnt(0)
	v_mov_b32_e32 v1, s27
	buffer_store_dword v1, off, s[0:3], 0 offset:88
	v_mov_b32_e32 v1, s26
	buffer_store_dword v1, off, s[0:3], 0 offset:84
	;; [unrolled: 2-line block ×3, first 2 shown]
	v_mov_b32_e32 v1, s24
	s_load_dwordx8 s[40:47], s[4:5], 0x70
	buffer_store_dword v1, off, s[0:3], 0 offset:76
	v_mov_b32_e32 v1, s31
	buffer_store_dword v1, off, s[0:3], 0 offset:104
	v_mov_b32_e32 v1, s30
	buffer_store_dword v1, off, s[0:3], 0 offset:100
	v_mov_b32_e32 v1, s29
	buffer_store_dword v1, off, s[0:3], 0 offset:96
	v_mov_b32_e32 v1, s28
	buffer_store_dword v1, off, s[0:3], 0 offset:92
	s_waitcnt lgkmcnt(0)
	v_mov_b32_e32 v1, s43
	buffer_store_dword v1, off, s[0:3], 0 offset:120
	v_mov_b32_e32 v1, s42
	buffer_store_dword v1, off, s[0:3], 0 offset:116
	;; [unrolled: 2-line block ×3, first 2 shown]
	v_mov_b32_e32 v1, s40
	s_load_dwordx8 s[24:31], s[4:5], 0x90
	buffer_store_dword v1, off, s[0:3], 0 offset:108
	v_mov_b32_e32 v1, s47
	buffer_store_dword v1, off, s[0:3], 0 offset:136
	v_mov_b32_e32 v1, s46
	;; [unrolled: 2-line block ×4, first 2 shown]
	buffer_store_dword v1, off, s[0:3], 0 offset:124
	s_waitcnt lgkmcnt(0)
	v_mov_b32_e32 v1, s27
	buffer_store_dword v1, off, s[0:3], 0 offset:152
	v_mov_b32_e32 v1, s26
	buffer_store_dword v1, off, s[0:3], 0 offset:148
	;; [unrolled: 2-line block ×11, first 2 shown]
	v_mov_b32_e32 v1, s8
	v_mov_b32_e32 v3, 0
	v_cmp_gt_i32_e32 vcc, s36, v0
	buffer_store_dword v1, off, s[0:3], 0 offset:172
	buffer_store_dword v3, off, s[0:3], 0 offset:772
	;; [unrolled: 1-line block ×41, first 2 shown]
	s_and_saveexec_b64 s[14:15], vcc
	s_cbranch_execz .LBB58_16
; %bb.1:
	buffer_load_dword v2, off, s[0:3], 0 offset:44
	buffer_load_dword v7, off, s[0:3], 0 offset:48
	;; [unrolled: 1-line block ×13, first 2 shown]
	s_mov_b32 s37, 0
	s_mov_b64 s[24:25], 0
	v_mov_b32_e32 v19, 0x340
	v_mov_b32_e32 v21, v0
	s_waitcnt vmcnt(12)
	v_add_u32_e32 v12, -1, v2
	v_cmp_ne_u32_e64 s[4:5], 0, v2
	v_cmp_lt_u32_e64 s[6:7], 1, v2
	v_min_u32_e32 v2, 15, v12
	v_cmp_lt_u32_e64 s[8:9], 1, v12
	v_add_u32_e32 v12, 1, v2
	v_and_b32_e32 v2, 1, v2
	v_and_b32_e32 v20, 30, v12
	v_cmp_eq_u32_e64 s[10:11], 0, v2
	s_branch .LBB58_4
.LBB58_2:                               ;   in Loop: Header=BB58_4 Depth=1
	s_or_b64 exec, exec, s[26:27]
.LBB58_3:                               ;   in Loop: Header=BB58_4 Depth=1
	s_or_b64 exec, exec, s[12:13]
	v_lshlrev_b64 v[22:23], 3, v[2:3]
	v_mov_b32_e32 v2, s21
	v_add_co_u32_e64 v22, s[12:13], s20, v22
	v_mov_b32_e32 v15, v3
	v_addc_co_u32_e64 v23, s[12:13], v2, v23, s[12:13]
	v_lshlrev_b64 v[14:15], 3, v[14:15]
	global_load_dwordx2 v[22:23], v[22:23], off
	v_mov_b32_e32 v2, s23
	v_add_co_u32_e64 v14, s[12:13], s22, v14
	v_mov_b32_e32 v13, v3
	v_addc_co_u32_e64 v15, s[12:13], v2, v15, s[12:13]
	v_lshlrev_b64 v[12:13], 3, v[12:13]
	global_load_dwordx2 v[14:15], v[14:15], off
	v_mov_b32_e32 v2, s35
	v_add_co_u32_e64 v12, s[12:13], s34, v12
	v_addc_co_u32_e64 v13, s[12:13], v2, v13, s[12:13]
	global_load_dwordx2 v[12:13], v[12:13], off
	s_add_i32 s28, s37, 1
	s_mul_i32 s12, s37, 24
	v_add_u32_e32 v21, 0x100, v21
	s_cmp_gt_u32 s37, 2
	v_add_u32_e32 v2, s12, v19
	v_cmp_le_i32_e64 s[12:13], s36, v21
	s_cselect_b64 s[26:27], -1, 0
	s_or_b64 s[12:13], s[26:27], s[12:13]
	s_and_b64 s[12:13], exec, s[12:13]
	s_or_b64 s[24:25], s[12:13], s[24:25]
	s_mov_b32 s37, s28
	s_waitcnt vmcnt(2)
	buffer_store_dword v23, v2, s[0:3], 0 offen offset:20
	buffer_store_dword v22, v2, s[0:3], 0 offen offset:16
	s_waitcnt vmcnt(3)
	buffer_store_dword v15, v2, s[0:3], 0 offen offset:12
	buffer_store_dword v14, v2, s[0:3], 0 offen offset:8
	s_waitcnt vmcnt(4)
	buffer_store_dword v13, v2, s[0:3], 0 offen offset:4
	buffer_store_dword v12, v2, s[0:3], 0 offen
	s_andn2_b64 exec, exec, s[24:25]
	s_cbranch_execz .LBB58_15
.LBB58_4:                               ; =>This Loop Header: Depth=1
                                        ;     Child Loop BB58_7 Depth 2
	v_add_u32_e32 v13, s33, v21
                                        ; implicit-def: $vgpr12
                                        ; implicit-def: $vgpr14
	s_and_saveexec_b64 s[12:13], s[8:9]
	s_xor_b64 s[26:27], exec, s[12:13]
	s_cbranch_execz .LBB58_12
; %bb.5:                                ;   in Loop: Header=BB58_4 Depth=1
	v_mov_b32_e32 v12, 0
	v_mov_b32_e32 v14, 0
	;; [unrolled: 1-line block ×3, first 2 shown]
	s_and_saveexec_b64 s[28:29], s[4:5]
	s_cbranch_execz .LBB58_11
; %bb.6:                                ;   in Loop: Header=BB58_4 Depth=1
	v_mov_b32_e32 v2, 0
	v_mov_b32_e32 v15, 0
	s_mov_b64 s[30:31], 0
	v_mov_b32_e32 v22, v20
	v_mov_b32_e32 v14, v2
	v_mov_b32_e32 v12, v2
.LBB58_7:                               ;   Parent Loop BB58_4 Depth=1
                                        ; =>  This Inner Loop Header: Depth=2
	buffer_load_dword v23, v15, s[0:3], 0 offen offset:52
	buffer_load_dword v24, v15, s[0:3], 0 offen offset:56
	;; [unrolled: 1-line block ×12, first 2 shown]
	v_add_u32_e32 v22, -2, v22
	v_cmp_eq_u32_e64 s[12:13], 0, v22
	v_add_u32_e32 v15, 24, v15
	s_or_b64 s[30:31], s[12:13], s[30:31]
	s_waitcnt vmcnt(11)
	v_mul_hi_u32 v23, v23, v13
	v_add_u32_e32 v23, v13, v23
	s_waitcnt vmcnt(10)
	v_lshrrev_b32_e32 v23, v24, v23
	s_waitcnt vmcnt(9)
	v_mul_lo_u32 v24, v23, v25
	s_waitcnt vmcnt(8)
	v_mul_hi_u32 v25, v26, v23
	v_sub_u32_e32 v13, v13, v24
	v_add_u32_e32 v24, v23, v25
	s_waitcnt vmcnt(7)
	v_mul_lo_u32 v25, v13, v27
	s_waitcnt vmcnt(6)
	v_mul_lo_u32 v26, v13, v28
	;; [unrolled: 2-line block ×3, first 2 shown]
	s_waitcnt vmcnt(4)
	v_lshrrev_b32_e32 v13, v30, v24
	s_waitcnt vmcnt(3)
	v_mul_lo_u32 v24, v13, v31
	v_sub_u32_e32 v23, v23, v24
	s_waitcnt vmcnt(2)
	v_mul_lo_u32 v24, v23, v32
	s_waitcnt vmcnt(1)
	v_mul_lo_u32 v28, v23, v33
	;; [unrolled: 2-line block ×3, first 2 shown]
	v_add3_u32 v2, v25, v2, v24
	v_add3_u32 v12, v27, v12, v23
	;; [unrolled: 1-line block ×3, first 2 shown]
	s_andn2_b64 exec, exec, s[30:31]
	s_cbranch_execnz .LBB58_7
; %bb.8:                                ;   in Loop: Header=BB58_4 Depth=1
	s_or_b64 exec, exec, s[30:31]
	s_and_saveexec_b64 s[12:13], s[10:11]
	s_cbranch_execz .LBB58_10
; %bb.9:                                ;   in Loop: Header=BB58_4 Depth=1
	buffer_load_dword v22, v15, s[0:3], 0 offen offset:52
	buffer_load_dword v23, v15, s[0:3], 0 offen offset:56
	;; [unrolled: 1-line block ×6, first 2 shown]
	s_waitcnt vmcnt(5)
	v_mul_hi_u32 v15, v22, v13
	v_add_u32_e32 v15, v13, v15
	s_waitcnt vmcnt(4)
	v_lshrrev_b32_e32 v15, v23, v15
	s_waitcnt vmcnt(3)
	v_mul_lo_u32 v15, v15, v24
	v_sub_u32_e32 v13, v13, v15
	s_waitcnt vmcnt(2)
	v_mad_u64_u32 v[22:23], s[30:31], v13, v25, v[2:3]
	s_waitcnt vmcnt(1)
	v_mad_u64_u32 v[14:15], s[30:31], v13, v26, v[14:15]
	;; [unrolled: 2-line block ×3, first 2 shown]
	v_mov_b32_e32 v2, v22
.LBB58_10:                              ;   in Loop: Header=BB58_4 Depth=1
	s_or_b64 exec, exec, s[12:13]
.LBB58_11:                              ;   in Loop: Header=BB58_4 Depth=1
	s_or_b64 exec, exec, s[28:29]
                                        ; implicit-def: $vgpr13
.LBB58_12:                              ;   in Loop: Header=BB58_4 Depth=1
	s_andn2_saveexec_b64 s[12:13], s[26:27]
	s_cbranch_execz .LBB58_3
; %bb.13:                               ;   in Loop: Header=BB58_4 Depth=1
	s_waitcnt vmcnt(10)
	v_mul_hi_u32 v2, v13, v4
	v_add_u32_e32 v2, v13, v2
	s_waitcnt vmcnt(9)
	v_lshrrev_b32_e32 v15, v9, v2
	v_mul_lo_u32 v2, v15, v7
	v_sub_u32_e32 v13, v13, v2
	s_waitcnt vmcnt(5)
	v_mul_lo_u32 v2, v13, v17
	s_waitcnt vmcnt(1)
	v_mul_lo_u32 v12, v13, v5
	;; [unrolled: 2-line block ×3, first 2 shown]
	s_and_saveexec_b64 s[26:27], s[6:7]
	s_cbranch_execz .LBB58_2
; %bb.14:                               ;   in Loop: Header=BB58_4 Depth=1
	v_mul_hi_u32 v13, v15, v6
	v_add_u32_e32 v13, v15, v13
	v_lshrrev_b32_e32 v13, v16, v13
	v_mul_lo_u32 v13, v13, v11
	v_sub_u32_e32 v13, v15, v13
	v_mad_u64_u32 v[22:23], s[28:29], v13, v18, v[2:3]
	v_mad_u64_u32 v[14:15], s[28:29], v13, v8, v[14:15]
	;; [unrolled: 1-line block ×3, first 2 shown]
	v_mov_b32_e32 v2, v22
	s_branch .LBB58_2
.LBB58_15:
	s_or_b64 exec, exec, s[24:25]
	buffer_load_dword v2, off, s[0:3], 0 offset:832
	buffer_load_dword v3, off, s[0:3], 0 offset:836
	;; [unrolled: 1-line block ×6, first 2 shown]
	s_waitcnt vmcnt(2)
	v_mul_f64 v[4:5], v[4:5], v[2:3]
	s_waitcnt vmcnt(0)
	v_cmp_lt_f64_e64 s[4:5], 0, v[6:7]
	v_mul_f64 v[8:9], v[6:7], v[2:3]
	v_cndmask_b32_e64 v1, v4, v2, s[4:5]
	v_cndmask_b32_e64 v2, v5, v3, s[4:5]
	v_cndmask_b32_e64 v3, v8, 0, s[4:5]
	v_cndmask_b32_e64 v4, v9, 0, s[4:5]
	buffer_store_dword v2, off, s[0:3], 0 offset:772
	buffer_store_dword v1, off, s[0:3], 0 offset:768
	;; [unrolled: 1-line block ×4, first 2 shown]
.LBB58_16:
	s_or_b64 exec, exec, s[14:15]
	v_or_b32_e32 v1, 0x100, v0
	v_cmp_gt_i32_e64 s[4:5], s36, v1
	s_and_saveexec_b64 s[6:7], s[4:5]
	s_cbranch_execz .LBB58_18
; %bb.17:
	buffer_load_dword v2, off, s[0:3], 0 offset:856
	buffer_load_dword v3, off, s[0:3], 0 offset:860
	buffer_load_dword v4, off, s[0:3], 0 offset:864
	buffer_load_dword v5, off, s[0:3], 0 offset:868
	buffer_load_dword v6, off, s[0:3], 0 offset:872
	buffer_load_dword v7, off, s[0:3], 0 offset:876
	s_waitcnt vmcnt(2)
	v_mul_f64 v[4:5], v[4:5], v[2:3]
	s_waitcnt vmcnt(0)
	v_cmp_lt_f64_e64 s[4:5], 0, v[6:7]
	v_mul_f64 v[8:9], v[6:7], v[2:3]
	v_cndmask_b32_e64 v1, v4, v2, s[4:5]
	v_cndmask_b32_e64 v2, v5, v3, s[4:5]
	v_cndmask_b32_e64 v3, v8, 0, s[4:5]
	v_cndmask_b32_e64 v4, v9, 0, s[4:5]
	buffer_store_dword v2, off, s[0:3], 0 offset:788
	buffer_store_dword v1, off, s[0:3], 0 offset:784
	buffer_store_dword v4, off, s[0:3], 0 offset:796
	buffer_store_dword v3, off, s[0:3], 0 offset:792
.LBB58_18:
	s_or_b64 exec, exec, s[6:7]
	v_or_b32_e32 v1, 0x200, v0
	v_cmp_gt_i32_e64 s[4:5], s36, v1
	s_and_saveexec_b64 s[6:7], s[4:5]
	s_cbranch_execz .LBB58_20
; %bb.19:
	buffer_load_dword v2, off, s[0:3], 0 offset:880
	buffer_load_dword v3, off, s[0:3], 0 offset:884
	buffer_load_dword v4, off, s[0:3], 0 offset:888
	buffer_load_dword v5, off, s[0:3], 0 offset:892
	buffer_load_dword v6, off, s[0:3], 0 offset:896
	buffer_load_dword v7, off, s[0:3], 0 offset:900
	s_waitcnt vmcnt(2)
	v_mul_f64 v[4:5], v[4:5], v[2:3]
	s_waitcnt vmcnt(0)
	v_cmp_lt_f64_e64 s[4:5], 0, v[6:7]
	v_mul_f64 v[8:9], v[6:7], v[2:3]
	v_cndmask_b32_e64 v1, v4, v2, s[4:5]
	v_cndmask_b32_e64 v2, v5, v3, s[4:5]
	v_cndmask_b32_e64 v3, v8, 0, s[4:5]
	v_cndmask_b32_e64 v4, v9, 0, s[4:5]
	buffer_store_dword v2, off, s[0:3], 0 offset:804
	buffer_store_dword v1, off, s[0:3], 0 offset:800
	buffer_store_dword v4, off, s[0:3], 0 offset:812
	buffer_store_dword v3, off, s[0:3], 0 offset:808
.LBB58_20:
	s_or_b64 exec, exec, s[6:7]
	v_or_b32_e32 v1, 0x300, v0
	v_cmp_gt_i32_e64 s[4:5], s36, v1
	s_and_saveexec_b64 s[6:7], s[4:5]
	s_cbranch_execz .LBB58_22
; %bb.21:
	buffer_load_dword v2, off, s[0:3], 0 offset:904
	buffer_load_dword v3, off, s[0:3], 0 offset:908
	buffer_load_dword v4, off, s[0:3], 0 offset:912
	buffer_load_dword v5, off, s[0:3], 0 offset:916
	buffer_load_dword v6, off, s[0:3], 0 offset:920
	buffer_load_dword v7, off, s[0:3], 0 offset:924
	s_waitcnt vmcnt(2)
	v_mul_f64 v[4:5], v[4:5], v[2:3]
	s_waitcnt vmcnt(0)
	v_cmp_lt_f64_e64 s[4:5], 0, v[6:7]
	v_mul_f64 v[8:9], v[6:7], v[2:3]
	v_cndmask_b32_e64 v1, v4, v2, s[4:5]
	v_cndmask_b32_e64 v2, v5, v3, s[4:5]
	v_cndmask_b32_e64 v3, v8, 0, s[4:5]
	v_cndmask_b32_e64 v4, v9, 0, s[4:5]
	buffer_store_dword v2, off, s[0:3], 0 offset:820
	buffer_store_dword v1, off, s[0:3], 0 offset:816
	buffer_store_dword v4, off, s[0:3], 0 offset:828
	buffer_store_dword v3, off, s[0:3], 0 offset:824
.LBB58_22:
	s_or_b64 exec, exec, s[6:7]
	s_and_saveexec_b64 s[4:5], vcc
	s_xor_b64 s[4:5], exec, s[4:5]
	s_cbranch_execz .LBB58_41
; %bb.23:
	buffer_load_dword v10, off, s[0:3], 0 offset:432
	buffer_load_dword v1, off, s[0:3], 0 offset:632
	buffer_load_dword v5, off, s[0:3], 0 offset:436
	buffer_load_dword v2, off, s[0:3], 0 offset:440
	buffer_load_dword v7, off, s[0:3], 0 offset:444
	buffer_load_dword v9, off, s[0:3], 0 offset:448
	buffer_load_dword v4, off, s[0:3], 0 offset:452
	buffer_load_dword v16, off, s[0:3], 0 offset:456
	buffer_load_dword v6, off, s[0:3], 0 offset:628
	buffer_load_dword v3, off, s[0:3], 0 offset:640
	buffer_load_dword v8, off, s[0:3], 0 offset:636
	v_mov_b32_e32 v17, 0
	s_mov_b32 s20, 0
	v_mov_b32_e32 v11, 0
	s_mov_b64 s[22:23], 0
	v_mov_b32_e32 v18, 0x300
	v_add_u32_e32 v19, 0x274, v17
	s_mov_b32 s30, 0
	s_waitcnt vmcnt(10)
	v_add_u32_e32 v12, -1, v10
	v_cmp_ne_u32_e32 vcc, 0, v10
	v_cmp_lt_u32_e64 s[4:5], 1, v10
	v_min_u32_e32 v10, 15, v12
	v_add_u32_e32 v10, 1, v10
	v_and_b32_e32 v20, 3, v10
	v_cmp_lt_u32_e64 s[6:7], 1, v12
	v_cmp_ne_u32_e64 s[8:9], 2, v12
	v_and_b32_e32 v21, 28, v10
	v_cmp_ne_u32_e64 s[10:11], 0, v20
	s_branch .LBB58_26
.LBB58_24:                              ;   in Loop: Header=BB58_26 Depth=1
	s_or_b64 exec, exec, s[14:15]
.LBB58_25:                              ;   in Loop: Header=BB58_26 Depth=1
	s_or_b64 exec, exec, s[12:13]
	s_lshl_b32 s12, s30, 4
	v_add_u32_e32 v13, s12, v18
	buffer_load_dword v14, v13, s[0:3], 0 offen
	buffer_load_dword v15, v13, s[0:3], 0 offen offset:4
	buffer_load_dword v22, v13, s[0:3], 0 offen offset:8
	;; [unrolled: 1-line block ×3, first 2 shown]
	v_mov_b32_e32 v13, v11
	v_lshlrev_b64 v[24:25], 3, v[10:11]
	v_lshlrev_b64 v[12:13], 3, v[12:13]
	v_mov_b32_e32 v10, s17
	v_mov_b32_e32 v26, s19
	s_add_i32 s21, s30, 1
	v_add_co_u32_e64 v24, s[12:13], s16, v24
	v_add_co_u32_e64 v12, s[14:15], s18, v12
	v_add_u32_e32 v0, 0x100, v0
	v_addc_co_u32_e64 v25, s[12:13], v10, v25, s[12:13]
	s_cmp_gt_u32 s30, 2
	v_addc_co_u32_e64 v13, s[14:15], v26, v13, s[14:15]
	v_cmp_le_i32_e64 s[12:13], s36, v0
	s_cselect_b64 s[14:15], -1, 0
	s_or_b64 s[12:13], s[14:15], s[12:13]
	s_and_b64 s[12:13], exec, s[12:13]
	s_or_b64 s[22:23], s[12:13], s[22:23]
	s_mov_b32 s30, s21
	s_waitcnt vmcnt(2)
	global_store_dwordx2 v[24:25], v[14:15], off
	s_waitcnt vmcnt(1)
	global_store_dwordx2 v[12:13], v[22:23], off
	s_andn2_b64 exec, exec, s[22:23]
	s_cbranch_execz .LBB58_41
.LBB58_26:                              ; =>This Loop Header: Depth=1
                                        ;     Child Loop BB58_30 Depth 2
                                        ;     Child Loop BB58_34 Depth 2
	v_add_u32_e32 v13, s33, v0
                                        ; implicit-def: $vgpr12
	s_and_saveexec_b64 s[12:13], s[6:7]
	s_xor_b64 s[14:15], exec, s[12:13]
	s_cbranch_execz .LBB58_38
; %bb.27:                               ;   in Loop: Header=BB58_26 Depth=1
	v_mov_b32_e32 v12, 0
	v_mov_b32_e32 v10, 0
	s_and_saveexec_b64 s[24:25], vcc
	s_cbranch_execz .LBB58_37
; %bb.28:                               ;   in Loop: Header=BB58_26 Depth=1
	s_mov_b32 s21, s20
	v_pk_mov_b32 v[14:15], s[20:21], s[20:21] op_sel:[0,1]
	v_mov_b32_e32 v22, 0
                                        ; implicit-def: $vgpr12
	s_and_saveexec_b64 s[26:27], s[8:9]
	s_cbranch_execz .LBB58_32
; %bb.29:                               ;   in Loop: Header=BB58_26 Depth=1
	v_mov_b32_e32 v10, 0
	v_mov_b32_e32 v14, 0
	s_mov_b32 s21, 0
	s_mov_b64 s[28:29], 0
	v_mov_b32_e32 v15, v19
	v_mov_b32_e32 v12, v10
.LBB58_30:                              ;   Parent Loop BB58_26 Depth=1
                                        ; =>  This Inner Loop Header: Depth=2
	buffer_load_dword v22, v14, s[0:3], 0 offen offset:440
	buffer_load_dword v23, v14, s[0:3], 0 offen offset:444
	buffer_load_dword v24, v14, s[0:3], 0 offen offset:436
	buffer_load_dword v25, v14, s[0:3], 0 offen offset:452
	buffer_load_dword v26, v15, s[0:3], 0 offen offset:4
	buffer_load_dword v27, v15, s[0:3], 0 offen
	buffer_load_dword v28, v14, s[0:3], 0 offen offset:456
	buffer_load_dword v29, v14, s[0:3], 0 offen offset:448
	;; [unrolled: 1-line block ×14, first 2 shown]
	s_add_i32 s21, s21, 4
	v_cmp_eq_u32_e64 s[12:13], s21, v21
	v_add_u32_e32 v15, 32, v15
	v_add_u32_e32 v14, 48, v14
	s_or_b64 s[28:29], s[12:13], s[28:29]
	s_waitcnt vmcnt(19)
	v_mul_hi_u32 v22, v22, v13
	v_add_u32_e32 v22, v13, v22
	s_waitcnt vmcnt(18)
	v_lshrrev_b32_e32 v22, v23, v22
	s_waitcnt vmcnt(17)
	v_mul_lo_u32 v23, v22, v24
	s_waitcnt vmcnt(16)
	v_mul_hi_u32 v24, v25, v22
	v_sub_u32_e32 v13, v13, v23
	v_add_u32_e32 v23, v22, v24
	s_waitcnt vmcnt(13)
	v_lshrrev_b32_e32 v23, v28, v23
	v_mul_lo_u32 v24, v13, v26
	s_waitcnt vmcnt(12)
	v_mul_lo_u32 v25, v23, v29
	s_waitcnt vmcnt(11)
	v_mul_hi_u32 v26, v30, v23
	v_sub_u32_e32 v22, v22, v25
	v_add_u32_e32 v25, v23, v26
	v_mul_lo_u32 v13, v13, v27
	s_waitcnt vmcnt(10)
	v_mul_lo_u32 v26, v22, v31
	s_waitcnt vmcnt(9)
	v_mul_lo_u32 v22, v22, v32
	s_waitcnt vmcnt(8)
	v_lshrrev_b32_e32 v25, v33, v25
	v_add3_u32 v10, v13, v10, v22
	s_waitcnt vmcnt(7)
	v_mul_lo_u32 v13, v25, v34
	s_waitcnt vmcnt(6)
	v_mul_hi_u32 v22, v35, v25
	v_sub_u32_e32 v13, v23, v13
	v_add_u32_e32 v22, v25, v22
	v_add3_u32 v12, v24, v12, v26
	s_waitcnt vmcnt(4)
	v_mul_lo_u32 v23, v13, v37
	s_waitcnt vmcnt(3)
	v_mul_lo_u32 v24, v13, v38
	s_waitcnt vmcnt(2)
	v_lshrrev_b32_e32 v13, v39, v22
	v_mul_lo_u32 v22, v13, v36
	v_sub_u32_e32 v22, v25, v22
	s_waitcnt vmcnt(1)
	v_mul_lo_u32 v25, v22, v40
	s_waitcnt vmcnt(0)
	v_mul_lo_u32 v22, v22, v41
	v_add3_u32 v12, v24, v12, v22
	v_add3_u32 v10, v23, v10, v25
	s_andn2_b64 exec, exec, s[28:29]
	s_cbranch_execnz .LBB58_30
; %bb.31:                               ;   in Loop: Header=BB58_26 Depth=1
	s_or_b64 exec, exec, s[28:29]
	v_mov_b32_e32 v14, v10
	v_mov_b32_e32 v15, v12
	;; [unrolled: 1-line block ×3, first 2 shown]
.LBB58_32:                              ;   in Loop: Header=BB58_26 Depth=1
	s_or_b64 exec, exec, s[26:27]
	s_and_saveexec_b64 s[26:27], s[10:11]
	s_cbranch_execz .LBB58_36
; %bb.33:                               ;   in Loop: Header=BB58_26 Depth=1
	v_lshl_add_u32 v10, v22, 3, v19
	v_mad_u32_u24 v12, v22, 12, v17
	s_mov_b64 s[28:29], 0
	v_mov_b32_e32 v22, v20
.LBB58_34:                              ;   Parent Loop BB58_26 Depth=1
                                        ; =>  This Inner Loop Header: Depth=2
	buffer_load_dword v23, v12, s[0:3], 0 offen offset:440
	buffer_load_dword v25, v12, s[0:3], 0 offen offset:436
	;; [unrolled: 1-line block ×4, first 2 shown]
	buffer_load_dword v28, v10, s[0:3], 0 offen
	v_mov_b32_e32 v24, v15
	v_add_u32_e32 v22, -1, v22
	v_cmp_eq_u32_e64 s[12:13], 0, v22
	s_or_b64 s[28:29], s[12:13], s[28:29]
	v_add_u32_e32 v10, 8, v10
	v_add_u32_e32 v12, 12, v12
	s_waitcnt vmcnt(4)
	v_mul_hi_u32 v15, v23, v13
	v_add_u32_e32 v15, v13, v15
	s_waitcnt vmcnt(2)
	v_lshrrev_b32_e32 v15, v26, v15
	v_mul_lo_u32 v23, v15, v25
	v_sub_u32_e32 v23, v13, v23
	v_mov_b32_e32 v13, v15
	s_waitcnt vmcnt(1)
	v_mad_u64_u32 v[24:25], s[12:13], v23, v27, v[24:25]
	s_waitcnt vmcnt(0)
	v_mad_u64_u32 v[14:15], s[12:13], v23, v28, v[14:15]
	v_mov_b32_e32 v15, v24
	s_andn2_b64 exec, exec, s[28:29]
	s_cbranch_execnz .LBB58_34
; %bb.35:                               ;   in Loop: Header=BB58_26 Depth=1
	s_or_b64 exec, exec, s[28:29]
	v_mov_b32_e32 v12, v15
	v_mov_b32_e32 v10, v14
.LBB58_36:                              ;   in Loop: Header=BB58_26 Depth=1
	s_or_b64 exec, exec, s[26:27]
.LBB58_37:                              ;   in Loop: Header=BB58_26 Depth=1
	s_or_b64 exec, exec, s[24:25]
                                        ; implicit-def: $vgpr13
.LBB58_38:                              ;   in Loop: Header=BB58_26 Depth=1
	s_andn2_saveexec_b64 s[12:13], s[14:15]
	s_cbranch_execz .LBB58_25
; %bb.39:                               ;   in Loop: Header=BB58_26 Depth=1
	s_waitcnt vmcnt(7)
	v_mul_hi_u32 v10, v13, v2
	v_add_u32_e32 v10, v13, v10
	s_waitcnt vmcnt(6)
	v_lshrrev_b32_e32 v14, v7, v10
	v_mul_lo_u32 v10, v14, v5
	v_sub_u32_e32 v10, v13, v10
	v_mul_lo_u32 v12, v10, v1
	s_waitcnt vmcnt(2)
	v_mul_lo_u32 v10, v10, v6
	s_and_saveexec_b64 s[14:15], s[4:5]
	s_cbranch_execz .LBB58_24
; %bb.40:                               ;   in Loop: Header=BB58_26 Depth=1
	v_mul_hi_u32 v13, v14, v4
	v_add_u32_e32 v13, v14, v13
	v_lshrrev_b32_e32 v13, v16, v13
	v_mul_lo_u32 v13, v13, v9
	v_sub_u32_e32 v13, v14, v13
	s_waitcnt vmcnt(0)
	v_mad_u64_u32 v[14:15], s[24:25], v13, v8, v[10:11]
	v_mad_u64_u32 v[12:13], s[24:25], v13, v3, v[12:13]
	v_mov_b32_e32 v10, v14
	s_branch .LBB58_24
.LBB58_41:
	s_endpgm
	.section	.rodata,"a",@progbits
	.p2align	6, 0x0
	.amdhsa_kernel _ZN2at6native12_GLOBAL__N_145unrolled_elementwise_kernel_for_multi_outputsILi2EZZZNS0_21prelu_backward_kernelERNS_14TensorIteratorEENKUlvE_clEvENKUlvE_clEvEUldddE_St5arrayIPcLm5EE16OffsetCalculatorILi3EjLb0EESB_ILi2EjLb0EEEEviT0_T1_T2_T3_
		.amdhsa_group_segment_fixed_size 0
		.amdhsa_private_segment_fixed_size 944
		.amdhsa_kernarg_size 760
		.amdhsa_user_sgpr_count 8
		.amdhsa_user_sgpr_private_segment_buffer 1
		.amdhsa_user_sgpr_dispatch_ptr 0
		.amdhsa_user_sgpr_queue_ptr 0
		.amdhsa_user_sgpr_kernarg_segment_ptr 1
		.amdhsa_user_sgpr_dispatch_id 0
		.amdhsa_user_sgpr_flat_scratch_init 1
		.amdhsa_user_sgpr_kernarg_preload_length 0
		.amdhsa_user_sgpr_kernarg_preload_offset 0
		.amdhsa_user_sgpr_private_segment_size 0
		.amdhsa_uses_dynamic_stack 0
		.amdhsa_system_sgpr_private_segment_wavefront_offset 1
		.amdhsa_system_sgpr_workgroup_id_x 1
		.amdhsa_system_sgpr_workgroup_id_y 0
		.amdhsa_system_sgpr_workgroup_id_z 0
		.amdhsa_system_sgpr_workgroup_info 0
		.amdhsa_system_vgpr_workitem_id 0
		.amdhsa_next_free_vgpr 42
		.amdhsa_next_free_sgpr 48
		.amdhsa_accum_offset 44
		.amdhsa_reserve_vcc 1
		.amdhsa_reserve_flat_scratch 0
		.amdhsa_float_round_mode_32 0
		.amdhsa_float_round_mode_16_64 0
		.amdhsa_float_denorm_mode_32 3
		.amdhsa_float_denorm_mode_16_64 3
		.amdhsa_dx10_clamp 1
		.amdhsa_ieee_mode 1
		.amdhsa_fp16_overflow 0
		.amdhsa_tg_split 0
		.amdhsa_exception_fp_ieee_invalid_op 0
		.amdhsa_exception_fp_denorm_src 0
		.amdhsa_exception_fp_ieee_div_zero 0
		.amdhsa_exception_fp_ieee_overflow 0
		.amdhsa_exception_fp_ieee_underflow 0
		.amdhsa_exception_fp_ieee_inexact 0
		.amdhsa_exception_int_div_zero 0
	.end_amdhsa_kernel
	.section	.text._ZN2at6native12_GLOBAL__N_145unrolled_elementwise_kernel_for_multi_outputsILi2EZZZNS0_21prelu_backward_kernelERNS_14TensorIteratorEENKUlvE_clEvENKUlvE_clEvEUldddE_St5arrayIPcLm5EE16OffsetCalculatorILi3EjLb0EESB_ILi2EjLb0EEEEviT0_T1_T2_T3_,"axG",@progbits,_ZN2at6native12_GLOBAL__N_145unrolled_elementwise_kernel_for_multi_outputsILi2EZZZNS0_21prelu_backward_kernelERNS_14TensorIteratorEENKUlvE_clEvENKUlvE_clEvEUldddE_St5arrayIPcLm5EE16OffsetCalculatorILi3EjLb0EESB_ILi2EjLb0EEEEviT0_T1_T2_T3_,comdat
.Lfunc_end58:
	.size	_ZN2at6native12_GLOBAL__N_145unrolled_elementwise_kernel_for_multi_outputsILi2EZZZNS0_21prelu_backward_kernelERNS_14TensorIteratorEENKUlvE_clEvENKUlvE_clEvEUldddE_St5arrayIPcLm5EE16OffsetCalculatorILi3EjLb0EESB_ILi2EjLb0EEEEviT0_T1_T2_T3_, .Lfunc_end58-_ZN2at6native12_GLOBAL__N_145unrolled_elementwise_kernel_for_multi_outputsILi2EZZZNS0_21prelu_backward_kernelERNS_14TensorIteratorEENKUlvE_clEvENKUlvE_clEvEUldddE_St5arrayIPcLm5EE16OffsetCalculatorILi3EjLb0EESB_ILi2EjLb0EEEEviT0_T1_T2_T3_
                                        ; -- End function
	.section	.AMDGPU.csdata,"",@progbits
; Kernel info:
; codeLenInByte = 5824
; NumSgprs: 52
; NumVgprs: 42
; NumAgprs: 0
; TotalNumVgprs: 42
; ScratchSize: 944
; MemoryBound: 0
; FloatMode: 240
; IeeeMode: 1
; LDSByteSize: 0 bytes/workgroup (compile time only)
; SGPRBlocks: 6
; VGPRBlocks: 5
; NumSGPRsForWavesPerEU: 52
; NumVGPRsForWavesPerEU: 42
; AccumOffset: 44
; Occupancy: 8
; WaveLimiterHint : 1
; COMPUTE_PGM_RSRC2:SCRATCH_EN: 1
; COMPUTE_PGM_RSRC2:USER_SGPR: 8
; COMPUTE_PGM_RSRC2:TRAP_HANDLER: 0
; COMPUTE_PGM_RSRC2:TGID_X_EN: 1
; COMPUTE_PGM_RSRC2:TGID_Y_EN: 0
; COMPUTE_PGM_RSRC2:TGID_Z_EN: 0
; COMPUTE_PGM_RSRC2:TIDIG_COMP_CNT: 0
; COMPUTE_PGM_RSRC3_GFX90A:ACCUM_OFFSET: 10
; COMPUTE_PGM_RSRC3_GFX90A:TG_SPLIT: 0
	.section	.text._ZN2at6native12_GLOBAL__N_145unrolled_elementwise_kernel_for_multi_outputsILi2EZZZNS0_21prelu_backward_kernelERNS_14TensorIteratorEENKUlvE_clEvENKUlvE0_clEvEUlfffE_St5arrayIPcLm5EE23TrivialOffsetCalculatorILi3EjESB_ILi2EjEEEviT0_T1_T2_T3_,"axG",@progbits,_ZN2at6native12_GLOBAL__N_145unrolled_elementwise_kernel_for_multi_outputsILi2EZZZNS0_21prelu_backward_kernelERNS_14TensorIteratorEENKUlvE_clEvENKUlvE0_clEvEUlfffE_St5arrayIPcLm5EE23TrivialOffsetCalculatorILi3EjESB_ILi2EjEEEviT0_T1_T2_T3_,comdat
	.globl	_ZN2at6native12_GLOBAL__N_145unrolled_elementwise_kernel_for_multi_outputsILi2EZZZNS0_21prelu_backward_kernelERNS_14TensorIteratorEENKUlvE_clEvENKUlvE0_clEvEUlfffE_St5arrayIPcLm5EE23TrivialOffsetCalculatorILi3EjESB_ILi2EjEEEviT0_T1_T2_T3_ ; -- Begin function _ZN2at6native12_GLOBAL__N_145unrolled_elementwise_kernel_for_multi_outputsILi2EZZZNS0_21prelu_backward_kernelERNS_14TensorIteratorEENKUlvE_clEvENKUlvE0_clEvEUlfffE_St5arrayIPcLm5EE23TrivialOffsetCalculatorILi3EjESB_ILi2EjEEEviT0_T1_T2_T3_
	.p2align	8
	.type	_ZN2at6native12_GLOBAL__N_145unrolled_elementwise_kernel_for_multi_outputsILi2EZZZNS0_21prelu_backward_kernelERNS_14TensorIteratorEENKUlvE_clEvENKUlvE0_clEvEUlfffE_St5arrayIPcLm5EE23TrivialOffsetCalculatorILi3EjESB_ILi2EjEEEviT0_T1_T2_T3_,@function
_ZN2at6native12_GLOBAL__N_145unrolled_elementwise_kernel_for_multi_outputsILi2EZZZNS0_21prelu_backward_kernelERNS_14TensorIteratorEENKUlvE_clEvENKUlvE0_clEvEUlfffE_St5arrayIPcLm5EE23TrivialOffsetCalculatorILi3EjESB_ILi2EjEEEviT0_T1_T2_T3_: ; @_ZN2at6native12_GLOBAL__N_145unrolled_elementwise_kernel_for_multi_outputsILi2EZZZNS0_21prelu_backward_kernelERNS_14TensorIteratorEENKUlvE_clEvENKUlvE0_clEvEUlfffE_St5arrayIPcLm5EE23TrivialOffsetCalculatorILi3EjESB_ILi2EjEEEviT0_T1_T2_T3_
; %bb.0:
	s_load_dwordx2 s[4:5], s[4:5], 0x4
	s_add_u32 s0, s0, s11
	s_addc_u32 s1, s1, 0
	v_and_b32_e32 v2, 0x3ff, v0
	s_load_dwordx8 s[12:19], s[6:7], 0x8
	s_load_dwordx2 s[20:21], s[6:7], 0x28
	s_waitcnt lgkmcnt(0)
	s_lshr_b32 s4, s4, 16
	s_mul_i32 s4, s4, s5
	v_mul_lo_u32 v1, s4, v2
	s_load_dword s4, s[6:7], 0x0
	s_mov_b32 s8, 0
	v_bfe_u32 v3, v0, 10, 10
	s_lshl_b32 s22, s10, 10
	s_mov_b32 s9, s8
	v_mad_u32_u24 v1, v3, s5, v1
	v_bfe_u32 v0, v0, 20, 10
	s_waitcnt lgkmcnt(0)
	s_sub_i32 s23, s4, s22
	s_mov_b32 s10, s8
	s_mov_b32 s11, s8
	v_pk_mov_b32 v[4:5], s[8:9], s[8:9] op_sel:[0,1]
	v_add_lshl_u32 v3, v1, v0, 5
	v_pk_mov_b32 v[6:7], s[10:11], s[10:11] op_sel:[0,1]
	v_mov_b32_e32 v1, 0
	v_cmp_gt_i32_e32 vcc, s23, v2
	ds_write_b128 v3, v[4:7]
	ds_write_b128 v3, v[4:7] offset:16
	buffer_store_dword v1, off, s[0:3], 0 offset:4
	buffer_store_dword v1, off, s[0:3], 0
	buffer_store_dword v1, off, s[0:3], 0 offset:12
	buffer_store_dword v1, off, s[0:3], 0 offset:8
	;; [unrolled: 1-line block ×10, first 2 shown]
	s_and_saveexec_b64 s[6:7], vcc
	s_cbranch_execz .LBB59_4
; %bb.1:
	v_mov_b32_e32 v4, 0
	s_mov_b64 s[10:11], 0
	v_mov_b32_e32 v5, s17
	v_mov_b32_e32 v6, s19
	v_mov_b32_e32 v7, s21
	v_mov_b32_e32 v8, v2
.LBB59_2:                               ; =>This Inner Loop Header: Depth=1
	v_add_u32_e32 v0, s22, v8
	v_lshlrev_b64 v[10:11], 2, v[0:1]
	v_add_co_u32_e64 v12, s[4:5], s16, v10
	v_addc_co_u32_e64 v13, s[4:5], v5, v11, s[4:5]
	v_add_co_u32_e64 v14, s[4:5], s18, v10
	v_addc_co_u32_e64 v15, s[4:5], v6, v11, s[4:5]
	;; [unrolled: 2-line block ×3, first 2 shown]
	global_load_dword v0, v[12:13], off
	global_load_dword v9, v[14:15], off
	;; [unrolled: 1-line block ×3, first 2 shown]
	s_add_i32 s9, s8, 1
	v_add_u32_e32 v8, 0x100, v8
	s_cmp_gt_u32 s8, 2
	v_cmp_le_i32_e64 s[4:5], s23, v8
	s_cselect_b64 s[24:25], -1, 0
	s_or_b64 s[4:5], s[24:25], s[4:5]
	s_and_b64 s[4:5], exec, s[4:5]
	s_mov_b32 s8, s9
	s_or_b64 s[10:11], s[4:5], s[10:11]
	s_waitcnt vmcnt(2)
	buffer_store_dword v0, v4, s[0:3], 0 offen offset:8
	s_waitcnt vmcnt(2)
	buffer_store_dword v9, v4, s[0:3], 0 offen offset:4
	s_waitcnt vmcnt(2)
	buffer_store_dword v16, v4, s[0:3], 0 offen
	v_add_u32_e32 v4, 12, v4
	s_andn2_b64 exec, exec, s[10:11]
	s_cbranch_execnz .LBB59_2
; %bb.3:
	s_or_b64 exec, exec, s[10:11]
	buffer_load_dword v0, off, s[0:3], 0
	buffer_load_dword v1, off, s[0:3], 0 offset:4
	buffer_load_dword v4, off, s[0:3], 0 offset:8
	s_waitcnt vmcnt(1)
	v_mul_f32_e32 v1, v1, v0
	s_waitcnt vmcnt(0)
	v_mul_f32_e32 v5, v4, v0
	v_cmp_lt_f32_e64 s[4:5], 0, v4
	v_cndmask_b32_e64 v0, v1, v0, s[4:5]
	v_cndmask_b32_e64 v1, v5, 0, s[4:5]
	ds_write_b64 v3, v[0:1]
.LBB59_4:
	s_or_b64 exec, exec, s[6:7]
	v_or_b32_e32 v0, 0x100, v2
	v_cmp_gt_i32_e64 s[4:5], s23, v0
	s_and_saveexec_b64 s[6:7], s[4:5]
	s_cbranch_execz .LBB59_6
; %bb.5:
	buffer_load_dword v0, off, s[0:3], 0 offset:12
	buffer_load_dword v1, off, s[0:3], 0 offset:16
	buffer_load_dword v4, off, s[0:3], 0 offset:20
	s_waitcnt vmcnt(1)
	v_mul_f32_e32 v1, v1, v0
	s_waitcnt vmcnt(0)
	v_mul_f32_e32 v5, v4, v0
	v_cmp_lt_f32_e64 s[4:5], 0, v4
	v_cndmask_b32_e64 v0, v1, v0, s[4:5]
	v_cndmask_b32_e64 v1, v5, 0, s[4:5]
	ds_write_b64 v3, v[0:1] offset:8
.LBB59_6:
	s_or_b64 exec, exec, s[6:7]
	v_or_b32_e32 v0, 0x200, v2
	v_cmp_gt_i32_e64 s[4:5], s23, v0
	s_and_saveexec_b64 s[6:7], s[4:5]
	s_cbranch_execz .LBB59_8
; %bb.7:
	buffer_load_dword v0, off, s[0:3], 0 offset:24
	buffer_load_dword v1, off, s[0:3], 0 offset:28
	buffer_load_dword v4, off, s[0:3], 0 offset:32
	s_waitcnt vmcnt(1)
	v_mul_f32_e32 v1, v1, v0
	s_waitcnt vmcnt(0)
	v_mul_f32_e32 v5, v4, v0
	v_cmp_lt_f32_e64 s[4:5], 0, v4
	v_cndmask_b32_e64 v0, v1, v0, s[4:5]
	v_cndmask_b32_e64 v1, v5, 0, s[4:5]
	ds_write_b64 v3, v[0:1] offset:16
.LBB59_8:
	s_or_b64 exec, exec, s[6:7]
	v_or_b32_e32 v0, 0x300, v2
	v_cmp_gt_i32_e64 s[4:5], s23, v0
	s_and_saveexec_b64 s[6:7], s[4:5]
	s_cbranch_execz .LBB59_10
; %bb.9:
	buffer_load_dword v0, off, s[0:3], 0 offset:36
	buffer_load_dword v1, off, s[0:3], 0 offset:40
	buffer_load_dword v4, off, s[0:3], 0 offset:44
	s_waitcnt vmcnt(1)
	v_mul_f32_e32 v1, v1, v0
	s_waitcnt vmcnt(0)
	v_mul_f32_e32 v5, v4, v0
	v_cmp_lt_f32_e64 s[4:5], 0, v4
	v_cndmask_b32_e64 v0, v1, v0, s[4:5]
	v_cndmask_b32_e64 v1, v5, 0, s[4:5]
	ds_write_b64 v3, v[0:1] offset:24
.LBB59_10:
	s_or_b64 exec, exec, s[6:7]
	s_and_saveexec_b64 s[4:5], vcc
	s_xor_b64 s[4:5], exec, s[4:5]
	s_cbranch_execz .LBB59_13
; %bb.11:
	s_mov_b32 s8, 0
	s_mov_b64 s[6:7], 0
	v_mov_b32_e32 v1, 0
	v_mov_b32_e32 v4, s13
	;; [unrolled: 1-line block ×3, first 2 shown]
.LBB59_12:                              ; =>This Inner Loop Header: Depth=1
	v_add_u32_e32 v0, s22, v2
	s_add_i32 s4, s8, 1
	v_lshlrev_b64 v[8:9], 2, v[0:1]
	s_cmp_gt_u32 s8, 2
	s_mov_b32 s8, s4
	v_add_co_u32_e64 v10, s[4:5], s12, v8
	v_addc_co_u32_e64 v11, s[4:5], v4, v9, s[4:5]
	v_add_co_u32_e64 v8, s[4:5], s14, v8
	ds_read_b64 v[6:7], v3
	v_add_u32_e32 v2, 0x100, v2
	v_addc_co_u32_e64 v9, s[4:5], v5, v9, s[4:5]
	v_cmp_le_i32_e32 vcc, s23, v2
	s_cselect_b64 s[4:5], -1, 0
	s_or_b64 s[4:5], s[4:5], vcc
	s_and_b64 s[4:5], exec, s[4:5]
	v_add_u32_e32 v3, 8, v3
	s_or_b64 s[6:7], s[4:5], s[6:7]
	s_waitcnt lgkmcnt(0)
	global_store_dword v[10:11], v6, off
	global_store_dword v[8:9], v7, off
	s_andn2_b64 exec, exec, s[6:7]
	s_cbranch_execnz .LBB59_12
.LBB59_13:
	s_endpgm
	.section	.rodata,"a",@progbits
	.p2align	6, 0x0
	.amdhsa_kernel _ZN2at6native12_GLOBAL__N_145unrolled_elementwise_kernel_for_multi_outputsILi2EZZZNS0_21prelu_backward_kernelERNS_14TensorIteratorEENKUlvE_clEvENKUlvE0_clEvEUlfffE_St5arrayIPcLm5EE23TrivialOffsetCalculatorILi3EjESB_ILi2EjEEEviT0_T1_T2_T3_
		.amdhsa_group_segment_fixed_size 8192
		.amdhsa_private_segment_fixed_size 64
		.amdhsa_kernarg_size 52
		.amdhsa_user_sgpr_count 10
		.amdhsa_user_sgpr_private_segment_buffer 1
		.amdhsa_user_sgpr_dispatch_ptr 1
		.amdhsa_user_sgpr_queue_ptr 0
		.amdhsa_user_sgpr_kernarg_segment_ptr 1
		.amdhsa_user_sgpr_dispatch_id 0
		.amdhsa_user_sgpr_flat_scratch_init 1
		.amdhsa_user_sgpr_kernarg_preload_length 0
		.amdhsa_user_sgpr_kernarg_preload_offset 0
		.amdhsa_user_sgpr_private_segment_size 0
		.amdhsa_uses_dynamic_stack 0
		.amdhsa_system_sgpr_private_segment_wavefront_offset 1
		.amdhsa_system_sgpr_workgroup_id_x 1
		.amdhsa_system_sgpr_workgroup_id_y 0
		.amdhsa_system_sgpr_workgroup_id_z 0
		.amdhsa_system_sgpr_workgroup_info 0
		.amdhsa_system_vgpr_workitem_id 2
		.amdhsa_next_free_vgpr 17
		.amdhsa_next_free_sgpr 26
		.amdhsa_accum_offset 20
		.amdhsa_reserve_vcc 1
		.amdhsa_reserve_flat_scratch 0
		.amdhsa_float_round_mode_32 0
		.amdhsa_float_round_mode_16_64 0
		.amdhsa_float_denorm_mode_32 3
		.amdhsa_float_denorm_mode_16_64 3
		.amdhsa_dx10_clamp 1
		.amdhsa_ieee_mode 1
		.amdhsa_fp16_overflow 0
		.amdhsa_tg_split 0
		.amdhsa_exception_fp_ieee_invalid_op 0
		.amdhsa_exception_fp_denorm_src 0
		.amdhsa_exception_fp_ieee_div_zero 0
		.amdhsa_exception_fp_ieee_overflow 0
		.amdhsa_exception_fp_ieee_underflow 0
		.amdhsa_exception_fp_ieee_inexact 0
		.amdhsa_exception_int_div_zero 0
	.end_amdhsa_kernel
	.section	.text._ZN2at6native12_GLOBAL__N_145unrolled_elementwise_kernel_for_multi_outputsILi2EZZZNS0_21prelu_backward_kernelERNS_14TensorIteratorEENKUlvE_clEvENKUlvE0_clEvEUlfffE_St5arrayIPcLm5EE23TrivialOffsetCalculatorILi3EjESB_ILi2EjEEEviT0_T1_T2_T3_,"axG",@progbits,_ZN2at6native12_GLOBAL__N_145unrolled_elementwise_kernel_for_multi_outputsILi2EZZZNS0_21prelu_backward_kernelERNS_14TensorIteratorEENKUlvE_clEvENKUlvE0_clEvEUlfffE_St5arrayIPcLm5EE23TrivialOffsetCalculatorILi3EjESB_ILi2EjEEEviT0_T1_T2_T3_,comdat
.Lfunc_end59:
	.size	_ZN2at6native12_GLOBAL__N_145unrolled_elementwise_kernel_for_multi_outputsILi2EZZZNS0_21prelu_backward_kernelERNS_14TensorIteratorEENKUlvE_clEvENKUlvE0_clEvEUlfffE_St5arrayIPcLm5EE23TrivialOffsetCalculatorILi3EjESB_ILi2EjEEEviT0_T1_T2_T3_, .Lfunc_end59-_ZN2at6native12_GLOBAL__N_145unrolled_elementwise_kernel_for_multi_outputsILi2EZZZNS0_21prelu_backward_kernelERNS_14TensorIteratorEENKUlvE_clEvENKUlvE0_clEvEUlfffE_St5arrayIPcLm5EE23TrivialOffsetCalculatorILi3EjESB_ILi2EjEEEviT0_T1_T2_T3_
                                        ; -- End function
	.section	.AMDGPU.csdata,"",@progbits
; Kernel info:
; codeLenInByte = 1012
; NumSgprs: 30
; NumVgprs: 17
; NumAgprs: 0
; TotalNumVgprs: 17
; ScratchSize: 64
; MemoryBound: 0
; FloatMode: 240
; IeeeMode: 1
; LDSByteSize: 8192 bytes/workgroup (compile time only)
; SGPRBlocks: 3
; VGPRBlocks: 2
; NumSGPRsForWavesPerEU: 30
; NumVGPRsForWavesPerEU: 17
; AccumOffset: 20
; Occupancy: 8
; WaveLimiterHint : 0
; COMPUTE_PGM_RSRC2:SCRATCH_EN: 1
; COMPUTE_PGM_RSRC2:USER_SGPR: 10
; COMPUTE_PGM_RSRC2:TRAP_HANDLER: 0
; COMPUTE_PGM_RSRC2:TGID_X_EN: 1
; COMPUTE_PGM_RSRC2:TGID_Y_EN: 0
; COMPUTE_PGM_RSRC2:TGID_Z_EN: 0
; COMPUTE_PGM_RSRC2:TIDIG_COMP_CNT: 2
; COMPUTE_PGM_RSRC3_GFX90A:ACCUM_OFFSET: 4
; COMPUTE_PGM_RSRC3_GFX90A:TG_SPLIT: 0
	.section	.text._ZN2at6native12_GLOBAL__N_145unrolled_elementwise_kernel_for_multi_outputsILi2EZZZNS0_21prelu_backward_kernelERNS_14TensorIteratorEENKUlvE_clEvENKUlvE0_clEvEUlfffE_St5arrayIPcLm5EE16OffsetCalculatorILi3EjLb0EESB_ILi2EjLb0EEEEviT0_T1_T2_T3_,"axG",@progbits,_ZN2at6native12_GLOBAL__N_145unrolled_elementwise_kernel_for_multi_outputsILi2EZZZNS0_21prelu_backward_kernelERNS_14TensorIteratorEENKUlvE_clEvENKUlvE0_clEvEUlfffE_St5arrayIPcLm5EE16OffsetCalculatorILi3EjLb0EESB_ILi2EjLb0EEEEviT0_T1_T2_T3_,comdat
	.globl	_ZN2at6native12_GLOBAL__N_145unrolled_elementwise_kernel_for_multi_outputsILi2EZZZNS0_21prelu_backward_kernelERNS_14TensorIteratorEENKUlvE_clEvENKUlvE0_clEvEUlfffE_St5arrayIPcLm5EE16OffsetCalculatorILi3EjLb0EESB_ILi2EjLb0EEEEviT0_T1_T2_T3_ ; -- Begin function _ZN2at6native12_GLOBAL__N_145unrolled_elementwise_kernel_for_multi_outputsILi2EZZZNS0_21prelu_backward_kernelERNS_14TensorIteratorEENKUlvE_clEvENKUlvE0_clEvEUlfffE_St5arrayIPcLm5EE16OffsetCalculatorILi3EjLb0EESB_ILi2EjLb0EEEEviT0_T1_T2_T3_
	.p2align	8
	.type	_ZN2at6native12_GLOBAL__N_145unrolled_elementwise_kernel_for_multi_outputsILi2EZZZNS0_21prelu_backward_kernelERNS_14TensorIteratorEENKUlvE_clEvENKUlvE0_clEvEUlfffE_St5arrayIPcLm5EE16OffsetCalculatorILi3EjLb0EESB_ILi2EjLb0EEEEviT0_T1_T2_T3_,@function
_ZN2at6native12_GLOBAL__N_145unrolled_elementwise_kernel_for_multi_outputsILi2EZZZNS0_21prelu_backward_kernelERNS_14TensorIteratorEENKUlvE_clEvENKUlvE0_clEvEUlfffE_St5arrayIPcLm5EE16OffsetCalculatorILi3EjLb0EESB_ILi2EjLb0EEEEviT0_T1_T2_T3_: ; @_ZN2at6native12_GLOBAL__N_145unrolled_elementwise_kernel_for_multi_outputsILi2EZZZNS0_21prelu_backward_kernelERNS_14TensorIteratorEENKUlvE_clEvENKUlvE0_clEvEUlfffE_St5arrayIPcLm5EE16OffsetCalculatorILi3EjLb0EESB_ILi2EjLb0EEEEviT0_T1_T2_T3_
; %bb.0:
	s_load_dwordx2 s[4:5], s[4:5], 0x4
	s_add_u32 s0, s0, s11
	s_addc_u32 s1, s1, 0
	v_and_b32_e32 v7, 0x3ff, v0
	v_bfe_u32 v2, v0, 10, 10
	s_waitcnt lgkmcnt(0)
	s_lshr_b32 s4, s4, 16
	s_mul_i32 s4, s4, s5
	v_mul_lo_u32 v1, s4, v7
	v_mad_u32_u24 v1, v2, s5, v1
	s_load_dword s4, s[6:7], 0x0
	s_load_dwordx8 s[16:23], s[6:7], 0x8
	s_load_dword s5, s[6:7], 0x2f4
	s_load_dwordx2 s[34:35], s[6:7], 0x28
	s_load_dwordx8 s[24:31], s[6:7], 0x1f4
	v_bfe_u32 v0, v0, 20, 10
	v_add_lshl_u32 v14, v1, v0, 5
	s_lshl_b32 s33, s10, 10
	s_waitcnt lgkmcnt(0)
	v_mov_b32_e32 v0, s5
	s_load_dwordx8 s[8:15], s[6:7], 0x214
	buffer_store_dword v0, off, s[0:3], 0 offset:752
	v_mov_b32_e32 v0, s31
	buffer_store_dword v0, off, s[0:3], 0 offset:524
	v_mov_b32_e32 v0, s30
	buffer_store_dword v0, off, s[0:3], 0 offset:520
	v_mov_b32_e32 v0, s29
	buffer_store_dword v0, off, s[0:3], 0 offset:516
	v_mov_b32_e32 v0, s28
	buffer_store_dword v0, off, s[0:3], 0 offset:512
	s_waitcnt lgkmcnt(0)
	v_mov_b32_e32 v0, s11
	buffer_store_dword v0, off, s[0:3], 0 offset:540
	v_mov_b32_e32 v0, s10
	buffer_store_dword v0, off, s[0:3], 0 offset:536
	v_mov_b32_e32 v0, s9
	buffer_store_dword v0, off, s[0:3], 0 offset:532
	v_mov_b32_e32 v0, s8
	s_load_dwordx8 s[40:47], s[6:7], 0x234
	buffer_store_dword v0, off, s[0:3], 0 offset:528
	v_mov_b32_e32 v0, s15
	buffer_store_dword v0, off, s[0:3], 0 offset:556
	v_mov_b32_e32 v0, s14
	buffer_store_dword v0, off, s[0:3], 0 offset:552
	v_mov_b32_e32 v0, s13
	buffer_store_dword v0, off, s[0:3], 0 offset:548
	v_mov_b32_e32 v0, s12
	buffer_store_dword v0, off, s[0:3], 0 offset:544
	s_waitcnt lgkmcnt(0)
	v_mov_b32_e32 v0, s43
	buffer_store_dword v0, off, s[0:3], 0 offset:572
	v_mov_b32_e32 v0, s42
	buffer_store_dword v0, off, s[0:3], 0 offset:568
	v_mov_b32_e32 v0, s41
	buffer_store_dword v0, off, s[0:3], 0 offset:564
	;; [unrolled: 18-line block ×7, first 2 shown]
	v_mov_b32_e32 v0, s8
	s_load_dwordx8 s[40:47], s[6:7], 0x1b4
	buffer_store_dword v0, off, s[0:3], 0 offset:720
	v_mov_b32_e32 v0, s15
	buffer_store_dword v0, off, s[0:3], 0 offset:748
	v_mov_b32_e32 v0, s14
	;; [unrolled: 2-line block ×4, first 2 shown]
	buffer_store_dword v0, off, s[0:3], 0 offset:736
	s_waitcnt lgkmcnt(0)
	v_mov_b32_e32 v0, s43
	buffer_store_dword v0, off, s[0:3], 0 offset:444
	v_mov_b32_e32 v0, s42
	buffer_store_dword v0, off, s[0:3], 0 offset:440
	v_mov_b32_e32 v0, s41
	s_load_dwordx8 s[8:15], s[6:7], 0x1d4
	buffer_store_dword v0, off, s[0:3], 0 offset:436
	v_mov_b32_e32 v0, s40
	buffer_store_dword v0, off, s[0:3], 0 offset:432
	v_mov_b32_e32 v0, s47
	;; [unrolled: 2-line block ×5, first 2 shown]
	buffer_store_dword v0, off, s[0:3], 0 offset:448
	s_waitcnt lgkmcnt(0)
	v_mov_b32_e32 v0, s11
	buffer_store_dword v0, off, s[0:3], 0 offset:476
	v_mov_b32_e32 v0, s10
	buffer_store_dword v0, off, s[0:3], 0 offset:472
	v_mov_b32_e32 v0, s9
	buffer_store_dword v0, off, s[0:3], 0 offset:468
	v_mov_b32_e32 v0, s8
	buffer_store_dword v0, off, s[0:3], 0 offset:464
	v_mov_b32_e32 v0, s15
	buffer_store_dword v0, off, s[0:3], 0 offset:492
	v_mov_b32_e32 v0, s14
	buffer_store_dword v0, off, s[0:3], 0 offset:488
	v_mov_b32_e32 v0, s13
	s_sub_i32 s38, s4, s33
	buffer_store_dword v0, off, s[0:3], 0 offset:484
	v_mov_b32_e32 v0, s12
	s_load_dword s4, s[6:7], 0x1b0
	buffer_store_dword v0, off, s[0:3], 0 offset:480
	v_mov_b32_e32 v0, s27
	s_load_dwordx8 s[8:15], s[6:7], 0xb0
	buffer_store_dword v0, off, s[0:3], 0 offset:508
	v_mov_b32_e32 v0, s26
	buffer_store_dword v0, off, s[0:3], 0 offset:504
	v_mov_b32_e32 v0, s25
	;; [unrolled: 2-line block ×3, first 2 shown]
	buffer_store_dword v0, off, s[0:3], 0 offset:496
	s_waitcnt lgkmcnt(0)
	v_mov_b32_e32 v0, s4
	s_load_dwordx8 s[24:31], s[6:7], 0xd0
	buffer_store_dword v0, off, s[0:3], 0 offset:428
	v_mov_b32_e32 v0, s15
	buffer_store_dword v0, off, s[0:3], 0 offset:200
	v_mov_b32_e32 v0, s14
	buffer_store_dword v0, off, s[0:3], 0 offset:196
	v_mov_b32_e32 v0, s13
	buffer_store_dword v0, off, s[0:3], 0 offset:192
	v_mov_b32_e32 v0, s12
	buffer_store_dword v0, off, s[0:3], 0 offset:188
	s_waitcnt lgkmcnt(0)
	v_mov_b32_e32 v0, s27
	buffer_store_dword v0, off, s[0:3], 0 offset:216
	v_mov_b32_e32 v0, s26
	buffer_store_dword v0, off, s[0:3], 0 offset:212
	v_mov_b32_e32 v0, s25
	buffer_store_dword v0, off, s[0:3], 0 offset:208
	v_mov_b32_e32 v0, s24
	s_load_dwordx8 s[40:47], s[6:7], 0xf0
	buffer_store_dword v0, off, s[0:3], 0 offset:204
	v_mov_b32_e32 v0, s31
	buffer_store_dword v0, off, s[0:3], 0 offset:232
	v_mov_b32_e32 v0, s30
	buffer_store_dword v0, off, s[0:3], 0 offset:228
	v_mov_b32_e32 v0, s29
	buffer_store_dword v0, off, s[0:3], 0 offset:224
	v_mov_b32_e32 v0, s28
	buffer_store_dword v0, off, s[0:3], 0 offset:220
	s_waitcnt lgkmcnt(0)
	v_mov_b32_e32 v0, s43
	buffer_store_dword v0, off, s[0:3], 0 offset:248
	v_mov_b32_e32 v0, s42
	buffer_store_dword v0, off, s[0:3], 0 offset:244
	v_mov_b32_e32 v0, s41
	buffer_store_dword v0, off, s[0:3], 0 offset:240
	;; [unrolled: 18-line block ×7, first 2 shown]
	v_mov_b32_e32 v0, s24
	s_load_dwordx8 s[40:47], s[6:7], 0x30
	buffer_store_dword v0, off, s[0:3], 0 offset:396
	v_mov_b32_e32 v0, s31
	buffer_store_dword v0, off, s[0:3], 0 offset:424
	v_mov_b32_e32 v0, s30
	;; [unrolled: 2-line block ×4, first 2 shown]
	buffer_store_dword v0, off, s[0:3], 0 offset:412
	s_waitcnt lgkmcnt(0)
	v_mov_b32_e32 v0, s43
	buffer_store_dword v0, off, s[0:3], 0 offset:56
	v_mov_b32_e32 v0, s42
	buffer_store_dword v0, off, s[0:3], 0 offset:52
	v_mov_b32_e32 v0, s41
	s_load_dwordx8 s[24:31], s[6:7], 0x50
	buffer_store_dword v0, off, s[0:3], 0 offset:48
	v_mov_b32_e32 v0, s40
	buffer_store_dword v0, off, s[0:3], 0 offset:44
	v_mov_b32_e32 v0, s47
	;; [unrolled: 2-line block ×5, first 2 shown]
	buffer_store_dword v0, off, s[0:3], 0 offset:60
	s_waitcnt lgkmcnt(0)
	v_mov_b32_e32 v0, s27
	buffer_store_dword v0, off, s[0:3], 0 offset:88
	v_mov_b32_e32 v0, s26
	buffer_store_dword v0, off, s[0:3], 0 offset:84
	v_mov_b32_e32 v0, s25
	buffer_store_dword v0, off, s[0:3], 0 offset:80
	v_mov_b32_e32 v0, s24
	s_load_dwordx8 s[40:47], s[6:7], 0x70
	buffer_store_dword v0, off, s[0:3], 0 offset:76
	v_mov_b32_e32 v0, s31
	buffer_store_dword v0, off, s[0:3], 0 offset:104
	v_mov_b32_e32 v0, s30
	;; [unrolled: 2-line block ×4, first 2 shown]
	buffer_store_dword v0, off, s[0:3], 0 offset:92
	s_waitcnt lgkmcnt(0)
	v_mov_b32_e32 v0, s43
	buffer_store_dword v0, off, s[0:3], 0 offset:120
	v_mov_b32_e32 v0, s42
	buffer_store_dword v0, off, s[0:3], 0 offset:116
	;; [unrolled: 2-line block ×3, first 2 shown]
	v_mov_b32_e32 v0, s40
	s_load_dwordx8 s[24:31], s[6:7], 0x90
	buffer_store_dword v0, off, s[0:3], 0 offset:108
	v_mov_b32_e32 v0, s47
	buffer_store_dword v0, off, s[0:3], 0 offset:136
	v_mov_b32_e32 v0, s46
	;; [unrolled: 2-line block ×4, first 2 shown]
	buffer_store_dword v0, off, s[0:3], 0 offset:124
	s_waitcnt lgkmcnt(0)
	v_mov_b32_e32 v0, s27
	buffer_store_dword v0, off, s[0:3], 0 offset:152
	v_mov_b32_e32 v0, s26
	buffer_store_dword v0, off, s[0:3], 0 offset:148
	;; [unrolled: 2-line block ×10, first 2 shown]
	v_mov_b32_e32 v0, s9
	s_mov_b32 s24, 0
	buffer_store_dword v0, off, s[0:3], 0 offset:176
	v_mov_b32_e32 v0, s8
	s_mov_b32 s25, s24
	buffer_store_dword v0, off, s[0:3], 0 offset:172
	s_mov_b32 s26, s24
	s_mov_b32 s27, s24
	v_pk_mov_b32 v[0:1], s[24:25], s[24:25] op_sel:[0,1]
	v_pk_mov_b32 v[2:3], s[26:27], s[26:27] op_sel:[0,1]
	ds_write_b128 v14, v[0:3]
	ds_write_b128 v14, v[0:3] offset:16
	v_mov_b32_e32 v1, 0
	v_cmp_gt_i32_e32 vcc, s38, v7
	buffer_store_dword v1, off, s[0:3], 0 offset:772
	buffer_store_dword v1, off, s[0:3], 0 offset:768
	;; [unrolled: 1-line block ×12, first 2 shown]
	s_and_saveexec_b64 s[14:15], vcc
	s_cbranch_execz .LBB60_16
; %bb.1:
	buffer_load_dword v0, off, s[0:3], 0 offset:44
	buffer_load_dword v9, off, s[0:3], 0 offset:48
	;; [unrolled: 1-line block ×13, first 2 shown]
	s_mov_b64 s[26:27], 0
	v_mov_b32_e32 v20, 0x300
	v_mov_b32_e32 v22, v7
	s_waitcnt vmcnt(12)
	v_add_u32_e32 v10, -1, v0
	v_cmp_ne_u32_e64 s[4:5], 0, v0
	v_cmp_lt_u32_e64 s[6:7], 1, v0
	v_min_u32_e32 v0, 15, v10
	v_cmp_lt_u32_e64 s[8:9], 1, v10
	v_add_u32_e32 v10, 1, v0
	v_and_b32_e32 v0, 1, v0
	v_and_b32_e32 v21, 30, v10
	v_cmp_eq_u32_e64 s[10:11], 0, v0
	s_branch .LBB60_4
.LBB60_2:                               ;   in Loop: Header=BB60_4 Depth=1
	s_or_b64 exec, exec, s[28:29]
.LBB60_3:                               ;   in Loop: Header=BB60_4 Depth=1
	s_or_b64 exec, exec, s[12:13]
	v_lshlrev_b64 v[24:25], 2, v[0:1]
	v_mov_b32_e32 v0, s21
	v_add_co_u32_e64 v24, s[12:13], s20, v24
	v_mov_b32_e32 v13, v1
	v_addc_co_u32_e64 v25, s[12:13], v0, v25, s[12:13]
	v_lshlrev_b64 v[12:13], 2, v[12:13]
	v_mov_b32_e32 v11, s23
	v_add_co_u32_e64 v12, s[12:13], s22, v12
	v_addc_co_u32_e64 v13, s[12:13], v11, v13, s[12:13]
	v_mov_b32_e32 v11, v1
	v_lshlrev_b64 v[10:11], 2, v[10:11]
	global_load_dword v0, v[24:25], off
	v_add_co_u32_e64 v10, s[12:13], s34, v10
	global_load_dword v12, v[12:13], off
	v_mov_b32_e32 v13, s35
	v_addc_co_u32_e64 v11, s[12:13], v13, v11, s[12:13]
	global_load_dword v10, v[10:11], off
	s_add_i32 s28, s24, 1
	s_mul_i32 s12, s24, 12
	v_add_u32_e32 v22, 0x100, v22
	s_cmp_gt_u32 s24, 2
	v_add_u32_e32 v11, s12, v20
	v_cmp_le_i32_e64 s[12:13], s38, v22
	s_cselect_b64 s[24:25], -1, 0
	s_or_b64 s[12:13], s[24:25], s[12:13]
	s_and_b64 s[12:13], exec, s[12:13]
	s_or_b64 s[26:27], s[12:13], s[26:27]
	s_mov_b32 s24, s28
	s_waitcnt vmcnt(2)
	buffer_store_dword v0, v11, s[0:3], 0 offen offset:8
	s_waitcnt vmcnt(2)
	buffer_store_dword v12, v11, s[0:3], 0 offen offset:4
	s_waitcnt vmcnt(2)
	buffer_store_dword v10, v11, s[0:3], 0 offen
	s_andn2_b64 exec, exec, s[26:27]
	s_cbranch_execz .LBB60_15
.LBB60_4:                               ; =>This Loop Header: Depth=1
                                        ;     Child Loop BB60_7 Depth 2
	v_add_u32_e32 v11, s33, v22
                                        ; implicit-def: $vgpr10
                                        ; implicit-def: $vgpr12
	s_and_saveexec_b64 s[12:13], s[8:9]
	s_xor_b64 s[28:29], exec, s[12:13]
	s_cbranch_execz .LBB60_12
; %bb.5:                                ;   in Loop: Header=BB60_4 Depth=1
	v_mov_b32_e32 v10, 0
	v_mov_b32_e32 v12, 0
	;; [unrolled: 1-line block ×3, first 2 shown]
	s_and_saveexec_b64 s[30:31], s[4:5]
	s_cbranch_execz .LBB60_11
; %bb.6:                                ;   in Loop: Header=BB60_4 Depth=1
	v_mov_b32_e32 v0, 0
	v_mov_b32_e32 v13, 0
	s_mov_b64 s[36:37], 0
	v_mov_b32_e32 v23, v21
	v_mov_b32_e32 v12, v0
	;; [unrolled: 1-line block ×3, first 2 shown]
.LBB60_7:                               ;   Parent Loop BB60_4 Depth=1
                                        ; =>  This Inner Loop Header: Depth=2
	buffer_load_dword v24, v13, s[0:3], 0 offen offset:52
	buffer_load_dword v25, v13, s[0:3], 0 offen offset:56
	;; [unrolled: 1-line block ×12, first 2 shown]
	v_add_u32_e32 v23, -2, v23
	v_cmp_eq_u32_e64 s[12:13], 0, v23
	v_add_u32_e32 v13, 24, v13
	s_or_b64 s[36:37], s[12:13], s[36:37]
	s_waitcnt vmcnt(11)
	v_mul_hi_u32 v24, v24, v11
	v_add_u32_e32 v24, v11, v24
	s_waitcnt vmcnt(10)
	v_lshrrev_b32_e32 v24, v25, v24
	s_waitcnt vmcnt(9)
	v_mul_lo_u32 v25, v24, v26
	s_waitcnt vmcnt(8)
	v_mul_hi_u32 v26, v27, v24
	v_sub_u32_e32 v11, v11, v25
	v_add_u32_e32 v25, v24, v26
	s_waitcnt vmcnt(7)
	v_mul_lo_u32 v26, v11, v28
	s_waitcnt vmcnt(6)
	v_mul_lo_u32 v27, v11, v29
	;; [unrolled: 2-line block ×3, first 2 shown]
	s_waitcnt vmcnt(4)
	v_lshrrev_b32_e32 v11, v31, v25
	s_waitcnt vmcnt(3)
	v_mul_lo_u32 v25, v11, v32
	v_sub_u32_e32 v24, v24, v25
	s_waitcnt vmcnt(2)
	v_mul_lo_u32 v25, v24, v33
	s_waitcnt vmcnt(1)
	v_mul_lo_u32 v29, v24, v34
	;; [unrolled: 2-line block ×3, first 2 shown]
	v_add3_u32 v0, v26, v0, v25
	v_add3_u32 v10, v28, v10, v24
	;; [unrolled: 1-line block ×3, first 2 shown]
	s_andn2_b64 exec, exec, s[36:37]
	s_cbranch_execnz .LBB60_7
; %bb.8:                                ;   in Loop: Header=BB60_4 Depth=1
	s_or_b64 exec, exec, s[36:37]
	s_and_saveexec_b64 s[12:13], s[10:11]
	s_cbranch_execz .LBB60_10
; %bb.9:                                ;   in Loop: Header=BB60_4 Depth=1
	buffer_load_dword v23, v13, s[0:3], 0 offen offset:52
	buffer_load_dword v24, v13, s[0:3], 0 offen offset:56
	;; [unrolled: 1-line block ×6, first 2 shown]
	s_waitcnt vmcnt(5)
	v_mul_hi_u32 v13, v23, v11
	v_add_u32_e32 v13, v11, v13
	s_waitcnt vmcnt(4)
	v_lshrrev_b32_e32 v13, v24, v13
	s_waitcnt vmcnt(3)
	v_mul_lo_u32 v13, v13, v25
	v_sub_u32_e32 v11, v11, v13
	s_waitcnt vmcnt(2)
	v_mad_u64_u32 v[24:25], s[36:37], v11, v26, v[0:1]
	s_waitcnt vmcnt(1)
	v_mad_u64_u32 v[12:13], s[36:37], v11, v27, v[12:13]
	;; [unrolled: 2-line block ×3, first 2 shown]
	v_mov_b32_e32 v0, v24
.LBB60_10:                              ;   in Loop: Header=BB60_4 Depth=1
	s_or_b64 exec, exec, s[12:13]
.LBB60_11:                              ;   in Loop: Header=BB60_4 Depth=1
	s_or_b64 exec, exec, s[30:31]
                                        ; implicit-def: $vgpr11
.LBB60_12:                              ;   in Loop: Header=BB60_4 Depth=1
	s_andn2_saveexec_b64 s[12:13], s[28:29]
	s_cbranch_execz .LBB60_3
; %bb.13:                               ;   in Loop: Header=BB60_4 Depth=1
	s_waitcnt vmcnt(10)
	v_mul_hi_u32 v0, v11, v2
	v_add_u32_e32 v0, v11, v0
	s_waitcnt vmcnt(9)
	v_lshrrev_b32_e32 v13, v15, v0
	v_mul_lo_u32 v0, v13, v9
	v_sub_u32_e32 v11, v11, v0
	s_waitcnt vmcnt(5)
	v_mul_lo_u32 v0, v11, v18
	s_waitcnt vmcnt(1)
	v_mul_lo_u32 v10, v11, v5
	;; [unrolled: 2-line block ×3, first 2 shown]
	s_and_saveexec_b64 s[28:29], s[6:7]
	s_cbranch_execz .LBB60_2
; %bb.14:                               ;   in Loop: Header=BB60_4 Depth=1
	v_mul_hi_u32 v11, v13, v4
	v_add_u32_e32 v11, v13, v11
	v_lshrrev_b32_e32 v11, v17, v11
	v_mul_lo_u32 v11, v11, v16
	v_sub_u32_e32 v11, v13, v11
	v_mad_u64_u32 v[24:25], s[30:31], v11, v19, v[0:1]
	v_mad_u64_u32 v[12:13], s[30:31], v11, v6, v[12:13]
	;; [unrolled: 1-line block ×3, first 2 shown]
	v_mov_b32_e32 v0, v24
	s_branch .LBB60_2
.LBB60_15:
	s_or_b64 exec, exec, s[26:27]
	buffer_load_dword v0, off, s[0:3], 0 offset:768
	buffer_load_dword v1, off, s[0:3], 0 offset:772
	;; [unrolled: 1-line block ×3, first 2 shown]
	s_waitcnt vmcnt(1)
	v_mul_f32_e32 v1, v1, v0
	s_waitcnt vmcnt(0)
	v_mul_f32_e32 v3, v2, v0
	v_cmp_lt_f32_e64 s[4:5], 0, v2
	v_cndmask_b32_e64 v0, v1, v0, s[4:5]
	v_cndmask_b32_e64 v1, v3, 0, s[4:5]
	ds_write_b64 v14, v[0:1]
.LBB60_16:
	s_or_b64 exec, exec, s[14:15]
	v_or_b32_e32 v0, 0x100, v7
	v_cmp_gt_i32_e64 s[4:5], s38, v0
	s_and_saveexec_b64 s[6:7], s[4:5]
	s_cbranch_execz .LBB60_18
; %bb.17:
	buffer_load_dword v0, off, s[0:3], 0 offset:780
	buffer_load_dword v1, off, s[0:3], 0 offset:784
	buffer_load_dword v2, off, s[0:3], 0 offset:788
	s_waitcnt vmcnt(1)
	v_mul_f32_e32 v1, v1, v0
	s_waitcnt vmcnt(0)
	v_mul_f32_e32 v3, v2, v0
	v_cmp_lt_f32_e64 s[4:5], 0, v2
	v_cndmask_b32_e64 v0, v1, v0, s[4:5]
	v_cndmask_b32_e64 v1, v3, 0, s[4:5]
	ds_write_b64 v14, v[0:1] offset:8
.LBB60_18:
	s_or_b64 exec, exec, s[6:7]
	v_or_b32_e32 v0, 0x200, v7
	v_cmp_gt_i32_e64 s[4:5], s38, v0
	s_and_saveexec_b64 s[6:7], s[4:5]
	s_cbranch_execz .LBB60_20
; %bb.19:
	buffer_load_dword v0, off, s[0:3], 0 offset:792
	buffer_load_dword v1, off, s[0:3], 0 offset:796
	buffer_load_dword v2, off, s[0:3], 0 offset:800
	s_waitcnt vmcnt(1)
	v_mul_f32_e32 v1, v1, v0
	s_waitcnt vmcnt(0)
	v_mul_f32_e32 v3, v2, v0
	v_cmp_lt_f32_e64 s[4:5], 0, v2
	v_cndmask_b32_e64 v0, v1, v0, s[4:5]
	v_cndmask_b32_e64 v1, v3, 0, s[4:5]
	ds_write_b64 v14, v[0:1] offset:16
.LBB60_20:
	s_or_b64 exec, exec, s[6:7]
	v_or_b32_e32 v0, 0x300, v7
	v_cmp_gt_i32_e64 s[4:5], s38, v0
	s_and_saveexec_b64 s[6:7], s[4:5]
	s_cbranch_execz .LBB60_22
; %bb.21:
	buffer_load_dword v0, off, s[0:3], 0 offset:804
	buffer_load_dword v1, off, s[0:3], 0 offset:808
	buffer_load_dword v2, off, s[0:3], 0 offset:812
	s_waitcnt vmcnt(1)
	v_mul_f32_e32 v1, v1, v0
	s_waitcnt vmcnt(0)
	v_mul_f32_e32 v3, v2, v0
	v_cmp_lt_f32_e64 s[4:5], 0, v2
	v_cndmask_b32_e64 v0, v1, v0, s[4:5]
	v_cndmask_b32_e64 v1, v3, 0, s[4:5]
	ds_write_b64 v14, v[0:1] offset:24
.LBB60_22:
	s_or_b64 exec, exec, s[6:7]
	s_and_saveexec_b64 s[4:5], vcc
	s_xor_b64 s[4:5], exec, s[4:5]
	s_cbranch_execz .LBB60_41
; %bb.23:
	buffer_load_dword v8, off, s[0:3], 0 offset:432
	buffer_load_dword v1, off, s[0:3], 0 offset:632
	;; [unrolled: 1-line block ×11, first 2 shown]
	v_mov_b32_e32 v18, 0
	s_mov_b32 s14, 0
	v_mov_b32_e32 v9, 0
	s_mov_b64 s[20:21], 0
	v_add_u32_e32 v19, 0x274, v18
	s_mov_b32 s30, 0
	s_waitcnt vmcnt(10)
	v_add_u32_e32 v10, -1, v8
	v_cmp_ne_u32_e32 vcc, 0, v8
	v_cmp_lt_u32_e64 s[4:5], 1, v8
	v_min_u32_e32 v8, 15, v10
	v_add_u32_e32 v8, 1, v8
	v_and_b32_e32 v20, 3, v8
	v_cmp_lt_u32_e64 s[6:7], 1, v10
	v_cmp_ne_u32_e64 s[8:9], 2, v10
	v_and_b32_e32 v21, 28, v8
	v_cmp_ne_u32_e64 s[10:11], 0, v20
	s_branch .LBB60_26
.LBB60_24:                              ;   in Loop: Header=BB60_26 Depth=1
	s_or_b64 exec, exec, s[22:23]
.LBB60_25:                              ;   in Loop: Header=BB60_26 Depth=1
	s_or_b64 exec, exec, s[12:13]
	v_lshl_add_u32 v11, s30, 3, v14
	v_lshlrev_b64 v[22:23], 2, v[8:9]
	ds_read_b64 v[12:13], v11
	v_mov_b32_e32 v8, s17
	v_add_co_u32_e64 v22, s[12:13], s16, v22
	v_mov_b32_e32 v11, v9
	v_addc_co_u32_e64 v23, s[12:13], v8, v23, s[12:13]
	v_lshlrev_b64 v[10:11], 2, v[10:11]
	v_mov_b32_e32 v8, s19
	v_add_co_u32_e64 v10, s[12:13], s18, v10
	s_add_i32 s15, s30, 1
	v_addc_co_u32_e64 v11, s[12:13], v8, v11, s[12:13]
	v_add_u32_e32 v7, 0x100, v7
	s_cmp_gt_u32 s30, 2
	s_cselect_b64 s[22:23], -1, 0
	v_cmp_le_i32_e64 s[12:13], s38, v7
	s_or_b64 s[12:13], s[22:23], s[12:13]
	s_and_b64 s[12:13], exec, s[12:13]
	s_or_b64 s[20:21], s[12:13], s[20:21]
	s_mov_b32 s30, s15
	s_waitcnt lgkmcnt(0)
	global_store_dword v[22:23], v12, off
	global_store_dword v[10:11], v13, off
	s_andn2_b64 exec, exec, s[20:21]
	s_cbranch_execz .LBB60_41
.LBB60_26:                              ; =>This Loop Header: Depth=1
                                        ;     Child Loop BB60_30 Depth 2
                                        ;     Child Loop BB60_34 Depth 2
	v_add_u32_e32 v11, s33, v7
                                        ; implicit-def: $vgpr10
	s_and_saveexec_b64 s[12:13], s[6:7]
	s_xor_b64 s[22:23], exec, s[12:13]
	s_cbranch_execz .LBB60_38
; %bb.27:                               ;   in Loop: Header=BB60_26 Depth=1
	v_mov_b32_e32 v10, 0
	v_mov_b32_e32 v8, 0
	s_and_saveexec_b64 s[24:25], vcc
	s_cbranch_execz .LBB60_37
; %bb.28:                               ;   in Loop: Header=BB60_26 Depth=1
	s_mov_b32 s15, s14
	v_pk_mov_b32 v[12:13], s[14:15], s[14:15] op_sel:[0,1]
	v_mov_b32_e32 v22, 0
                                        ; implicit-def: $vgpr10
	s_and_saveexec_b64 s[26:27], s[8:9]
	s_cbranch_execz .LBB60_32
; %bb.29:                               ;   in Loop: Header=BB60_26 Depth=1
	v_mov_b32_e32 v8, 0
	v_mov_b32_e32 v12, 0
	s_mov_b32 s15, 0
	s_mov_b64 s[28:29], 0
	v_mov_b32_e32 v13, v19
	v_mov_b32_e32 v10, v8
.LBB60_30:                              ;   Parent Loop BB60_26 Depth=1
                                        ; =>  This Inner Loop Header: Depth=2
	buffer_load_dword v22, v12, s[0:3], 0 offen offset:440
	buffer_load_dword v23, v12, s[0:3], 0 offen offset:444
	;; [unrolled: 1-line block ×5, first 2 shown]
	buffer_load_dword v27, v13, s[0:3], 0 offen
	buffer_load_dword v28, v12, s[0:3], 0 offen offset:456
	buffer_load_dword v29, v12, s[0:3], 0 offen offset:448
	;; [unrolled: 1-line block ×14, first 2 shown]
	s_add_i32 s15, s15, 4
	v_cmp_eq_u32_e64 s[12:13], s15, v21
	v_add_u32_e32 v13, 32, v13
	v_add_u32_e32 v12, 48, v12
	s_or_b64 s[28:29], s[12:13], s[28:29]
	s_waitcnt vmcnt(19)
	v_mul_hi_u32 v22, v22, v11
	v_add_u32_e32 v22, v11, v22
	s_waitcnt vmcnt(18)
	v_lshrrev_b32_e32 v22, v23, v22
	s_waitcnt vmcnt(17)
	v_mul_lo_u32 v23, v22, v24
	s_waitcnt vmcnt(16)
	v_mul_hi_u32 v24, v25, v22
	v_sub_u32_e32 v11, v11, v23
	v_add_u32_e32 v23, v22, v24
	s_waitcnt vmcnt(13)
	v_lshrrev_b32_e32 v23, v28, v23
	v_mul_lo_u32 v24, v11, v26
	s_waitcnt vmcnt(12)
	v_mul_lo_u32 v25, v23, v29
	s_waitcnt vmcnt(11)
	v_mul_hi_u32 v26, v30, v23
	v_sub_u32_e32 v22, v22, v25
	v_add_u32_e32 v25, v23, v26
	v_mul_lo_u32 v11, v11, v27
	s_waitcnt vmcnt(10)
	v_mul_lo_u32 v26, v22, v31
	s_waitcnt vmcnt(9)
	;; [unrolled: 2-line block ×3, first 2 shown]
	v_lshrrev_b32_e32 v25, v33, v25
	v_add3_u32 v8, v11, v8, v22
	s_waitcnt vmcnt(7)
	v_mul_lo_u32 v11, v25, v34
	s_waitcnt vmcnt(6)
	v_mul_hi_u32 v22, v35, v25
	v_sub_u32_e32 v11, v23, v11
	v_add_u32_e32 v22, v25, v22
	v_add3_u32 v10, v24, v10, v26
	s_waitcnt vmcnt(4)
	v_mul_lo_u32 v23, v11, v37
	s_waitcnt vmcnt(3)
	v_mul_lo_u32 v24, v11, v38
	s_waitcnt vmcnt(2)
	v_lshrrev_b32_e32 v11, v39, v22
	v_mul_lo_u32 v22, v11, v36
	v_sub_u32_e32 v22, v25, v22
	s_waitcnt vmcnt(1)
	v_mul_lo_u32 v25, v22, v40
	s_waitcnt vmcnt(0)
	v_mul_lo_u32 v22, v22, v41
	v_add3_u32 v10, v24, v10, v22
	v_add3_u32 v8, v23, v8, v25
	s_andn2_b64 exec, exec, s[28:29]
	s_cbranch_execnz .LBB60_30
; %bb.31:                               ;   in Loop: Header=BB60_26 Depth=1
	s_or_b64 exec, exec, s[28:29]
	v_mov_b32_e32 v12, v8
	v_mov_b32_e32 v13, v10
	;; [unrolled: 1-line block ×3, first 2 shown]
.LBB60_32:                              ;   in Loop: Header=BB60_26 Depth=1
	s_or_b64 exec, exec, s[26:27]
	s_and_saveexec_b64 s[26:27], s[10:11]
	s_cbranch_execz .LBB60_36
; %bb.33:                               ;   in Loop: Header=BB60_26 Depth=1
	v_lshl_add_u32 v8, v22, 3, v19
	v_mad_u32_u24 v10, v22, 12, v18
	s_mov_b64 s[28:29], 0
	v_mov_b32_e32 v22, v20
.LBB60_34:                              ;   Parent Loop BB60_26 Depth=1
                                        ; =>  This Inner Loop Header: Depth=2
	buffer_load_dword v23, v10, s[0:3], 0 offen offset:440
	buffer_load_dword v25, v10, s[0:3], 0 offen offset:436
	;; [unrolled: 1-line block ×4, first 2 shown]
	buffer_load_dword v28, v8, s[0:3], 0 offen
	v_mov_b32_e32 v24, v13
	v_add_u32_e32 v22, -1, v22
	v_cmp_eq_u32_e64 s[12:13], 0, v22
	s_or_b64 s[28:29], s[12:13], s[28:29]
	v_add_u32_e32 v8, 8, v8
	v_add_u32_e32 v10, 12, v10
	s_waitcnt vmcnt(4)
	v_mul_hi_u32 v13, v23, v11
	v_add_u32_e32 v13, v11, v13
	s_waitcnt vmcnt(2)
	v_lshrrev_b32_e32 v13, v26, v13
	v_mul_lo_u32 v23, v13, v25
	v_sub_u32_e32 v23, v11, v23
	v_mov_b32_e32 v11, v13
	s_waitcnt vmcnt(1)
	v_mad_u64_u32 v[24:25], s[12:13], v23, v27, v[24:25]
	s_waitcnt vmcnt(0)
	v_mad_u64_u32 v[12:13], s[12:13], v23, v28, v[12:13]
	v_mov_b32_e32 v13, v24
	s_andn2_b64 exec, exec, s[28:29]
	s_cbranch_execnz .LBB60_34
; %bb.35:                               ;   in Loop: Header=BB60_26 Depth=1
	s_or_b64 exec, exec, s[28:29]
	v_mov_b32_e32 v10, v13
	v_mov_b32_e32 v8, v12
.LBB60_36:                              ;   in Loop: Header=BB60_26 Depth=1
	s_or_b64 exec, exec, s[26:27]
.LBB60_37:                              ;   in Loop: Header=BB60_26 Depth=1
	s_or_b64 exec, exec, s[24:25]
                                        ; implicit-def: $vgpr11
.LBB60_38:                              ;   in Loop: Header=BB60_26 Depth=1
	s_andn2_saveexec_b64 s[12:13], s[22:23]
	s_cbranch_execz .LBB60_25
; %bb.39:                               ;   in Loop: Header=BB60_26 Depth=1
	s_waitcnt vmcnt(7)
	v_mul_hi_u32 v8, v11, v0
	v_add_u32_e32 v8, v11, v8
	s_waitcnt vmcnt(6)
	v_lshrrev_b32_e32 v12, v15, v8
	v_mul_lo_u32 v8, v12, v5
	v_sub_u32_e32 v8, v11, v8
	v_mul_lo_u32 v10, v8, v1
	s_waitcnt vmcnt(2)
	v_mul_lo_u32 v8, v8, v4
	s_and_saveexec_b64 s[22:23], s[4:5]
	s_cbranch_execz .LBB60_24
; %bb.40:                               ;   in Loop: Header=BB60_26 Depth=1
	v_mul_hi_u32 v11, v12, v2
	v_add_u32_e32 v11, v12, v11
	v_lshrrev_b32_e32 v11, v17, v11
	v_mul_lo_u32 v11, v11, v16
	v_sub_u32_e32 v11, v12, v11
	s_waitcnt vmcnt(0)
	v_mad_u64_u32 v[12:13], s[24:25], v11, v6, v[8:9]
	v_mad_u64_u32 v[10:11], s[24:25], v11, v3, v[10:11]
	v_mov_b32_e32 v8, v12
	s_branch .LBB60_24
.LBB60_41:
	s_endpgm
	.section	.rodata,"a",@progbits
	.p2align	6, 0x0
	.amdhsa_kernel _ZN2at6native12_GLOBAL__N_145unrolled_elementwise_kernel_for_multi_outputsILi2EZZZNS0_21prelu_backward_kernelERNS_14TensorIteratorEENKUlvE_clEvENKUlvE0_clEvEUlfffE_St5arrayIPcLm5EE16OffsetCalculatorILi3EjLb0EESB_ILi2EjLb0EEEEviT0_T1_T2_T3_
		.amdhsa_group_segment_fixed_size 8192
		.amdhsa_private_segment_fixed_size 832
		.amdhsa_kernarg_size 760
		.amdhsa_user_sgpr_count 10
		.amdhsa_user_sgpr_private_segment_buffer 1
		.amdhsa_user_sgpr_dispatch_ptr 1
		.amdhsa_user_sgpr_queue_ptr 0
		.amdhsa_user_sgpr_kernarg_segment_ptr 1
		.amdhsa_user_sgpr_dispatch_id 0
		.amdhsa_user_sgpr_flat_scratch_init 1
		.amdhsa_user_sgpr_kernarg_preload_length 0
		.amdhsa_user_sgpr_kernarg_preload_offset 0
		.amdhsa_user_sgpr_private_segment_size 0
		.amdhsa_uses_dynamic_stack 0
		.amdhsa_system_sgpr_private_segment_wavefront_offset 1
		.amdhsa_system_sgpr_workgroup_id_x 1
		.amdhsa_system_sgpr_workgroup_id_y 0
		.amdhsa_system_sgpr_workgroup_id_z 0
		.amdhsa_system_sgpr_workgroup_info 0
		.amdhsa_system_vgpr_workitem_id 2
		.amdhsa_next_free_vgpr 42
		.amdhsa_next_free_sgpr 48
		.amdhsa_accum_offset 44
		.amdhsa_reserve_vcc 1
		.amdhsa_reserve_flat_scratch 0
		.amdhsa_float_round_mode_32 0
		.amdhsa_float_round_mode_16_64 0
		.amdhsa_float_denorm_mode_32 3
		.amdhsa_float_denorm_mode_16_64 3
		.amdhsa_dx10_clamp 1
		.amdhsa_ieee_mode 1
		.amdhsa_fp16_overflow 0
		.amdhsa_tg_split 0
		.amdhsa_exception_fp_ieee_invalid_op 0
		.amdhsa_exception_fp_denorm_src 0
		.amdhsa_exception_fp_ieee_div_zero 0
		.amdhsa_exception_fp_ieee_overflow 0
		.amdhsa_exception_fp_ieee_underflow 0
		.amdhsa_exception_fp_ieee_inexact 0
		.amdhsa_exception_int_div_zero 0
	.end_amdhsa_kernel
	.section	.text._ZN2at6native12_GLOBAL__N_145unrolled_elementwise_kernel_for_multi_outputsILi2EZZZNS0_21prelu_backward_kernelERNS_14TensorIteratorEENKUlvE_clEvENKUlvE0_clEvEUlfffE_St5arrayIPcLm5EE16OffsetCalculatorILi3EjLb0EESB_ILi2EjLb0EEEEviT0_T1_T2_T3_,"axG",@progbits,_ZN2at6native12_GLOBAL__N_145unrolled_elementwise_kernel_for_multi_outputsILi2EZZZNS0_21prelu_backward_kernelERNS_14TensorIteratorEENKUlvE_clEvENKUlvE0_clEvEUlfffE_St5arrayIPcLm5EE16OffsetCalculatorILi3EjLb0EESB_ILi2EjLb0EEEEviT0_T1_T2_T3_,comdat
.Lfunc_end60:
	.size	_ZN2at6native12_GLOBAL__N_145unrolled_elementwise_kernel_for_multi_outputsILi2EZZZNS0_21prelu_backward_kernelERNS_14TensorIteratorEENKUlvE_clEvENKUlvE0_clEvEUlfffE_St5arrayIPcLm5EE16OffsetCalculatorILi3EjLb0EESB_ILi2EjLb0EEEEviT0_T1_T2_T3_, .Lfunc_end60-_ZN2at6native12_GLOBAL__N_145unrolled_elementwise_kernel_for_multi_outputsILi2EZZZNS0_21prelu_backward_kernelERNS_14TensorIteratorEENKUlvE_clEvENKUlvE0_clEvEUlfffE_St5arrayIPcLm5EE16OffsetCalculatorILi3EjLb0EESB_ILi2EjLb0EEEEviT0_T1_T2_T3_
                                        ; -- End function
	.section	.AMDGPU.csdata,"",@progbits
; Kernel info:
; codeLenInByte = 5364
; NumSgprs: 52
; NumVgprs: 42
; NumAgprs: 0
; TotalNumVgprs: 42
; ScratchSize: 832
; MemoryBound: 0
; FloatMode: 240
; IeeeMode: 1
; LDSByteSize: 8192 bytes/workgroup (compile time only)
; SGPRBlocks: 6
; VGPRBlocks: 5
; NumSGPRsForWavesPerEU: 52
; NumVGPRsForWavesPerEU: 42
; AccumOffset: 44
; Occupancy: 8
; WaveLimiterHint : 1
; COMPUTE_PGM_RSRC2:SCRATCH_EN: 1
; COMPUTE_PGM_RSRC2:USER_SGPR: 10
; COMPUTE_PGM_RSRC2:TRAP_HANDLER: 0
; COMPUTE_PGM_RSRC2:TGID_X_EN: 1
; COMPUTE_PGM_RSRC2:TGID_Y_EN: 0
; COMPUTE_PGM_RSRC2:TGID_Z_EN: 0
; COMPUTE_PGM_RSRC2:TIDIG_COMP_CNT: 2
; COMPUTE_PGM_RSRC3_GFX90A:ACCUM_OFFSET: 10
; COMPUTE_PGM_RSRC3_GFX90A:TG_SPLIT: 0
	.section	.text._ZN2at6native12_GLOBAL__N_145unrolled_elementwise_kernel_for_multi_outputsILi2EZZZNS0_21prelu_backward_kernelERNS_14TensorIteratorEENKUlvE_clEvENKUlvE1_clEvEUlN3c108BFloat16ES8_S8_E_St5arrayIPcLm5EE23TrivialOffsetCalculatorILi3EjESD_ILi2EjEEEviT0_T1_T2_T3_,"axG",@progbits,_ZN2at6native12_GLOBAL__N_145unrolled_elementwise_kernel_for_multi_outputsILi2EZZZNS0_21prelu_backward_kernelERNS_14TensorIteratorEENKUlvE_clEvENKUlvE1_clEvEUlN3c108BFloat16ES8_S8_E_St5arrayIPcLm5EE23TrivialOffsetCalculatorILi3EjESD_ILi2EjEEEviT0_T1_T2_T3_,comdat
	.globl	_ZN2at6native12_GLOBAL__N_145unrolled_elementwise_kernel_for_multi_outputsILi2EZZZNS0_21prelu_backward_kernelERNS_14TensorIteratorEENKUlvE_clEvENKUlvE1_clEvEUlN3c108BFloat16ES8_S8_E_St5arrayIPcLm5EE23TrivialOffsetCalculatorILi3EjESD_ILi2EjEEEviT0_T1_T2_T3_ ; -- Begin function _ZN2at6native12_GLOBAL__N_145unrolled_elementwise_kernel_for_multi_outputsILi2EZZZNS0_21prelu_backward_kernelERNS_14TensorIteratorEENKUlvE_clEvENKUlvE1_clEvEUlN3c108BFloat16ES8_S8_E_St5arrayIPcLm5EE23TrivialOffsetCalculatorILi3EjESD_ILi2EjEEEviT0_T1_T2_T3_
	.p2align	8
	.type	_ZN2at6native12_GLOBAL__N_145unrolled_elementwise_kernel_for_multi_outputsILi2EZZZNS0_21prelu_backward_kernelERNS_14TensorIteratorEENKUlvE_clEvENKUlvE1_clEvEUlN3c108BFloat16ES8_S8_E_St5arrayIPcLm5EE23TrivialOffsetCalculatorILi3EjESD_ILi2EjEEEviT0_T1_T2_T3_,@function
_ZN2at6native12_GLOBAL__N_145unrolled_elementwise_kernel_for_multi_outputsILi2EZZZNS0_21prelu_backward_kernelERNS_14TensorIteratorEENKUlvE_clEvENKUlvE1_clEvEUlN3c108BFloat16ES8_S8_E_St5arrayIPcLm5EE23TrivialOffsetCalculatorILi3EjESD_ILi2EjEEEviT0_T1_T2_T3_: ; @_ZN2at6native12_GLOBAL__N_145unrolled_elementwise_kernel_for_multi_outputsILi2EZZZNS0_21prelu_backward_kernelERNS_14TensorIteratorEENKUlvE_clEvENKUlvE1_clEvEUlN3c108BFloat16ES8_S8_E_St5arrayIPcLm5EE23TrivialOffsetCalculatorILi3EjESD_ILi2EjEEEviT0_T1_T2_T3_
; %bb.0:
	s_load_dwordx2 s[4:5], s[4:5], 0x4
	s_add_u32 s0, s0, s11
	s_addc_u32 s1, s1, 0
	v_and_b32_e32 v2, 0x3ff, v0
	s_load_dwordx8 s[12:19], s[6:7], 0x8
	s_load_dwordx2 s[20:21], s[6:7], 0x28
	s_waitcnt lgkmcnt(0)
	s_lshr_b32 s4, s4, 16
	s_mul_i32 s4, s4, s5
	v_mul_lo_u32 v1, s4, v2
	s_load_dword s4, s[6:7], 0x0
	v_bfe_u32 v3, v0, 10, 10
	v_mul_u32_u24_e32 v3, s5, v3
	v_bfe_u32 v0, v0, 20, 10
	s_lshl_b32 s22, s10, 10
	v_add3_u32 v0, v1, v3, v0
	s_waitcnt lgkmcnt(0)
	s_sub_i32 s23, s4, s22
	v_mov_b32_e32 v1, 0
	v_mul_lo_u32 v3, v0, 24
	s_mov_b32 s10, 0
	v_mov_b32_e32 v4, v1
	v_mov_b32_e32 v5, v1
	;; [unrolled: 1-line block ×4, first 2 shown]
	v_cmp_gt_i32_e32 vcc, s23, v2
	buffer_store_dword v1, off, s[0:3], 0 offset:4
	buffer_store_dword v1, off, s[0:3], 0
	v_mov_b32_e32 v0, v1
	buffer_store_dword v1, off, s[0:3], 0 offset:12
	buffer_store_dword v1, off, s[0:3], 0 offset:8
	ds_write_b128 v3, v[4:7]
	ds_write_b64 v3, v[0:1] offset:16
	s_and_saveexec_b64 s[8:9], vcc
	s_cbranch_execz .LBB61_8
; %bb.1:
	s_mov_b64 s[6:7], 0
	v_mov_b32_e32 v4, s17
	v_mov_b32_e32 v5, s19
	;; [unrolled: 1-line block ×3, first 2 shown]
	s_mov_b32 s11, 0x5040100
	v_mov_b32_e32 v7, v3
	v_mov_b32_e32 v8, v2
.LBB61_2:                               ; =>This Inner Loop Header: Depth=1
	v_add_u32_e32 v0, s22, v8
	v_lshlrev_b64 v[10:11], 1, v[0:1]
	v_add_co_u32_e64 v12, s[4:5], s16, v10
	v_addc_co_u32_e64 v13, s[4:5], v4, v11, s[4:5]
	v_add_co_u32_e64 v14, s[4:5], s18, v10
	v_addc_co_u32_e64 v15, s[4:5], v5, v11, s[4:5]
	;; [unrolled: 2-line block ×3, first 2 shown]
	global_load_ushort v0, v[14:15], off
	global_load_ushort v9, v[10:11], off
	;; [unrolled: 1-line block ×3, first 2 shown]
	s_add_i32 s17, s10, 1
	v_add_u32_e32 v8, 0x100, v8
	s_cmp_gt_u32 s10, 2
	v_cmp_le_i32_e64 s[4:5], s23, v8
	s_cselect_b64 s[24:25], -1, 0
	s_or_b64 s[4:5], s[24:25], s[4:5]
	s_and_b64 s[4:5], exec, s[4:5]
	s_mov_b32 s10, s17
	s_or_b64 s[6:7], s[4:5], s[6:7]
	s_waitcnt vmcnt(1)
	v_perm_b32 v0, v0, v9, s11
	s_waitcnt vmcnt(0)
	ds_write_b16 v7, v16 offset:4
	ds_write_b32 v7, v0
	v_add_u32_e32 v7, 6, v7
	s_andn2_b64 exec, exec, s[6:7]
	s_cbranch_execnz .LBB61_2
; %bb.3:
	s_or_b64 exec, exec, s[6:7]
	ds_read_u16 v0, v3 offset:4
	ds_read_u16 v4, v3
	s_waitcnt lgkmcnt(1)
	v_lshlrev_b32_e32 v0, 16, v0
	v_cmp_nlt_f32_e64 s[4:5], 0, v0
	s_waitcnt lgkmcnt(0)
	v_lshlrev_b32_e32 v1, 16, v4
	s_and_saveexec_b64 s[10:11], s[4:5]
	s_cbranch_execz .LBB61_5
; %bb.4:
	ds_read_u16 v4, v3 offset:2
	s_movk_i32 s6, 0x7fff
	v_mov_b32_e32 v5, 0x7fc0
	s_waitcnt lgkmcnt(0)
	v_lshlrev_b32_e32 v4, 16, v4
	v_mul_f32_e32 v4, v4, v1
	v_bfe_u32 v6, v4, 16, 1
	v_add3_u32 v6, v4, v6, s6
	v_lshrrev_b32_e32 v6, 16, v6
	v_cmp_o_f32_e64 s[6:7], v4, v4
	v_cndmask_b32_e64 v4, v5, v6, s[6:7]
.LBB61_5:
	s_or_b64 exec, exec, s[10:11]
	v_mov_b32_e32 v5, 0
	s_and_saveexec_b64 s[6:7], s[4:5]
; %bb.6:
	v_mul_f32_e32 v0, v0, v1
	v_bfe_u32 v1, v0, 16, 1
	s_movk_i32 s4, 0x7fff
	v_add3_u32 v1, v0, v1, s4
	v_and_b32_e32 v1, 0xffff0000, v1
	v_mov_b32_e32 v5, 0x7fc00000
	v_cmp_o_f32_e64 s[4:5], v0, v0
	v_cndmask_b32_e64 v5, v5, v1, s[4:5]
; %bb.7:
	s_or_b64 exec, exec, s[6:7]
	v_or_b32_e32 v0, v4, v5
	s_mov_b32 s4, 0xffff
	v_bfi_b32 v0, s4, v0, v5
	buffer_store_dword v0, off, s[0:3], 0
.LBB61_8:
	s_or_b64 exec, exec, s[8:9]
	v_or_b32_e32 v0, 0x100, v2
	v_cmp_gt_i32_e64 s[4:5], s23, v0
	s_and_saveexec_b64 s[8:9], s[4:5]
	s_cbranch_execz .LBB61_14
; %bb.9:
	ds_read_u16 v0, v3 offset:10
	ds_read_u16 v4, v3 offset:6
	s_waitcnt lgkmcnt(1)
	v_lshlrev_b32_e32 v0, 16, v0
	v_cmp_nlt_f32_e64 s[4:5], 0, v0
	s_waitcnt lgkmcnt(0)
	v_lshlrev_b32_e32 v1, 16, v4
	s_and_saveexec_b64 s[10:11], s[4:5]
	s_cbranch_execz .LBB61_11
; %bb.10:
	ds_read_u16 v4, v3 offset:8
	s_movk_i32 s6, 0x7fff
	v_mov_b32_e32 v5, 0x7fc0
	s_waitcnt lgkmcnt(0)
	v_lshlrev_b32_e32 v4, 16, v4
	v_mul_f32_e32 v4, v4, v1
	v_bfe_u32 v6, v4, 16, 1
	v_add3_u32 v6, v4, v6, s6
	v_lshrrev_b32_e32 v6, 16, v6
	v_cmp_o_f32_e64 s[6:7], v4, v4
	v_cndmask_b32_e64 v4, v5, v6, s[6:7]
.LBB61_11:
	s_or_b64 exec, exec, s[10:11]
	v_mov_b32_e32 v5, 0
	s_and_saveexec_b64 s[6:7], s[4:5]
; %bb.12:
	v_mul_f32_e32 v0, v0, v1
	v_bfe_u32 v1, v0, 16, 1
	s_movk_i32 s4, 0x7fff
	v_add3_u32 v1, v0, v1, s4
	v_and_b32_e32 v1, 0xffff0000, v1
	v_mov_b32_e32 v5, 0x7fc00000
	v_cmp_o_f32_e64 s[4:5], v0, v0
	v_cndmask_b32_e64 v5, v5, v1, s[4:5]
; %bb.13:
	s_or_b64 exec, exec, s[6:7]
	v_or_b32_e32 v0, v4, v5
	s_mov_b32 s4, 0xffff
	v_bfi_b32 v0, s4, v0, v5
	buffer_store_dword v0, off, s[0:3], 0 offset:4
.LBB61_14:
	s_or_b64 exec, exec, s[8:9]
	v_or_b32_e32 v0, 0x200, v2
	v_cmp_gt_i32_e64 s[4:5], s23, v0
	s_and_saveexec_b64 s[8:9], s[4:5]
	s_cbranch_execz .LBB61_20
; %bb.15:
	ds_read_u16 v0, v3 offset:16
	ds_read_u16 v4, v3 offset:12
	s_waitcnt lgkmcnt(1)
	v_lshlrev_b32_e32 v0, 16, v0
	v_cmp_nlt_f32_e64 s[4:5], 0, v0
	s_waitcnt lgkmcnt(0)
	v_lshlrev_b32_e32 v1, 16, v4
	s_and_saveexec_b64 s[10:11], s[4:5]
	s_cbranch_execz .LBB61_17
; %bb.16:
	ds_read_u16 v4, v3 offset:14
	s_movk_i32 s6, 0x7fff
	v_mov_b32_e32 v5, 0x7fc0
	s_waitcnt lgkmcnt(0)
	v_lshlrev_b32_e32 v4, 16, v4
	v_mul_f32_e32 v4, v4, v1
	v_bfe_u32 v6, v4, 16, 1
	v_add3_u32 v6, v4, v6, s6
	v_lshrrev_b32_e32 v6, 16, v6
	v_cmp_o_f32_e64 s[6:7], v4, v4
	v_cndmask_b32_e64 v4, v5, v6, s[6:7]
.LBB61_17:
	s_or_b64 exec, exec, s[10:11]
	v_mov_b32_e32 v5, 0
	s_and_saveexec_b64 s[6:7], s[4:5]
; %bb.18:
	v_mul_f32_e32 v0, v0, v1
	v_bfe_u32 v1, v0, 16, 1
	s_movk_i32 s4, 0x7fff
	v_add3_u32 v1, v0, v1, s4
	v_and_b32_e32 v1, 0xffff0000, v1
	v_mov_b32_e32 v5, 0x7fc00000
	v_cmp_o_f32_e64 s[4:5], v0, v0
	v_cndmask_b32_e64 v5, v5, v1, s[4:5]
; %bb.19:
	s_or_b64 exec, exec, s[6:7]
	v_or_b32_e32 v0, v4, v5
	s_mov_b32 s4, 0xffff
	v_bfi_b32 v0, s4, v0, v5
	buffer_store_dword v0, off, s[0:3], 0 offset:8
.LBB61_20:
	;; [unrolled: 47-line block ×3, first 2 shown]
	s_or_b64 exec, exec, s[8:9]
	s_and_saveexec_b64 s[4:5], vcc
	s_xor_b64 s[4:5], exec, s[4:5]
	s_cbranch_execz .LBB61_29
; %bb.27:
	v_mov_b32_e32 v3, 0
	s_mov_b32 s8, 0
	s_mov_b64 s[6:7], 0
	v_mov_b32_e32 v1, 0
	v_mov_b32_e32 v4, s13
	;; [unrolled: 1-line block ×3, first 2 shown]
.LBB61_28:                              ; =>This Inner Loop Header: Depth=1
	buffer_load_dword v10, v3, s[0:3], 0 offen
	v_add_u32_e32 v0, s22, v2
	s_add_i32 s4, s8, 1
	v_lshlrev_b64 v[6:7], 1, v[0:1]
	s_cmp_gt_u32 s8, 2
	s_mov_b32 s8, s4
	v_add_co_u32_e64 v8, s[4:5], s12, v6
	v_addc_co_u32_e64 v9, s[4:5], v4, v7, s[4:5]
	v_add_co_u32_e64 v6, s[4:5], s14, v6
	v_add_u32_e32 v2, 0x100, v2
	v_addc_co_u32_e64 v7, s[4:5], v5, v7, s[4:5]
	v_cmp_le_i32_e32 vcc, s23, v2
	s_cselect_b64 s[4:5], -1, 0
	s_or_b64 s[4:5], s[4:5], vcc
	s_and_b64 s[4:5], exec, s[4:5]
	v_add_u32_e32 v3, 4, v3
	s_or_b64 s[6:7], s[4:5], s[6:7]
	s_waitcnt vmcnt(0)
	global_store_short v[8:9], v10, off
	global_store_short_d16_hi v[6:7], v10, off
	s_andn2_b64 exec, exec, s[6:7]
	s_cbranch_execnz .LBB61_28
.LBB61_29:
	s_endpgm
	.section	.rodata,"a",@progbits
	.p2align	6, 0x0
	.amdhsa_kernel _ZN2at6native12_GLOBAL__N_145unrolled_elementwise_kernel_for_multi_outputsILi2EZZZNS0_21prelu_backward_kernelERNS_14TensorIteratorEENKUlvE_clEvENKUlvE1_clEvEUlN3c108BFloat16ES8_S8_E_St5arrayIPcLm5EE23TrivialOffsetCalculatorILi3EjESD_ILi2EjEEEviT0_T1_T2_T3_
		.amdhsa_group_segment_fixed_size 6144
		.amdhsa_private_segment_fixed_size 32
		.amdhsa_kernarg_size 52
		.amdhsa_user_sgpr_count 10
		.amdhsa_user_sgpr_private_segment_buffer 1
		.amdhsa_user_sgpr_dispatch_ptr 1
		.amdhsa_user_sgpr_queue_ptr 0
		.amdhsa_user_sgpr_kernarg_segment_ptr 1
		.amdhsa_user_sgpr_dispatch_id 0
		.amdhsa_user_sgpr_flat_scratch_init 1
		.amdhsa_user_sgpr_kernarg_preload_length 0
		.amdhsa_user_sgpr_kernarg_preload_offset 0
		.amdhsa_user_sgpr_private_segment_size 0
		.amdhsa_uses_dynamic_stack 0
		.amdhsa_system_sgpr_private_segment_wavefront_offset 1
		.amdhsa_system_sgpr_workgroup_id_x 1
		.amdhsa_system_sgpr_workgroup_id_y 0
		.amdhsa_system_sgpr_workgroup_id_z 0
		.amdhsa_system_sgpr_workgroup_info 0
		.amdhsa_system_vgpr_workitem_id 2
		.amdhsa_next_free_vgpr 17
		.amdhsa_next_free_sgpr 26
		.amdhsa_accum_offset 20
		.amdhsa_reserve_vcc 1
		.amdhsa_reserve_flat_scratch 0
		.amdhsa_float_round_mode_32 0
		.amdhsa_float_round_mode_16_64 0
		.amdhsa_float_denorm_mode_32 3
		.amdhsa_float_denorm_mode_16_64 3
		.amdhsa_dx10_clamp 1
		.amdhsa_ieee_mode 1
		.amdhsa_fp16_overflow 0
		.amdhsa_tg_split 0
		.amdhsa_exception_fp_ieee_invalid_op 0
		.amdhsa_exception_fp_denorm_src 0
		.amdhsa_exception_fp_ieee_div_zero 0
		.amdhsa_exception_fp_ieee_overflow 0
		.amdhsa_exception_fp_ieee_underflow 0
		.amdhsa_exception_fp_ieee_inexact 0
		.amdhsa_exception_int_div_zero 0
	.end_amdhsa_kernel
	.section	.text._ZN2at6native12_GLOBAL__N_145unrolled_elementwise_kernel_for_multi_outputsILi2EZZZNS0_21prelu_backward_kernelERNS_14TensorIteratorEENKUlvE_clEvENKUlvE1_clEvEUlN3c108BFloat16ES8_S8_E_St5arrayIPcLm5EE23TrivialOffsetCalculatorILi3EjESD_ILi2EjEEEviT0_T1_T2_T3_,"axG",@progbits,_ZN2at6native12_GLOBAL__N_145unrolled_elementwise_kernel_for_multi_outputsILi2EZZZNS0_21prelu_backward_kernelERNS_14TensorIteratorEENKUlvE_clEvENKUlvE1_clEvEUlN3c108BFloat16ES8_S8_E_St5arrayIPcLm5EE23TrivialOffsetCalculatorILi3EjESD_ILi2EjEEEviT0_T1_T2_T3_,comdat
.Lfunc_end61:
	.size	_ZN2at6native12_GLOBAL__N_145unrolled_elementwise_kernel_for_multi_outputsILi2EZZZNS0_21prelu_backward_kernelERNS_14TensorIteratorEENKUlvE_clEvENKUlvE1_clEvEUlN3c108BFloat16ES8_S8_E_St5arrayIPcLm5EE23TrivialOffsetCalculatorILi3EjESD_ILi2EjEEEviT0_T1_T2_T3_, .Lfunc_end61-_ZN2at6native12_GLOBAL__N_145unrolled_elementwise_kernel_for_multi_outputsILi2EZZZNS0_21prelu_backward_kernelERNS_14TensorIteratorEENKUlvE_clEvENKUlvE1_clEvEUlN3c108BFloat16ES8_S8_E_St5arrayIPcLm5EE23TrivialOffsetCalculatorILi3EjESD_ILi2EjEEEviT0_T1_T2_T3_
                                        ; -- End function
	.section	.AMDGPU.csdata,"",@progbits
; Kernel info:
; codeLenInByte = 1528
; NumSgprs: 30
; NumVgprs: 17
; NumAgprs: 0
; TotalNumVgprs: 17
; ScratchSize: 32
; MemoryBound: 0
; FloatMode: 240
; IeeeMode: 1
; LDSByteSize: 6144 bytes/workgroup (compile time only)
; SGPRBlocks: 3
; VGPRBlocks: 2
; NumSGPRsForWavesPerEU: 30
; NumVGPRsForWavesPerEU: 17
; AccumOffset: 20
; Occupancy: 8
; WaveLimiterHint : 0
; COMPUTE_PGM_RSRC2:SCRATCH_EN: 1
; COMPUTE_PGM_RSRC2:USER_SGPR: 10
; COMPUTE_PGM_RSRC2:TRAP_HANDLER: 0
; COMPUTE_PGM_RSRC2:TGID_X_EN: 1
; COMPUTE_PGM_RSRC2:TGID_Y_EN: 0
; COMPUTE_PGM_RSRC2:TGID_Z_EN: 0
; COMPUTE_PGM_RSRC2:TIDIG_COMP_CNT: 2
; COMPUTE_PGM_RSRC3_GFX90A:ACCUM_OFFSET: 4
; COMPUTE_PGM_RSRC3_GFX90A:TG_SPLIT: 0
	.section	.text._ZN2at6native12_GLOBAL__N_145unrolled_elementwise_kernel_for_multi_outputsILi2EZZZNS0_21prelu_backward_kernelERNS_14TensorIteratorEENKUlvE_clEvENKUlvE1_clEvEUlN3c108BFloat16ES8_S8_E_St5arrayIPcLm5EE16OffsetCalculatorILi3EjLb0EESD_ILi2EjLb0EEEEviT0_T1_T2_T3_,"axG",@progbits,_ZN2at6native12_GLOBAL__N_145unrolled_elementwise_kernel_for_multi_outputsILi2EZZZNS0_21prelu_backward_kernelERNS_14TensorIteratorEENKUlvE_clEvENKUlvE1_clEvEUlN3c108BFloat16ES8_S8_E_St5arrayIPcLm5EE16OffsetCalculatorILi3EjLb0EESD_ILi2EjLb0EEEEviT0_T1_T2_T3_,comdat
	.globl	_ZN2at6native12_GLOBAL__N_145unrolled_elementwise_kernel_for_multi_outputsILi2EZZZNS0_21prelu_backward_kernelERNS_14TensorIteratorEENKUlvE_clEvENKUlvE1_clEvEUlN3c108BFloat16ES8_S8_E_St5arrayIPcLm5EE16OffsetCalculatorILi3EjLb0EESD_ILi2EjLb0EEEEviT0_T1_T2_T3_ ; -- Begin function _ZN2at6native12_GLOBAL__N_145unrolled_elementwise_kernel_for_multi_outputsILi2EZZZNS0_21prelu_backward_kernelERNS_14TensorIteratorEENKUlvE_clEvENKUlvE1_clEvEUlN3c108BFloat16ES8_S8_E_St5arrayIPcLm5EE16OffsetCalculatorILi3EjLb0EESD_ILi2EjLb0EEEEviT0_T1_T2_T3_
	.p2align	8
	.type	_ZN2at6native12_GLOBAL__N_145unrolled_elementwise_kernel_for_multi_outputsILi2EZZZNS0_21prelu_backward_kernelERNS_14TensorIteratorEENKUlvE_clEvENKUlvE1_clEvEUlN3c108BFloat16ES8_S8_E_St5arrayIPcLm5EE16OffsetCalculatorILi3EjLb0EESD_ILi2EjLb0EEEEviT0_T1_T2_T3_,@function
_ZN2at6native12_GLOBAL__N_145unrolled_elementwise_kernel_for_multi_outputsILi2EZZZNS0_21prelu_backward_kernelERNS_14TensorIteratorEENKUlvE_clEvENKUlvE1_clEvEUlN3c108BFloat16ES8_S8_E_St5arrayIPcLm5EE16OffsetCalculatorILi3EjLb0EESD_ILi2EjLb0EEEEviT0_T1_T2_T3_: ; @_ZN2at6native12_GLOBAL__N_145unrolled_elementwise_kernel_for_multi_outputsILi2EZZZNS0_21prelu_backward_kernelERNS_14TensorIteratorEENKUlvE_clEvENKUlvE1_clEvEUlN3c108BFloat16ES8_S8_E_St5arrayIPcLm5EE16OffsetCalculatorILi3EjLb0EESD_ILi2EjLb0EEEEviT0_T1_T2_T3_
; %bb.0:
	s_load_dwordx2 s[4:5], s[4:5], 0x4
	s_add_u32 s0, s0, s11
	s_addc_u32 s1, s1, 0
	v_and_b32_e32 v7, 0x3ff, v0
	v_bfe_u32 v2, v0, 10, 10
	s_waitcnt lgkmcnt(0)
	s_lshr_b32 s4, s4, 16
	s_mul_i32 s4, s4, s5
	v_mul_lo_u32 v1, s4, v7
	v_mul_u32_u24_e32 v2, s5, v2
	s_load_dword s4, s[6:7], 0x0
	s_load_dwordx8 s[16:23], s[6:7], 0x8
	s_load_dword s5, s[6:7], 0x2f4
	s_load_dwordx2 s[34:35], s[6:7], 0x28
	s_load_dwordx8 s[24:31], s[6:7], 0x1f4
	v_bfe_u32 v0, v0, 20, 10
	v_add3_u32 v0, v1, v2, v0
	s_lshl_b32 s33, s10, 10
	s_waitcnt lgkmcnt(0)
	v_mov_b32_e32 v1, s5
	s_load_dwordx8 s[8:15], s[6:7], 0x214
	buffer_store_dword v1, off, s[0:3], 0 offset:752
	v_mov_b32_e32 v1, s31
	buffer_store_dword v1, off, s[0:3], 0 offset:524
	v_mov_b32_e32 v1, s30
	buffer_store_dword v1, off, s[0:3], 0 offset:520
	v_mov_b32_e32 v1, s29
	buffer_store_dword v1, off, s[0:3], 0 offset:516
	v_mov_b32_e32 v1, s28
	buffer_store_dword v1, off, s[0:3], 0 offset:512
	s_waitcnt lgkmcnt(0)
	v_mov_b32_e32 v1, s11
	buffer_store_dword v1, off, s[0:3], 0 offset:540
	v_mov_b32_e32 v1, s10
	buffer_store_dword v1, off, s[0:3], 0 offset:536
	v_mov_b32_e32 v1, s9
	buffer_store_dword v1, off, s[0:3], 0 offset:532
	v_mov_b32_e32 v1, s8
	s_load_dwordx8 s[40:47], s[6:7], 0x234
	buffer_store_dword v1, off, s[0:3], 0 offset:528
	v_mov_b32_e32 v1, s15
	buffer_store_dword v1, off, s[0:3], 0 offset:556
	v_mov_b32_e32 v1, s14
	buffer_store_dword v1, off, s[0:3], 0 offset:552
	v_mov_b32_e32 v1, s13
	buffer_store_dword v1, off, s[0:3], 0 offset:548
	v_mov_b32_e32 v1, s12
	buffer_store_dword v1, off, s[0:3], 0 offset:544
	s_waitcnt lgkmcnt(0)
	v_mov_b32_e32 v1, s43
	buffer_store_dword v1, off, s[0:3], 0 offset:572
	v_mov_b32_e32 v1, s42
	buffer_store_dword v1, off, s[0:3], 0 offset:568
	v_mov_b32_e32 v1, s41
	buffer_store_dword v1, off, s[0:3], 0 offset:564
	;; [unrolled: 18-line block ×7, first 2 shown]
	v_mov_b32_e32 v1, s8
	s_load_dwordx8 s[40:47], s[6:7], 0x1b4
	buffer_store_dword v1, off, s[0:3], 0 offset:720
	v_mov_b32_e32 v1, s15
	buffer_store_dword v1, off, s[0:3], 0 offset:748
	v_mov_b32_e32 v1, s14
	;; [unrolled: 2-line block ×4, first 2 shown]
	buffer_store_dword v1, off, s[0:3], 0 offset:736
	s_waitcnt lgkmcnt(0)
	v_mov_b32_e32 v1, s43
	buffer_store_dword v1, off, s[0:3], 0 offset:444
	v_mov_b32_e32 v1, s42
	buffer_store_dword v1, off, s[0:3], 0 offset:440
	v_mov_b32_e32 v1, s41
	s_load_dwordx8 s[8:15], s[6:7], 0x1d4
	buffer_store_dword v1, off, s[0:3], 0 offset:436
	v_mov_b32_e32 v1, s40
	buffer_store_dword v1, off, s[0:3], 0 offset:432
	v_mov_b32_e32 v1, s47
	;; [unrolled: 2-line block ×5, first 2 shown]
	buffer_store_dword v1, off, s[0:3], 0 offset:448
	s_waitcnt lgkmcnt(0)
	v_mov_b32_e32 v1, s11
	buffer_store_dword v1, off, s[0:3], 0 offset:476
	v_mov_b32_e32 v1, s10
	buffer_store_dword v1, off, s[0:3], 0 offset:472
	;; [unrolled: 2-line block ×6, first 2 shown]
	v_mov_b32_e32 v1, s13
	s_sub_i32 s36, s4, s33
	buffer_store_dword v1, off, s[0:3], 0 offset:484
	v_mov_b32_e32 v1, s12
	s_load_dword s4, s[6:7], 0x1b0
	buffer_store_dword v1, off, s[0:3], 0 offset:480
	v_mov_b32_e32 v1, s27
	s_load_dwordx8 s[8:15], s[6:7], 0xb0
	buffer_store_dword v1, off, s[0:3], 0 offset:508
	v_mov_b32_e32 v1, s26
	buffer_store_dword v1, off, s[0:3], 0 offset:504
	v_mov_b32_e32 v1, s25
	;; [unrolled: 2-line block ×3, first 2 shown]
	buffer_store_dword v1, off, s[0:3], 0 offset:496
	s_waitcnt lgkmcnt(0)
	v_mov_b32_e32 v1, s4
	s_load_dwordx8 s[24:31], s[6:7], 0xd0
	buffer_store_dword v1, off, s[0:3], 0 offset:428
	v_mov_b32_e32 v1, s15
	buffer_store_dword v1, off, s[0:3], 0 offset:200
	v_mov_b32_e32 v1, s14
	buffer_store_dword v1, off, s[0:3], 0 offset:196
	v_mov_b32_e32 v1, s13
	buffer_store_dword v1, off, s[0:3], 0 offset:192
	v_mov_b32_e32 v1, s12
	buffer_store_dword v1, off, s[0:3], 0 offset:188
	s_waitcnt lgkmcnt(0)
	v_mov_b32_e32 v1, s27
	buffer_store_dword v1, off, s[0:3], 0 offset:216
	v_mov_b32_e32 v1, s26
	buffer_store_dword v1, off, s[0:3], 0 offset:212
	v_mov_b32_e32 v1, s25
	buffer_store_dword v1, off, s[0:3], 0 offset:208
	v_mov_b32_e32 v1, s24
	s_load_dwordx8 s[40:47], s[6:7], 0xf0
	buffer_store_dword v1, off, s[0:3], 0 offset:204
	v_mov_b32_e32 v1, s31
	buffer_store_dword v1, off, s[0:3], 0 offset:232
	v_mov_b32_e32 v1, s30
	buffer_store_dword v1, off, s[0:3], 0 offset:228
	v_mov_b32_e32 v1, s29
	buffer_store_dword v1, off, s[0:3], 0 offset:224
	v_mov_b32_e32 v1, s28
	buffer_store_dword v1, off, s[0:3], 0 offset:220
	s_waitcnt lgkmcnt(0)
	v_mov_b32_e32 v1, s43
	buffer_store_dword v1, off, s[0:3], 0 offset:248
	v_mov_b32_e32 v1, s42
	buffer_store_dword v1, off, s[0:3], 0 offset:244
	v_mov_b32_e32 v1, s41
	buffer_store_dword v1, off, s[0:3], 0 offset:240
	;; [unrolled: 18-line block ×7, first 2 shown]
	v_mov_b32_e32 v1, s24
	s_load_dwordx8 s[40:47], s[6:7], 0x30
	buffer_store_dword v1, off, s[0:3], 0 offset:396
	v_mov_b32_e32 v1, s31
	buffer_store_dword v1, off, s[0:3], 0 offset:424
	v_mov_b32_e32 v1, s30
	;; [unrolled: 2-line block ×4, first 2 shown]
	buffer_store_dword v1, off, s[0:3], 0 offset:412
	s_waitcnt lgkmcnt(0)
	v_mov_b32_e32 v1, s43
	buffer_store_dword v1, off, s[0:3], 0 offset:56
	v_mov_b32_e32 v1, s42
	buffer_store_dword v1, off, s[0:3], 0 offset:52
	v_mov_b32_e32 v1, s41
	s_load_dwordx8 s[24:31], s[6:7], 0x50
	buffer_store_dword v1, off, s[0:3], 0 offset:48
	v_mov_b32_e32 v1, s40
	buffer_store_dword v1, off, s[0:3], 0 offset:44
	v_mov_b32_e32 v1, s47
	;; [unrolled: 2-line block ×5, first 2 shown]
	buffer_store_dword v1, off, s[0:3], 0 offset:60
	s_waitcnt lgkmcnt(0)
	v_mov_b32_e32 v1, s27
	buffer_store_dword v1, off, s[0:3], 0 offset:88
	v_mov_b32_e32 v1, s26
	buffer_store_dword v1, off, s[0:3], 0 offset:84
	;; [unrolled: 2-line block ×3, first 2 shown]
	v_mov_b32_e32 v1, s24
	s_load_dwordx8 s[40:47], s[6:7], 0x70
	buffer_store_dword v1, off, s[0:3], 0 offset:76
	v_mov_b32_e32 v1, s31
	buffer_store_dword v1, off, s[0:3], 0 offset:104
	v_mov_b32_e32 v1, s30
	;; [unrolled: 2-line block ×4, first 2 shown]
	buffer_store_dword v1, off, s[0:3], 0 offset:92
	s_waitcnt lgkmcnt(0)
	v_mov_b32_e32 v1, s43
	buffer_store_dword v1, off, s[0:3], 0 offset:120
	v_mov_b32_e32 v1, s42
	buffer_store_dword v1, off, s[0:3], 0 offset:116
	v_mov_b32_e32 v1, s41
	buffer_store_dword v1, off, s[0:3], 0 offset:112
	v_mov_b32_e32 v1, s40
	s_load_dwordx8 s[24:31], s[6:7], 0x90
	buffer_store_dword v1, off, s[0:3], 0 offset:108
	v_mov_b32_e32 v1, s47
	buffer_store_dword v1, off, s[0:3], 0 offset:136
	v_mov_b32_e32 v1, s46
	buffer_store_dword v1, off, s[0:3], 0 offset:132
	v_mov_b32_e32 v1, s45
	buffer_store_dword v1, off, s[0:3], 0 offset:128
	v_mov_b32_e32 v1, s44
	buffer_store_dword v1, off, s[0:3], 0 offset:124
	s_waitcnt lgkmcnt(0)
	v_mov_b32_e32 v1, s27
	buffer_store_dword v1, off, s[0:3], 0 offset:152
	v_mov_b32_e32 v1, s26
	buffer_store_dword v1, off, s[0:3], 0 offset:148
	;; [unrolled: 2-line block ×10, first 2 shown]
	v_mov_b32_e32 v1, s9
	v_mov_b32_e32 v3, 0
	v_mul_lo_u32 v0, v0, 24
	buffer_store_dword v1, off, s[0:3], 0 offset:176
	v_mov_b32_e32 v1, s8
	s_mov_b32 s37, 0
	v_mov_b32_e32 v8, v3
	v_mov_b32_e32 v9, v3
	;; [unrolled: 1-line block ×4, first 2 shown]
	v_cmp_gt_i32_e32 vcc, s36, v7
	buffer_store_dword v1, off, s[0:3], 0 offset:172
	buffer_store_dword v3, off, s[0:3], 0 offset:772
	;; [unrolled: 1-line block ×3, first 2 shown]
	v_mov_b32_e32 v2, v3
	buffer_store_dword v3, off, s[0:3], 0 offset:780
	buffer_store_dword v3, off, s[0:3], 0 offset:776
	ds_write_b128 v0, v[8:11]
	ds_write_b64 v0, v[2:3] offset:16
	s_and_saveexec_b64 s[14:15], vcc
	s_cbranch_execz .LBB62_20
; %bb.1:
	buffer_load_dword v2, off, s[0:3], 0 offset:44
	buffer_load_dword v9, off, s[0:3], 0 offset:48
	;; [unrolled: 1-line block ×13, first 2 shown]
	s_mov_b64 s[24:25], 0
	s_mov_b32 s38, 0x5040100
	v_mov_b32_e32 v21, v7
	s_waitcnt vmcnt(12)
	v_add_u32_e32 v12, -1, v2
	v_cmp_ne_u32_e64 s[4:5], 0, v2
	v_cmp_lt_u32_e64 s[6:7], 1, v2
	v_min_u32_e32 v2, 15, v12
	v_cmp_lt_u32_e64 s[8:9], 1, v12
	v_add_u32_e32 v12, 1, v2
	v_and_b32_e32 v2, 1, v2
	v_and_b32_e32 v20, 30, v12
	v_cmp_eq_u32_e64 s[10:11], 0, v2
	s_branch .LBB62_4
.LBB62_2:                               ;   in Loop: Header=BB62_4 Depth=1
	s_or_b64 exec, exec, s[26:27]
.LBB62_3:                               ;   in Loop: Header=BB62_4 Depth=1
	s_or_b64 exec, exec, s[12:13]
	v_lshlrev_b64 v[22:23], 1, v[2:3]
	v_mov_b32_e32 v2, s21
	v_add_co_u32_e64 v22, s[12:13], s20, v22
	v_mov_b32_e32 v15, v3
	v_addc_co_u32_e64 v23, s[12:13], v2, v23, s[12:13]
	v_lshlrev_b64 v[14:15], 1, v[14:15]
	v_mov_b32_e32 v13, s23
	v_add_co_u32_e64 v14, s[12:13], s22, v14
	v_addc_co_u32_e64 v15, s[12:13], v13, v15, s[12:13]
	v_mov_b32_e32 v13, v3
	v_lshlrev_b64 v[12:13], 1, v[12:13]
	global_load_ushort v14, v[14:15], off
	v_mov_b32_e32 v15, s35
	v_add_co_u32_e64 v12, s[12:13], s34, v12
	v_addc_co_u32_e64 v13, s[12:13], v15, v13, s[12:13]
	global_load_ushort v2, v[22:23], off
	global_load_ushort v15, v[12:13], off
	s_add_i32 s28, s37, 1
	s_waitcnt vmcnt(7)
	v_mad_u64_u32 v[12:13], s[12:13], s37, 6, v[0:1]
	v_add_u32_e32 v21, 0x100, v21
	s_cmp_gt_u32 s37, 2
	v_cmp_le_i32_e64 s[12:13], s36, v21
	s_cselect_b64 s[26:27], -1, 0
	s_or_b64 s[12:13], s[26:27], s[12:13]
	s_and_b64 s[12:13], exec, s[12:13]
	s_or_b64 s[24:25], s[12:13], s[24:25]
	s_mov_b32 s37, s28
	s_waitcnt vmcnt(1)
	ds_write_b16 v12, v2 offset:4
	s_waitcnt vmcnt(0)
	v_perm_b32 v2, v14, v15, s38
	ds_write_b32 v12, v2
	s_andn2_b64 exec, exec, s[24:25]
	s_cbranch_execz .LBB62_15
.LBB62_4:                               ; =>This Loop Header: Depth=1
                                        ;     Child Loop BB62_7 Depth 2
	v_add_u32_e32 v13, s33, v21
                                        ; implicit-def: $vgpr12
                                        ; implicit-def: $vgpr14
	s_and_saveexec_b64 s[12:13], s[8:9]
	s_xor_b64 s[26:27], exec, s[12:13]
	s_cbranch_execz .LBB62_12
; %bb.5:                                ;   in Loop: Header=BB62_4 Depth=1
	v_mov_b32_e32 v12, 0
	v_mov_b32_e32 v14, 0
	;; [unrolled: 1-line block ×3, first 2 shown]
	s_and_saveexec_b64 s[28:29], s[4:5]
	s_cbranch_execz .LBB62_11
; %bb.6:                                ;   in Loop: Header=BB62_4 Depth=1
	v_mov_b32_e32 v2, 0
	v_mov_b32_e32 v15, 0
	s_mov_b64 s[30:31], 0
	v_mov_b32_e32 v22, v20
	v_mov_b32_e32 v14, v2
	;; [unrolled: 1-line block ×3, first 2 shown]
.LBB62_7:                               ;   Parent Loop BB62_4 Depth=1
                                        ; =>  This Inner Loop Header: Depth=2
	buffer_load_dword v23, v15, s[0:3], 0 offen offset:52
	buffer_load_dword v24, v15, s[0:3], 0 offen offset:56
	;; [unrolled: 1-line block ×12, first 2 shown]
	v_add_u32_e32 v22, -2, v22
	v_cmp_eq_u32_e64 s[12:13], 0, v22
	v_add_u32_e32 v15, 24, v15
	s_or_b64 s[30:31], s[12:13], s[30:31]
	s_waitcnt vmcnt(11)
	v_mul_hi_u32 v23, v23, v13
	v_add_u32_e32 v23, v13, v23
	s_waitcnt vmcnt(10)
	v_lshrrev_b32_e32 v23, v24, v23
	s_waitcnt vmcnt(9)
	v_mul_lo_u32 v24, v23, v25
	s_waitcnt vmcnt(8)
	v_mul_hi_u32 v25, v26, v23
	v_sub_u32_e32 v13, v13, v24
	v_add_u32_e32 v24, v23, v25
	s_waitcnt vmcnt(7)
	v_mul_lo_u32 v25, v13, v27
	s_waitcnt vmcnt(6)
	v_mul_lo_u32 v26, v13, v28
	;; [unrolled: 2-line block ×3, first 2 shown]
	s_waitcnt vmcnt(4)
	v_lshrrev_b32_e32 v13, v30, v24
	s_waitcnt vmcnt(3)
	v_mul_lo_u32 v24, v13, v31
	v_sub_u32_e32 v23, v23, v24
	s_waitcnt vmcnt(2)
	v_mul_lo_u32 v24, v23, v32
	s_waitcnt vmcnt(1)
	v_mul_lo_u32 v28, v23, v33
	;; [unrolled: 2-line block ×3, first 2 shown]
	v_add3_u32 v2, v25, v2, v24
	v_add3_u32 v12, v27, v12, v23
	;; [unrolled: 1-line block ×3, first 2 shown]
	s_andn2_b64 exec, exec, s[30:31]
	s_cbranch_execnz .LBB62_7
; %bb.8:                                ;   in Loop: Header=BB62_4 Depth=1
	s_or_b64 exec, exec, s[30:31]
	s_and_saveexec_b64 s[12:13], s[10:11]
	s_cbranch_execz .LBB62_10
; %bb.9:                                ;   in Loop: Header=BB62_4 Depth=1
	buffer_load_dword v22, v15, s[0:3], 0 offen offset:52
	buffer_load_dword v23, v15, s[0:3], 0 offen offset:56
	;; [unrolled: 1-line block ×6, first 2 shown]
	s_waitcnt vmcnt(5)
	v_mul_hi_u32 v15, v22, v13
	v_add_u32_e32 v15, v13, v15
	s_waitcnt vmcnt(4)
	v_lshrrev_b32_e32 v15, v23, v15
	s_waitcnt vmcnt(3)
	v_mul_lo_u32 v15, v15, v24
	v_sub_u32_e32 v13, v13, v15
	s_waitcnt vmcnt(2)
	v_mad_u64_u32 v[22:23], s[30:31], v13, v25, v[2:3]
	s_waitcnt vmcnt(1)
	v_mad_u64_u32 v[14:15], s[30:31], v13, v26, v[14:15]
	;; [unrolled: 2-line block ×3, first 2 shown]
	v_mov_b32_e32 v2, v22
.LBB62_10:                              ;   in Loop: Header=BB62_4 Depth=1
	s_or_b64 exec, exec, s[12:13]
.LBB62_11:                              ;   in Loop: Header=BB62_4 Depth=1
	s_or_b64 exec, exec, s[28:29]
                                        ; implicit-def: $vgpr13
.LBB62_12:                              ;   in Loop: Header=BB62_4 Depth=1
	s_andn2_saveexec_b64 s[12:13], s[26:27]
	s_cbranch_execz .LBB62_3
; %bb.13:                               ;   in Loop: Header=BB62_4 Depth=1
	s_waitcnt vmcnt(10)
	v_mul_hi_u32 v2, v13, v4
	v_add_u32_e32 v2, v13, v2
	s_waitcnt vmcnt(9)
	v_lshrrev_b32_e32 v15, v11, v2
	v_mul_lo_u32 v2, v15, v9
	v_sub_u32_e32 v13, v13, v2
	s_waitcnt vmcnt(5)
	v_mul_lo_u32 v2, v13, v18
	s_waitcnt vmcnt(1)
	v_mul_lo_u32 v12, v13, v5
	s_waitcnt vmcnt(0)
	v_mul_lo_u32 v14, v13, v10
	s_and_saveexec_b64 s[26:27], s[6:7]
	s_cbranch_execz .LBB62_2
; %bb.14:                               ;   in Loop: Header=BB62_4 Depth=1
	v_mul_hi_u32 v13, v15, v6
	v_add_u32_e32 v13, v15, v13
	v_lshrrev_b32_e32 v13, v17, v13
	v_mul_lo_u32 v13, v13, v16
	v_sub_u32_e32 v13, v15, v13
	v_mad_u64_u32 v[22:23], s[28:29], v13, v19, v[2:3]
	v_mad_u64_u32 v[14:15], s[28:29], v13, v8, v[14:15]
	v_mad_u64_u32 v[12:13], s[28:29], v13, v1, v[12:13]
	v_mov_b32_e32 v2, v22
	s_branch .LBB62_2
.LBB62_15:
	s_or_b64 exec, exec, s[24:25]
	ds_read_u16 v1, v0 offset:4
	ds_read_u16 v3, v0
	s_waitcnt lgkmcnt(1)
	v_lshlrev_b32_e32 v1, 16, v1
	v_cmp_nlt_f32_e64 s[4:5], 0, v1
	s_waitcnt lgkmcnt(0)
	v_lshlrev_b32_e32 v2, 16, v3
	s_and_saveexec_b64 s[8:9], s[4:5]
	s_cbranch_execz .LBB62_17
; %bb.16:
	ds_read_u16 v3, v0 offset:2
	s_movk_i32 s6, 0x7fff
	v_mov_b32_e32 v4, 0x7fc0
	s_waitcnt lgkmcnt(0)
	v_lshlrev_b32_e32 v3, 16, v3
	v_mul_f32_e32 v3, v3, v2
	v_bfe_u32 v5, v3, 16, 1
	v_add3_u32 v5, v3, v5, s6
	v_lshrrev_b32_e32 v5, 16, v5
	v_cmp_o_f32_e64 s[6:7], v3, v3
	v_cndmask_b32_e64 v3, v4, v5, s[6:7]
.LBB62_17:
	s_or_b64 exec, exec, s[8:9]
	v_mov_b32_e32 v4, 0
	s_and_saveexec_b64 s[6:7], s[4:5]
; %bb.18:
	v_mul_f32_e32 v1, v1, v2
	v_bfe_u32 v2, v1, 16, 1
	s_movk_i32 s4, 0x7fff
	v_add3_u32 v2, v1, v2, s4
	v_and_b32_e32 v2, 0xffff0000, v2
	v_mov_b32_e32 v4, 0x7fc00000
	v_cmp_o_f32_e64 s[4:5], v1, v1
	v_cndmask_b32_e64 v4, v4, v2, s[4:5]
; %bb.19:
	s_or_b64 exec, exec, s[6:7]
	v_or_b32_e32 v1, v3, v4
	s_mov_b32 s4, 0xffff
	v_bfi_b32 v1, s4, v1, v4
	buffer_store_dword v1, off, s[0:3], 0 offset:768
.LBB62_20:
	s_or_b64 exec, exec, s[14:15]
	v_or_b32_e32 v1, 0x100, v7
	v_cmp_gt_i32_e64 s[4:5], s36, v1
	s_and_saveexec_b64 s[8:9], s[4:5]
	s_cbranch_execz .LBB62_26
; %bb.21:
	ds_read_u16 v1, v0 offset:10
	ds_read_u16 v3, v0 offset:6
	s_waitcnt lgkmcnt(1)
	v_lshlrev_b32_e32 v1, 16, v1
	v_cmp_nlt_f32_e64 s[4:5], 0, v1
	s_waitcnt lgkmcnt(0)
	v_lshlrev_b32_e32 v2, 16, v3
	s_and_saveexec_b64 s[10:11], s[4:5]
	s_cbranch_execz .LBB62_23
; %bb.22:
	ds_read_u16 v3, v0 offset:8
	s_movk_i32 s6, 0x7fff
	v_mov_b32_e32 v4, 0x7fc0
	s_waitcnt lgkmcnt(0)
	v_lshlrev_b32_e32 v3, 16, v3
	v_mul_f32_e32 v3, v3, v2
	v_bfe_u32 v5, v3, 16, 1
	v_add3_u32 v5, v3, v5, s6
	v_lshrrev_b32_e32 v5, 16, v5
	v_cmp_o_f32_e64 s[6:7], v3, v3
	v_cndmask_b32_e64 v3, v4, v5, s[6:7]
.LBB62_23:
	s_or_b64 exec, exec, s[10:11]
	v_mov_b32_e32 v4, 0
	s_and_saveexec_b64 s[6:7], s[4:5]
; %bb.24:
	v_mul_f32_e32 v1, v1, v2
	v_bfe_u32 v2, v1, 16, 1
	s_movk_i32 s4, 0x7fff
	v_add3_u32 v2, v1, v2, s4
	v_and_b32_e32 v2, 0xffff0000, v2
	v_mov_b32_e32 v4, 0x7fc00000
	v_cmp_o_f32_e64 s[4:5], v1, v1
	v_cndmask_b32_e64 v4, v4, v2, s[4:5]
; %bb.25:
	s_or_b64 exec, exec, s[6:7]
	v_or_b32_e32 v1, v3, v4
	s_mov_b32 s4, 0xffff
	v_bfi_b32 v1, s4, v1, v4
	buffer_store_dword v1, off, s[0:3], 0 offset:772
.LBB62_26:
	s_or_b64 exec, exec, s[8:9]
	v_or_b32_e32 v1, 0x200, v7
	v_cmp_gt_i32_e64 s[4:5], s36, v1
	s_and_saveexec_b64 s[8:9], s[4:5]
	s_cbranch_execz .LBB62_32
; %bb.27:
	ds_read_u16 v1, v0 offset:16
	ds_read_u16 v3, v0 offset:12
	s_waitcnt lgkmcnt(1)
	v_lshlrev_b32_e32 v1, 16, v1
	v_cmp_nlt_f32_e64 s[4:5], 0, v1
	s_waitcnt lgkmcnt(0)
	v_lshlrev_b32_e32 v2, 16, v3
	s_and_saveexec_b64 s[10:11], s[4:5]
	s_cbranch_execz .LBB62_29
; %bb.28:
	ds_read_u16 v3, v0 offset:14
	s_movk_i32 s6, 0x7fff
	v_mov_b32_e32 v4, 0x7fc0
	s_waitcnt lgkmcnt(0)
	v_lshlrev_b32_e32 v3, 16, v3
	v_mul_f32_e32 v3, v3, v2
	v_bfe_u32 v5, v3, 16, 1
	v_add3_u32 v5, v3, v5, s6
	v_lshrrev_b32_e32 v5, 16, v5
	v_cmp_o_f32_e64 s[6:7], v3, v3
	v_cndmask_b32_e64 v3, v4, v5, s[6:7]
.LBB62_29:
	s_or_b64 exec, exec, s[10:11]
	v_mov_b32_e32 v4, 0
	s_and_saveexec_b64 s[6:7], s[4:5]
; %bb.30:
	v_mul_f32_e32 v1, v1, v2
	v_bfe_u32 v2, v1, 16, 1
	s_movk_i32 s4, 0x7fff
	v_add3_u32 v2, v1, v2, s4
	v_and_b32_e32 v2, 0xffff0000, v2
	v_mov_b32_e32 v4, 0x7fc00000
	v_cmp_o_f32_e64 s[4:5], v1, v1
	v_cndmask_b32_e64 v4, v4, v2, s[4:5]
; %bb.31:
	s_or_b64 exec, exec, s[6:7]
	v_or_b32_e32 v1, v3, v4
	s_mov_b32 s4, 0xffff
	v_bfi_b32 v1, s4, v1, v4
	buffer_store_dword v1, off, s[0:3], 0 offset:776
.LBB62_32:
	;; [unrolled: 47-line block ×3, first 2 shown]
	s_or_b64 exec, exec, s[8:9]
	s_and_saveexec_b64 s[4:5], vcc
	s_xor_b64 s[4:5], exec, s[4:5]
	s_cbranch_execz .LBB62_57
; %bb.39:
	buffer_load_dword v8, off, s[0:3], 0 offset:432
	buffer_load_dword v1, off, s[0:3], 0 offset:632
	;; [unrolled: 1-line block ×11, first 2 shown]
	v_mov_b32_e32 v17, 0
	s_mov_b32 s20, 0
	v_mov_b32_e32 v9, 0
	s_mov_b64 s[22:23], 0
	v_mov_b32_e32 v18, 0x300
	v_add_u32_e32 v19, 0x274, v17
	s_mov_b32 s30, 0
	s_waitcnt vmcnt(10)
	v_add_u32_e32 v10, -1, v8
	v_cmp_ne_u32_e32 vcc, 0, v8
	v_cmp_lt_u32_e64 s[4:5], 1, v8
	v_min_u32_e32 v8, 15, v10
	v_add_u32_e32 v8, 1, v8
	v_and_b32_e32 v20, 3, v8
	v_cmp_lt_u32_e64 s[6:7], 1, v10
	v_cmp_ne_u32_e64 s[8:9], 2, v10
	v_and_b32_e32 v21, 28, v8
	v_cmp_ne_u32_e64 s[10:11], 0, v20
	s_branch .LBB62_42
.LBB62_40:                              ;   in Loop: Header=BB62_42 Depth=1
	s_or_b64 exec, exec, s[14:15]
.LBB62_41:                              ;   in Loop: Header=BB62_42 Depth=1
	s_or_b64 exec, exec, s[12:13]
	s_lshl_b32 s12, s30, 2
	v_add_u32_e32 v11, s12, v18
	buffer_load_dword v22, v11, s[0:3], 0 offen
	v_mov_b32_e32 v11, v9
	v_lshlrev_b64 v[12:13], 1, v[8:9]
	v_lshlrev_b64 v[10:11], 1, v[10:11]
	v_mov_b32_e32 v8, s17
	v_mov_b32_e32 v23, s19
	s_add_i32 s21, s30, 1
	v_add_co_u32_e64 v12, s[12:13], s16, v12
	v_add_co_u32_e64 v10, s[14:15], s18, v10
	v_add_u32_e32 v7, 0x100, v7
	v_addc_co_u32_e64 v13, s[12:13], v8, v13, s[12:13]
	s_cmp_gt_u32 s30, 2
	v_addc_co_u32_e64 v11, s[14:15], v23, v11, s[14:15]
	v_cmp_le_i32_e64 s[12:13], s36, v7
	s_cselect_b64 s[14:15], -1, 0
	s_or_b64 s[12:13], s[14:15], s[12:13]
	s_and_b64 s[12:13], exec, s[12:13]
	s_or_b64 s[22:23], s[12:13], s[22:23]
	s_mov_b32 s30, s21
	s_waitcnt vmcnt(0)
	global_store_short v[12:13], v22, off
	global_store_short_d16_hi v[10:11], v22, off
	s_andn2_b64 exec, exec, s[22:23]
	s_cbranch_execz .LBB62_57
.LBB62_42:                              ; =>This Loop Header: Depth=1
                                        ;     Child Loop BB62_46 Depth 2
                                        ;     Child Loop BB62_50 Depth 2
	v_add_u32_e32 v11, s33, v7
                                        ; implicit-def: $vgpr10
	s_and_saveexec_b64 s[12:13], s[6:7]
	s_xor_b64 s[14:15], exec, s[12:13]
	s_cbranch_execz .LBB62_54
; %bb.43:                               ;   in Loop: Header=BB62_42 Depth=1
	v_mov_b32_e32 v10, 0
	v_mov_b32_e32 v8, 0
	s_and_saveexec_b64 s[24:25], vcc
	s_cbranch_execz .LBB62_53
; %bb.44:                               ;   in Loop: Header=BB62_42 Depth=1
	s_mov_b32 s21, s20
	v_pk_mov_b32 v[12:13], s[20:21], s[20:21] op_sel:[0,1]
	v_mov_b32_e32 v22, 0
                                        ; implicit-def: $vgpr10
	s_and_saveexec_b64 s[26:27], s[8:9]
	s_cbranch_execz .LBB62_48
; %bb.45:                               ;   in Loop: Header=BB62_42 Depth=1
	v_mov_b32_e32 v8, 0
	v_mov_b32_e32 v12, 0
	s_mov_b32 s21, 0
	s_mov_b64 s[28:29], 0
	v_mov_b32_e32 v13, v19
	v_mov_b32_e32 v10, v8
.LBB62_46:                              ;   Parent Loop BB62_42 Depth=1
                                        ; =>  This Inner Loop Header: Depth=2
	buffer_load_dword v22, v12, s[0:3], 0 offen offset:440
	buffer_load_dword v23, v12, s[0:3], 0 offen offset:444
	;; [unrolled: 1-line block ×5, first 2 shown]
	buffer_load_dword v27, v13, s[0:3], 0 offen
	buffer_load_dword v28, v12, s[0:3], 0 offen offset:456
	buffer_load_dword v29, v12, s[0:3], 0 offen offset:448
	;; [unrolled: 1-line block ×14, first 2 shown]
	s_add_i32 s21, s21, 4
	v_cmp_eq_u32_e64 s[12:13], s21, v21
	v_add_u32_e32 v13, 32, v13
	v_add_u32_e32 v12, 48, v12
	s_or_b64 s[28:29], s[12:13], s[28:29]
	s_waitcnt vmcnt(19)
	v_mul_hi_u32 v22, v22, v11
	v_add_u32_e32 v22, v11, v22
	s_waitcnt vmcnt(18)
	v_lshrrev_b32_e32 v22, v23, v22
	s_waitcnt vmcnt(17)
	v_mul_lo_u32 v23, v22, v24
	s_waitcnt vmcnt(16)
	v_mul_hi_u32 v24, v25, v22
	v_sub_u32_e32 v11, v11, v23
	v_add_u32_e32 v23, v22, v24
	s_waitcnt vmcnt(13)
	v_lshrrev_b32_e32 v23, v28, v23
	v_mul_lo_u32 v24, v11, v26
	s_waitcnt vmcnt(12)
	v_mul_lo_u32 v25, v23, v29
	s_waitcnt vmcnt(11)
	v_mul_hi_u32 v26, v30, v23
	v_sub_u32_e32 v22, v22, v25
	v_add_u32_e32 v25, v23, v26
	v_mul_lo_u32 v11, v11, v27
	s_waitcnt vmcnt(10)
	v_mul_lo_u32 v26, v22, v31
	s_waitcnt vmcnt(9)
	;; [unrolled: 2-line block ×3, first 2 shown]
	v_lshrrev_b32_e32 v25, v33, v25
	v_add3_u32 v8, v11, v8, v22
	s_waitcnt vmcnt(7)
	v_mul_lo_u32 v11, v25, v34
	s_waitcnt vmcnt(6)
	v_mul_hi_u32 v22, v35, v25
	v_sub_u32_e32 v11, v23, v11
	v_add_u32_e32 v22, v25, v22
	v_add3_u32 v10, v24, v10, v26
	s_waitcnt vmcnt(4)
	v_mul_lo_u32 v23, v11, v37
	s_waitcnt vmcnt(3)
	v_mul_lo_u32 v24, v11, v38
	s_waitcnt vmcnt(2)
	v_lshrrev_b32_e32 v11, v39, v22
	v_mul_lo_u32 v22, v11, v36
	v_sub_u32_e32 v22, v25, v22
	s_waitcnt vmcnt(1)
	v_mul_lo_u32 v25, v22, v40
	s_waitcnt vmcnt(0)
	v_mul_lo_u32 v22, v22, v41
	v_add3_u32 v10, v24, v10, v22
	v_add3_u32 v8, v23, v8, v25
	s_andn2_b64 exec, exec, s[28:29]
	s_cbranch_execnz .LBB62_46
; %bb.47:                               ;   in Loop: Header=BB62_42 Depth=1
	s_or_b64 exec, exec, s[28:29]
	v_mov_b32_e32 v12, v8
	v_mov_b32_e32 v13, v10
	v_mov_b32_e32 v22, v21
.LBB62_48:                              ;   in Loop: Header=BB62_42 Depth=1
	s_or_b64 exec, exec, s[26:27]
	s_and_saveexec_b64 s[26:27], s[10:11]
	s_cbranch_execz .LBB62_52
; %bb.49:                               ;   in Loop: Header=BB62_42 Depth=1
	v_lshl_add_u32 v8, v22, 3, v19
	v_mad_u32_u24 v10, v22, 12, v17
	s_mov_b64 s[28:29], 0
	v_mov_b32_e32 v22, v20
.LBB62_50:                              ;   Parent Loop BB62_42 Depth=1
                                        ; =>  This Inner Loop Header: Depth=2
	buffer_load_dword v23, v10, s[0:3], 0 offen offset:440
	buffer_load_dword v25, v10, s[0:3], 0 offen offset:436
	;; [unrolled: 1-line block ×4, first 2 shown]
	buffer_load_dword v28, v8, s[0:3], 0 offen
	v_mov_b32_e32 v24, v13
	v_add_u32_e32 v22, -1, v22
	v_cmp_eq_u32_e64 s[12:13], 0, v22
	s_or_b64 s[28:29], s[12:13], s[28:29]
	v_add_u32_e32 v8, 8, v8
	v_add_u32_e32 v10, 12, v10
	s_waitcnt vmcnt(4)
	v_mul_hi_u32 v13, v23, v11
	v_add_u32_e32 v13, v11, v13
	s_waitcnt vmcnt(2)
	v_lshrrev_b32_e32 v13, v26, v13
	v_mul_lo_u32 v23, v13, v25
	v_sub_u32_e32 v23, v11, v23
	v_mov_b32_e32 v11, v13
	s_waitcnt vmcnt(1)
	v_mad_u64_u32 v[24:25], s[12:13], v23, v27, v[24:25]
	s_waitcnt vmcnt(0)
	v_mad_u64_u32 v[12:13], s[12:13], v23, v28, v[12:13]
	v_mov_b32_e32 v13, v24
	s_andn2_b64 exec, exec, s[28:29]
	s_cbranch_execnz .LBB62_50
; %bb.51:                               ;   in Loop: Header=BB62_42 Depth=1
	s_or_b64 exec, exec, s[28:29]
	v_mov_b32_e32 v10, v13
	v_mov_b32_e32 v8, v12
.LBB62_52:                              ;   in Loop: Header=BB62_42 Depth=1
	s_or_b64 exec, exec, s[26:27]
.LBB62_53:                              ;   in Loop: Header=BB62_42 Depth=1
	s_or_b64 exec, exec, s[24:25]
                                        ; implicit-def: $vgpr11
.LBB62_54:                              ;   in Loop: Header=BB62_42 Depth=1
	s_andn2_saveexec_b64 s[12:13], s[14:15]
	s_cbranch_execz .LBB62_41
; %bb.55:                               ;   in Loop: Header=BB62_42 Depth=1
	s_waitcnt vmcnt(7)
	v_mul_hi_u32 v8, v11, v0
	v_add_u32_e32 v8, v11, v8
	s_waitcnt vmcnt(6)
	v_lshrrev_b32_e32 v12, v14, v8
	v_mul_lo_u32 v8, v12, v5
	v_sub_u32_e32 v8, v11, v8
	v_mul_lo_u32 v10, v8, v1
	s_waitcnt vmcnt(2)
	v_mul_lo_u32 v8, v8, v4
	s_and_saveexec_b64 s[14:15], s[4:5]
	s_cbranch_execz .LBB62_40
; %bb.56:                               ;   in Loop: Header=BB62_42 Depth=1
	v_mul_hi_u32 v11, v12, v2
	v_add_u32_e32 v11, v12, v11
	v_lshrrev_b32_e32 v11, v16, v11
	v_mul_lo_u32 v11, v11, v15
	v_sub_u32_e32 v11, v12, v11
	s_waitcnt vmcnt(0)
	v_mad_u64_u32 v[12:13], s[24:25], v11, v6, v[8:9]
	v_mad_u64_u32 v[10:11], s[24:25], v11, v3, v[10:11]
	v_mov_b32_e32 v8, v12
	s_branch .LBB62_40
.LBB62_57:
	s_endpgm
	.section	.rodata,"a",@progbits
	.p2align	6, 0x0
	.amdhsa_kernel _ZN2at6native12_GLOBAL__N_145unrolled_elementwise_kernel_for_multi_outputsILi2EZZZNS0_21prelu_backward_kernelERNS_14TensorIteratorEENKUlvE_clEvENKUlvE1_clEvEUlN3c108BFloat16ES8_S8_E_St5arrayIPcLm5EE16OffsetCalculatorILi3EjLb0EESD_ILi2EjLb0EEEEviT0_T1_T2_T3_
		.amdhsa_group_segment_fixed_size 6144
		.amdhsa_private_segment_fixed_size 800
		.amdhsa_kernarg_size 760
		.amdhsa_user_sgpr_count 10
		.amdhsa_user_sgpr_private_segment_buffer 1
		.amdhsa_user_sgpr_dispatch_ptr 1
		.amdhsa_user_sgpr_queue_ptr 0
		.amdhsa_user_sgpr_kernarg_segment_ptr 1
		.amdhsa_user_sgpr_dispatch_id 0
		.amdhsa_user_sgpr_flat_scratch_init 1
		.amdhsa_user_sgpr_kernarg_preload_length 0
		.amdhsa_user_sgpr_kernarg_preload_offset 0
		.amdhsa_user_sgpr_private_segment_size 0
		.amdhsa_uses_dynamic_stack 0
		.amdhsa_system_sgpr_private_segment_wavefront_offset 1
		.amdhsa_system_sgpr_workgroup_id_x 1
		.amdhsa_system_sgpr_workgroup_id_y 0
		.amdhsa_system_sgpr_workgroup_id_z 0
		.amdhsa_system_sgpr_workgroup_info 0
		.amdhsa_system_vgpr_workitem_id 2
		.amdhsa_next_free_vgpr 42
		.amdhsa_next_free_sgpr 48
		.amdhsa_accum_offset 44
		.amdhsa_reserve_vcc 1
		.amdhsa_reserve_flat_scratch 0
		.amdhsa_float_round_mode_32 0
		.amdhsa_float_round_mode_16_64 0
		.amdhsa_float_denorm_mode_32 3
		.amdhsa_float_denorm_mode_16_64 3
		.amdhsa_dx10_clamp 1
		.amdhsa_ieee_mode 1
		.amdhsa_fp16_overflow 0
		.amdhsa_tg_split 0
		.amdhsa_exception_fp_ieee_invalid_op 0
		.amdhsa_exception_fp_denorm_src 0
		.amdhsa_exception_fp_ieee_div_zero 0
		.amdhsa_exception_fp_ieee_overflow 0
		.amdhsa_exception_fp_ieee_underflow 0
		.amdhsa_exception_fp_ieee_inexact 0
		.amdhsa_exception_int_div_zero 0
	.end_amdhsa_kernel
	.section	.text._ZN2at6native12_GLOBAL__N_145unrolled_elementwise_kernel_for_multi_outputsILi2EZZZNS0_21prelu_backward_kernelERNS_14TensorIteratorEENKUlvE_clEvENKUlvE1_clEvEUlN3c108BFloat16ES8_S8_E_St5arrayIPcLm5EE16OffsetCalculatorILi3EjLb0EESD_ILi2EjLb0EEEEviT0_T1_T2_T3_,"axG",@progbits,_ZN2at6native12_GLOBAL__N_145unrolled_elementwise_kernel_for_multi_outputsILi2EZZZNS0_21prelu_backward_kernelERNS_14TensorIteratorEENKUlvE_clEvENKUlvE1_clEvEUlN3c108BFloat16ES8_S8_E_St5arrayIPcLm5EE16OffsetCalculatorILi3EjLb0EESD_ILi2EjLb0EEEEviT0_T1_T2_T3_,comdat
.Lfunc_end62:
	.size	_ZN2at6native12_GLOBAL__N_145unrolled_elementwise_kernel_for_multi_outputsILi2EZZZNS0_21prelu_backward_kernelERNS_14TensorIteratorEENKUlvE_clEvENKUlvE1_clEvEUlN3c108BFloat16ES8_S8_E_St5arrayIPcLm5EE16OffsetCalculatorILi3EjLb0EESD_ILi2EjLb0EEEEviT0_T1_T2_T3_, .Lfunc_end62-_ZN2at6native12_GLOBAL__N_145unrolled_elementwise_kernel_for_multi_outputsILi2EZZZNS0_21prelu_backward_kernelERNS_14TensorIteratorEENKUlvE_clEvENKUlvE1_clEvEUlN3c108BFloat16ES8_S8_E_St5arrayIPcLm5EE16OffsetCalculatorILi3EjLb0EESD_ILi2EjLb0EEEEviT0_T1_T2_T3_
                                        ; -- End function
	.section	.AMDGPU.csdata,"",@progbits
; Kernel info:
; codeLenInByte = 5880
; NumSgprs: 52
; NumVgprs: 42
; NumAgprs: 0
; TotalNumVgprs: 42
; ScratchSize: 800
; MemoryBound: 0
; FloatMode: 240
; IeeeMode: 1
; LDSByteSize: 6144 bytes/workgroup (compile time only)
; SGPRBlocks: 6
; VGPRBlocks: 5
; NumSGPRsForWavesPerEU: 52
; NumVGPRsForWavesPerEU: 42
; AccumOffset: 44
; Occupancy: 8
; WaveLimiterHint : 1
; COMPUTE_PGM_RSRC2:SCRATCH_EN: 1
; COMPUTE_PGM_RSRC2:USER_SGPR: 10
; COMPUTE_PGM_RSRC2:TRAP_HANDLER: 0
; COMPUTE_PGM_RSRC2:TGID_X_EN: 1
; COMPUTE_PGM_RSRC2:TGID_Y_EN: 0
; COMPUTE_PGM_RSRC2:TGID_Z_EN: 0
; COMPUTE_PGM_RSRC2:TIDIG_COMP_CNT: 2
; COMPUTE_PGM_RSRC3_GFX90A:ACCUM_OFFSET: 10
; COMPUTE_PGM_RSRC3_GFX90A:TG_SPLIT: 0
	.section	.text._ZN2at6native12_GLOBAL__N_145unrolled_elementwise_kernel_for_multi_outputsILi2EZZZNS0_21prelu_backward_kernelERNS_14TensorIteratorEENKUlvE_clEvENKUlvE2_clEvEUlN3c104HalfES8_S8_E_St5arrayIPcLm5EE23TrivialOffsetCalculatorILi3EjESD_ILi2EjEEEviT0_T1_T2_T3_,"axG",@progbits,_ZN2at6native12_GLOBAL__N_145unrolled_elementwise_kernel_for_multi_outputsILi2EZZZNS0_21prelu_backward_kernelERNS_14TensorIteratorEENKUlvE_clEvENKUlvE2_clEvEUlN3c104HalfES8_S8_E_St5arrayIPcLm5EE23TrivialOffsetCalculatorILi3EjESD_ILi2EjEEEviT0_T1_T2_T3_,comdat
	.globl	_ZN2at6native12_GLOBAL__N_145unrolled_elementwise_kernel_for_multi_outputsILi2EZZZNS0_21prelu_backward_kernelERNS_14TensorIteratorEENKUlvE_clEvENKUlvE2_clEvEUlN3c104HalfES8_S8_E_St5arrayIPcLm5EE23TrivialOffsetCalculatorILi3EjESD_ILi2EjEEEviT0_T1_T2_T3_ ; -- Begin function _ZN2at6native12_GLOBAL__N_145unrolled_elementwise_kernel_for_multi_outputsILi2EZZZNS0_21prelu_backward_kernelERNS_14TensorIteratorEENKUlvE_clEvENKUlvE2_clEvEUlN3c104HalfES8_S8_E_St5arrayIPcLm5EE23TrivialOffsetCalculatorILi3EjESD_ILi2EjEEEviT0_T1_T2_T3_
	.p2align	8
	.type	_ZN2at6native12_GLOBAL__N_145unrolled_elementwise_kernel_for_multi_outputsILi2EZZZNS0_21prelu_backward_kernelERNS_14TensorIteratorEENKUlvE_clEvENKUlvE2_clEvEUlN3c104HalfES8_S8_E_St5arrayIPcLm5EE23TrivialOffsetCalculatorILi3EjESD_ILi2EjEEEviT0_T1_T2_T3_,@function
_ZN2at6native12_GLOBAL__N_145unrolled_elementwise_kernel_for_multi_outputsILi2EZZZNS0_21prelu_backward_kernelERNS_14TensorIteratorEENKUlvE_clEvENKUlvE2_clEvEUlN3c104HalfES8_S8_E_St5arrayIPcLm5EE23TrivialOffsetCalculatorILi3EjESD_ILi2EjEEEviT0_T1_T2_T3_: ; @_ZN2at6native12_GLOBAL__N_145unrolled_elementwise_kernel_for_multi_outputsILi2EZZZNS0_21prelu_backward_kernelERNS_14TensorIteratorEENKUlvE_clEvENKUlvE2_clEvEUlN3c104HalfES8_S8_E_St5arrayIPcLm5EE23TrivialOffsetCalculatorILi3EjESD_ILi2EjEEEviT0_T1_T2_T3_
; %bb.0:
	s_load_dwordx2 s[4:5], s[4:5], 0x4
	s_add_u32 s0, s0, s11
	s_addc_u32 s1, s1, 0
	v_and_b32_e32 v2, 0x3ff, v0
	s_load_dwordx8 s[12:19], s[6:7], 0x8
	s_load_dwordx2 s[8:9], s[6:7], 0x28
	s_waitcnt lgkmcnt(0)
	s_lshr_b32 s4, s4, 16
	s_mul_i32 s4, s4, s5
	v_mul_lo_u32 v1, s4, v2
	s_load_dword s4, s[6:7], 0x0
	v_bfe_u32 v3, v0, 10, 10
	v_mul_u32_u24_e32 v3, s5, v3
	v_bfe_u32 v0, v0, 20, 10
	s_lshl_b32 s20, s10, 10
	v_add3_u32 v0, v1, v3, v0
	s_waitcnt lgkmcnt(0)
	s_sub_i32 s21, s4, s20
	v_mov_b32_e32 v1, 0
	v_mul_lo_u32 v3, v0, 24
	s_mov_b32 s22, 0
	v_mov_b32_e32 v4, v1
	v_mov_b32_e32 v5, v1
	;; [unrolled: 1-line block ×4, first 2 shown]
	v_cmp_gt_i32_e32 vcc, s21, v2
	buffer_store_dword v1, off, s[0:3], 0 offset:4
	buffer_store_dword v1, off, s[0:3], 0
	v_mov_b32_e32 v0, v1
	buffer_store_dword v1, off, s[0:3], 0 offset:12
	buffer_store_dword v1, off, s[0:3], 0 offset:8
	ds_write_b128 v3, v[4:7]
	ds_write_b64 v3, v[0:1] offset:16
	s_and_saveexec_b64 s[6:7], vcc
	s_cbranch_execz .LBB63_4
; %bb.1:
	s_mov_b64 s[10:11], 0
	v_mov_b32_e32 v4, s17
	v_mov_b32_e32 v5, s19
	;; [unrolled: 1-line block ×3, first 2 shown]
	s_mov_b32 s9, 0x5040100
	v_mov_b32_e32 v7, v3
	v_mov_b32_e32 v8, v2
.LBB63_2:                               ; =>This Inner Loop Header: Depth=1
	v_add_u32_e32 v0, s20, v8
	v_lshlrev_b64 v[10:11], 1, v[0:1]
	v_add_co_u32_e64 v12, s[4:5], s16, v10
	v_addc_co_u32_e64 v13, s[4:5], v4, v11, s[4:5]
	v_add_co_u32_e64 v14, s[4:5], s18, v10
	v_addc_co_u32_e64 v15, s[4:5], v5, v11, s[4:5]
	;; [unrolled: 2-line block ×3, first 2 shown]
	global_load_ushort v0, v[14:15], off
	global_load_ushort v9, v[10:11], off
	;; [unrolled: 1-line block ×3, first 2 shown]
	s_add_i32 s17, s22, 1
	v_add_u32_e32 v8, 0x100, v8
	s_cmp_gt_u32 s22, 2
	v_cmp_le_i32_e64 s[4:5], s21, v8
	s_cselect_b64 s[24:25], -1, 0
	s_or_b64 s[4:5], s[24:25], s[4:5]
	s_and_b64 s[4:5], exec, s[4:5]
	s_mov_b32 s22, s17
	s_or_b64 s[10:11], s[4:5], s[10:11]
	s_waitcnt vmcnt(1)
	v_perm_b32 v0, v0, v9, s9
	s_waitcnt vmcnt(0)
	ds_write_b16 v7, v16 offset:4
	ds_write_b32 v7, v0
	v_add_u32_e32 v7, 6, v7
	s_andn2_b64 exec, exec, s[10:11]
	s_cbranch_execnz .LBB63_2
; %bb.3:
	s_or_b64 exec, exec, s[10:11]
	ds_read_b32 v0, v3
	ds_read_u16 v1, v3 offset:4
	s_waitcnt lgkmcnt(1)
	v_mul_f16_sdwa v4, v0, v0 dst_sel:DWORD dst_unused:UNUSED_PAD src0_sel:WORD_1 src1_sel:DWORD
	s_waitcnt lgkmcnt(0)
	v_mul_f16_e32 v5, v1, v0
	v_cmp_lt_f16_e64 s[4:5], 0, v1
	v_cndmask_b32_e64 v0, v4, v0, s[4:5]
	v_cndmask_b32_e64 v1, v5, 0, s[4:5]
	s_mov_b32 s4, 0x5040100
	v_perm_b32 v0, v1, v0, s4
	buffer_store_dword v0, off, s[0:3], 0
.LBB63_4:
	s_or_b64 exec, exec, s[6:7]
	v_or_b32_e32 v0, 0x100, v2
	v_cmp_gt_i32_e64 s[4:5], s21, v0
	s_and_saveexec_b64 s[6:7], s[4:5]
	s_cbranch_execz .LBB63_6
; %bb.5:
	ds_read_u16 v0, v3 offset:6
	ds_read_b32 v1, v3 offset:8
	v_mov_b32_e32 v4, 0
	s_waitcnt lgkmcnt(0)
	v_mul_f16_e32 v5, v1, v0
	v_mul_f16_sdwa v6, v1, v0 dst_sel:DWORD dst_unused:UNUSED_PAD src0_sel:WORD_1 src1_sel:DWORD
	v_cmp_gt_f16_sdwa s[4:5], v1, v4 src0_sel:WORD_1 src1_sel:DWORD
	v_cndmask_b32_e64 v0, v5, v0, s[4:5]
	v_cndmask_b32_e64 v1, v6, 0, s[4:5]
	s_mov_b32 s4, 0x5040100
	v_perm_b32 v0, v1, v0, s4
	buffer_store_dword v0, off, s[0:3], 0 offset:4
.LBB63_6:
	s_or_b64 exec, exec, s[6:7]
	v_or_b32_e32 v0, 0x200, v2
	v_cmp_gt_i32_e64 s[4:5], s21, v0
	s_and_saveexec_b64 s[6:7], s[4:5]
	s_cbranch_execz .LBB63_8
; %bb.7:
	ds_read_b32 v0, v3 offset:12
	ds_read_u16 v1, v3 offset:16
	s_waitcnt lgkmcnt(1)
	v_mul_f16_sdwa v4, v0, v0 dst_sel:DWORD dst_unused:UNUSED_PAD src0_sel:WORD_1 src1_sel:DWORD
	s_waitcnt lgkmcnt(0)
	v_mul_f16_e32 v5, v1, v0
	v_cmp_lt_f16_e64 s[4:5], 0, v1
	v_cndmask_b32_e64 v0, v4, v0, s[4:5]
	v_cndmask_b32_e64 v1, v5, 0, s[4:5]
	s_mov_b32 s4, 0x5040100
	v_perm_b32 v0, v1, v0, s4
	buffer_store_dword v0, off, s[0:3], 0 offset:8
.LBB63_8:
	s_or_b64 exec, exec, s[6:7]
	v_or_b32_e32 v0, 0x300, v2
	v_cmp_gt_i32_e64 s[4:5], s21, v0
	s_and_saveexec_b64 s[6:7], s[4:5]
	s_cbranch_execz .LBB63_10
; %bb.9:
	ds_read_u16 v0, v3 offset:18
	ds_read_b32 v1, v3 offset:20
	v_mov_b32_e32 v3, 0
	s_waitcnt lgkmcnt(0)
	v_mul_f16_e32 v4, v1, v0
	v_mul_f16_sdwa v5, v1, v0 dst_sel:DWORD dst_unused:UNUSED_PAD src0_sel:WORD_1 src1_sel:DWORD
	v_cmp_gt_f16_sdwa s[4:5], v1, v3 src0_sel:WORD_1 src1_sel:DWORD
	v_cndmask_b32_e64 v0, v4, v0, s[4:5]
	v_cndmask_b32_e64 v1, v5, 0, s[4:5]
	s_mov_b32 s4, 0x5040100
	v_perm_b32 v0, v1, v0, s4
	buffer_store_dword v0, off, s[0:3], 0 offset:12
.LBB63_10:
	s_or_b64 exec, exec, s[6:7]
	s_and_saveexec_b64 s[4:5], vcc
	s_xor_b64 s[4:5], exec, s[4:5]
	s_cbranch_execz .LBB63_13
; %bb.11:
	v_mov_b32_e32 v3, 0
	s_mov_b32 s8, 0
	s_mov_b64 s[6:7], 0
	v_mov_b32_e32 v1, 0
	v_mov_b32_e32 v4, s13
	;; [unrolled: 1-line block ×3, first 2 shown]
.LBB63_12:                              ; =>This Inner Loop Header: Depth=1
	buffer_load_dword v10, v3, s[0:3], 0 offen
	v_add_u32_e32 v0, s20, v2
	s_add_i32 s4, s8, 1
	v_lshlrev_b64 v[6:7], 1, v[0:1]
	s_cmp_gt_u32 s8, 2
	s_mov_b32 s8, s4
	v_add_co_u32_e64 v8, s[4:5], s12, v6
	v_addc_co_u32_e64 v9, s[4:5], v4, v7, s[4:5]
	v_add_co_u32_e64 v6, s[4:5], s14, v6
	v_add_u32_e32 v2, 0x100, v2
	v_addc_co_u32_e64 v7, s[4:5], v5, v7, s[4:5]
	v_cmp_le_i32_e32 vcc, s21, v2
	s_cselect_b64 s[4:5], -1, 0
	s_or_b64 s[4:5], s[4:5], vcc
	s_and_b64 s[4:5], exec, s[4:5]
	v_add_u32_e32 v3, 4, v3
	s_or_b64 s[6:7], s[4:5], s[6:7]
	s_waitcnt vmcnt(0)
	global_store_short v[8:9], v10, off
	global_store_short_d16_hi v[6:7], v10, off
	s_andn2_b64 exec, exec, s[6:7]
	s_cbranch_execnz .LBB63_12
.LBB63_13:
	s_endpgm
	.section	.rodata,"a",@progbits
	.p2align	6, 0x0
	.amdhsa_kernel _ZN2at6native12_GLOBAL__N_145unrolled_elementwise_kernel_for_multi_outputsILi2EZZZNS0_21prelu_backward_kernelERNS_14TensorIteratorEENKUlvE_clEvENKUlvE2_clEvEUlN3c104HalfES8_S8_E_St5arrayIPcLm5EE23TrivialOffsetCalculatorILi3EjESD_ILi2EjEEEviT0_T1_T2_T3_
		.amdhsa_group_segment_fixed_size 6144
		.amdhsa_private_segment_fixed_size 32
		.amdhsa_kernarg_size 52
		.amdhsa_user_sgpr_count 10
		.amdhsa_user_sgpr_private_segment_buffer 1
		.amdhsa_user_sgpr_dispatch_ptr 1
		.amdhsa_user_sgpr_queue_ptr 0
		.amdhsa_user_sgpr_kernarg_segment_ptr 1
		.amdhsa_user_sgpr_dispatch_id 0
		.amdhsa_user_sgpr_flat_scratch_init 1
		.amdhsa_user_sgpr_kernarg_preload_length 0
		.amdhsa_user_sgpr_kernarg_preload_offset 0
		.amdhsa_user_sgpr_private_segment_size 0
		.amdhsa_uses_dynamic_stack 0
		.amdhsa_system_sgpr_private_segment_wavefront_offset 1
		.amdhsa_system_sgpr_workgroup_id_x 1
		.amdhsa_system_sgpr_workgroup_id_y 0
		.amdhsa_system_sgpr_workgroup_id_z 0
		.amdhsa_system_sgpr_workgroup_info 0
		.amdhsa_system_vgpr_workitem_id 2
		.amdhsa_next_free_vgpr 17
		.amdhsa_next_free_sgpr 26
		.amdhsa_accum_offset 20
		.amdhsa_reserve_vcc 1
		.amdhsa_reserve_flat_scratch 0
		.amdhsa_float_round_mode_32 0
		.amdhsa_float_round_mode_16_64 0
		.amdhsa_float_denorm_mode_32 3
		.amdhsa_float_denorm_mode_16_64 3
		.amdhsa_dx10_clamp 1
		.amdhsa_ieee_mode 1
		.amdhsa_fp16_overflow 0
		.amdhsa_tg_split 0
		.amdhsa_exception_fp_ieee_invalid_op 0
		.amdhsa_exception_fp_denorm_src 0
		.amdhsa_exception_fp_ieee_div_zero 0
		.amdhsa_exception_fp_ieee_overflow 0
		.amdhsa_exception_fp_ieee_underflow 0
		.amdhsa_exception_fp_ieee_inexact 0
		.amdhsa_exception_int_div_zero 0
	.end_amdhsa_kernel
	.section	.text._ZN2at6native12_GLOBAL__N_145unrolled_elementwise_kernel_for_multi_outputsILi2EZZZNS0_21prelu_backward_kernelERNS_14TensorIteratorEENKUlvE_clEvENKUlvE2_clEvEUlN3c104HalfES8_S8_E_St5arrayIPcLm5EE23TrivialOffsetCalculatorILi3EjESD_ILi2EjEEEviT0_T1_T2_T3_,"axG",@progbits,_ZN2at6native12_GLOBAL__N_145unrolled_elementwise_kernel_for_multi_outputsILi2EZZZNS0_21prelu_backward_kernelERNS_14TensorIteratorEENKUlvE_clEvENKUlvE2_clEvEUlN3c104HalfES8_S8_E_St5arrayIPcLm5EE23TrivialOffsetCalculatorILi3EjESD_ILi2EjEEEviT0_T1_T2_T3_,comdat
.Lfunc_end63:
	.size	_ZN2at6native12_GLOBAL__N_145unrolled_elementwise_kernel_for_multi_outputsILi2EZZZNS0_21prelu_backward_kernelERNS_14TensorIteratorEENKUlvE_clEvENKUlvE2_clEvEUlN3c104HalfES8_S8_E_St5arrayIPcLm5EE23TrivialOffsetCalculatorILi3EjESD_ILi2EjEEEviT0_T1_T2_T3_, .Lfunc_end63-_ZN2at6native12_GLOBAL__N_145unrolled_elementwise_kernel_for_multi_outputsILi2EZZZNS0_21prelu_backward_kernelERNS_14TensorIteratorEENKUlvE_clEvENKUlvE2_clEvEUlN3c104HalfES8_S8_E_St5arrayIPcLm5EE23TrivialOffsetCalculatorILi3EjESD_ILi2EjEEEviT0_T1_T2_T3_
                                        ; -- End function
	.section	.AMDGPU.csdata,"",@progbits
; Kernel info:
; codeLenInByte = 1000
; NumSgprs: 30
; NumVgprs: 17
; NumAgprs: 0
; TotalNumVgprs: 17
; ScratchSize: 32
; MemoryBound: 0
; FloatMode: 240
; IeeeMode: 1
; LDSByteSize: 6144 bytes/workgroup (compile time only)
; SGPRBlocks: 3
; VGPRBlocks: 2
; NumSGPRsForWavesPerEU: 30
; NumVGPRsForWavesPerEU: 17
; AccumOffset: 20
; Occupancy: 8
; WaveLimiterHint : 0
; COMPUTE_PGM_RSRC2:SCRATCH_EN: 1
; COMPUTE_PGM_RSRC2:USER_SGPR: 10
; COMPUTE_PGM_RSRC2:TRAP_HANDLER: 0
; COMPUTE_PGM_RSRC2:TGID_X_EN: 1
; COMPUTE_PGM_RSRC2:TGID_Y_EN: 0
; COMPUTE_PGM_RSRC2:TGID_Z_EN: 0
; COMPUTE_PGM_RSRC2:TIDIG_COMP_CNT: 2
; COMPUTE_PGM_RSRC3_GFX90A:ACCUM_OFFSET: 4
; COMPUTE_PGM_RSRC3_GFX90A:TG_SPLIT: 0
	.section	.text._ZN2at6native12_GLOBAL__N_145unrolled_elementwise_kernel_for_multi_outputsILi2EZZZNS0_21prelu_backward_kernelERNS_14TensorIteratorEENKUlvE_clEvENKUlvE2_clEvEUlN3c104HalfES8_S8_E_St5arrayIPcLm5EE16OffsetCalculatorILi3EjLb0EESD_ILi2EjLb0EEEEviT0_T1_T2_T3_,"axG",@progbits,_ZN2at6native12_GLOBAL__N_145unrolled_elementwise_kernel_for_multi_outputsILi2EZZZNS0_21prelu_backward_kernelERNS_14TensorIteratorEENKUlvE_clEvENKUlvE2_clEvEUlN3c104HalfES8_S8_E_St5arrayIPcLm5EE16OffsetCalculatorILi3EjLb0EESD_ILi2EjLb0EEEEviT0_T1_T2_T3_,comdat
	.globl	_ZN2at6native12_GLOBAL__N_145unrolled_elementwise_kernel_for_multi_outputsILi2EZZZNS0_21prelu_backward_kernelERNS_14TensorIteratorEENKUlvE_clEvENKUlvE2_clEvEUlN3c104HalfES8_S8_E_St5arrayIPcLm5EE16OffsetCalculatorILi3EjLb0EESD_ILi2EjLb0EEEEviT0_T1_T2_T3_ ; -- Begin function _ZN2at6native12_GLOBAL__N_145unrolled_elementwise_kernel_for_multi_outputsILi2EZZZNS0_21prelu_backward_kernelERNS_14TensorIteratorEENKUlvE_clEvENKUlvE2_clEvEUlN3c104HalfES8_S8_E_St5arrayIPcLm5EE16OffsetCalculatorILi3EjLb0EESD_ILi2EjLb0EEEEviT0_T1_T2_T3_
	.p2align	8
	.type	_ZN2at6native12_GLOBAL__N_145unrolled_elementwise_kernel_for_multi_outputsILi2EZZZNS0_21prelu_backward_kernelERNS_14TensorIteratorEENKUlvE_clEvENKUlvE2_clEvEUlN3c104HalfES8_S8_E_St5arrayIPcLm5EE16OffsetCalculatorILi3EjLb0EESD_ILi2EjLb0EEEEviT0_T1_T2_T3_,@function
_ZN2at6native12_GLOBAL__N_145unrolled_elementwise_kernel_for_multi_outputsILi2EZZZNS0_21prelu_backward_kernelERNS_14TensorIteratorEENKUlvE_clEvENKUlvE2_clEvEUlN3c104HalfES8_S8_E_St5arrayIPcLm5EE16OffsetCalculatorILi3EjLb0EESD_ILi2EjLb0EEEEviT0_T1_T2_T3_: ; @_ZN2at6native12_GLOBAL__N_145unrolled_elementwise_kernel_for_multi_outputsILi2EZZZNS0_21prelu_backward_kernelERNS_14TensorIteratorEENKUlvE_clEvENKUlvE2_clEvEUlN3c104HalfES8_S8_E_St5arrayIPcLm5EE16OffsetCalculatorILi3EjLb0EESD_ILi2EjLb0EEEEviT0_T1_T2_T3_
; %bb.0:
	s_load_dwordx2 s[4:5], s[4:5], 0x4
	s_add_u32 s0, s0, s11
	s_addc_u32 s1, s1, 0
	v_and_b32_e32 v7, 0x3ff, v0
	v_bfe_u32 v2, v0, 10, 10
	s_waitcnt lgkmcnt(0)
	s_lshr_b32 s4, s4, 16
	s_mul_i32 s4, s4, s5
	v_mul_lo_u32 v1, s4, v7
	v_mul_u32_u24_e32 v2, s5, v2
	s_load_dword s4, s[6:7], 0x0
	s_load_dwordx8 s[16:23], s[6:7], 0x8
	s_load_dword s5, s[6:7], 0x2f4
	s_load_dwordx2 s[34:35], s[6:7], 0x28
	s_load_dwordx8 s[24:31], s[6:7], 0x1f4
	v_bfe_u32 v0, v0, 20, 10
	v_add3_u32 v0, v1, v2, v0
	s_lshl_b32 s33, s10, 10
	s_waitcnt lgkmcnt(0)
	v_mov_b32_e32 v1, s5
	s_load_dwordx8 s[8:15], s[6:7], 0x214
	buffer_store_dword v1, off, s[0:3], 0 offset:752
	v_mov_b32_e32 v1, s31
	buffer_store_dword v1, off, s[0:3], 0 offset:524
	v_mov_b32_e32 v1, s30
	buffer_store_dword v1, off, s[0:3], 0 offset:520
	v_mov_b32_e32 v1, s29
	buffer_store_dword v1, off, s[0:3], 0 offset:516
	v_mov_b32_e32 v1, s28
	buffer_store_dword v1, off, s[0:3], 0 offset:512
	s_waitcnt lgkmcnt(0)
	v_mov_b32_e32 v1, s11
	buffer_store_dword v1, off, s[0:3], 0 offset:540
	v_mov_b32_e32 v1, s10
	buffer_store_dword v1, off, s[0:3], 0 offset:536
	v_mov_b32_e32 v1, s9
	buffer_store_dword v1, off, s[0:3], 0 offset:532
	v_mov_b32_e32 v1, s8
	s_load_dwordx8 s[40:47], s[6:7], 0x234
	buffer_store_dword v1, off, s[0:3], 0 offset:528
	v_mov_b32_e32 v1, s15
	buffer_store_dword v1, off, s[0:3], 0 offset:556
	v_mov_b32_e32 v1, s14
	buffer_store_dword v1, off, s[0:3], 0 offset:552
	v_mov_b32_e32 v1, s13
	buffer_store_dword v1, off, s[0:3], 0 offset:548
	v_mov_b32_e32 v1, s12
	buffer_store_dword v1, off, s[0:3], 0 offset:544
	s_waitcnt lgkmcnt(0)
	v_mov_b32_e32 v1, s43
	buffer_store_dword v1, off, s[0:3], 0 offset:572
	v_mov_b32_e32 v1, s42
	buffer_store_dword v1, off, s[0:3], 0 offset:568
	v_mov_b32_e32 v1, s41
	buffer_store_dword v1, off, s[0:3], 0 offset:564
	v_mov_b32_e32 v1, s40
	s_load_dwordx8 s[8:15], s[6:7], 0x254
	buffer_store_dword v1, off, s[0:3], 0 offset:560
	v_mov_b32_e32 v1, s47
	buffer_store_dword v1, off, s[0:3], 0 offset:588
	v_mov_b32_e32 v1, s46
	buffer_store_dword v1, off, s[0:3], 0 offset:584
	v_mov_b32_e32 v1, s45
	buffer_store_dword v1, off, s[0:3], 0 offset:580
	v_mov_b32_e32 v1, s44
	buffer_store_dword v1, off, s[0:3], 0 offset:576
	s_waitcnt lgkmcnt(0)
	v_mov_b32_e32 v1, s11
	buffer_store_dword v1, off, s[0:3], 0 offset:604
	v_mov_b32_e32 v1, s10
	buffer_store_dword v1, off, s[0:3], 0 offset:600
	v_mov_b32_e32 v1, s9
	buffer_store_dword v1, off, s[0:3], 0 offset:596
	v_mov_b32_e32 v1, s8
	s_load_dwordx8 s[40:47], s[6:7], 0x274
	buffer_store_dword v1, off, s[0:3], 0 offset:592
	v_mov_b32_e32 v1, s15
	buffer_store_dword v1, off, s[0:3], 0 offset:620
	v_mov_b32_e32 v1, s14
	buffer_store_dword v1, off, s[0:3], 0 offset:616
	v_mov_b32_e32 v1, s13
	buffer_store_dword v1, off, s[0:3], 0 offset:612
	v_mov_b32_e32 v1, s12
	buffer_store_dword v1, off, s[0:3], 0 offset:608
	s_waitcnt lgkmcnt(0)
	v_mov_b32_e32 v1, s43
	buffer_store_dword v1, off, s[0:3], 0 offset:636
	v_mov_b32_e32 v1, s42
	buffer_store_dword v1, off, s[0:3], 0 offset:632
	v_mov_b32_e32 v1, s41
	buffer_store_dword v1, off, s[0:3], 0 offset:628
	v_mov_b32_e32 v1, s40
	s_load_dwordx8 s[8:15], s[6:7], 0x294
	buffer_store_dword v1, off, s[0:3], 0 offset:624
	v_mov_b32_e32 v1, s47
	buffer_store_dword v1, off, s[0:3], 0 offset:652
	v_mov_b32_e32 v1, s46
	buffer_store_dword v1, off, s[0:3], 0 offset:648
	v_mov_b32_e32 v1, s45
	buffer_store_dword v1, off, s[0:3], 0 offset:644
	v_mov_b32_e32 v1, s44
	buffer_store_dword v1, off, s[0:3], 0 offset:640
	s_waitcnt lgkmcnt(0)
	v_mov_b32_e32 v1, s11
	buffer_store_dword v1, off, s[0:3], 0 offset:668
	v_mov_b32_e32 v1, s10
	buffer_store_dword v1, off, s[0:3], 0 offset:664
	v_mov_b32_e32 v1, s9
	buffer_store_dword v1, off, s[0:3], 0 offset:660
	v_mov_b32_e32 v1, s8
	s_load_dwordx8 s[40:47], s[6:7], 0x2b4
	buffer_store_dword v1, off, s[0:3], 0 offset:656
	v_mov_b32_e32 v1, s15
	buffer_store_dword v1, off, s[0:3], 0 offset:684
	v_mov_b32_e32 v1, s14
	buffer_store_dword v1, off, s[0:3], 0 offset:680
	v_mov_b32_e32 v1, s13
	buffer_store_dword v1, off, s[0:3], 0 offset:676
	v_mov_b32_e32 v1, s12
	buffer_store_dword v1, off, s[0:3], 0 offset:672
	s_waitcnt lgkmcnt(0)
	v_mov_b32_e32 v1, s43
	buffer_store_dword v1, off, s[0:3], 0 offset:700
	v_mov_b32_e32 v1, s42
	buffer_store_dword v1, off, s[0:3], 0 offset:696
	v_mov_b32_e32 v1, s41
	buffer_store_dword v1, off, s[0:3], 0 offset:692
	v_mov_b32_e32 v1, s40
	s_load_dwordx8 s[8:15], s[6:7], 0x2d4
	buffer_store_dword v1, off, s[0:3], 0 offset:688
	v_mov_b32_e32 v1, s47
	buffer_store_dword v1, off, s[0:3], 0 offset:716
	v_mov_b32_e32 v1, s46
	buffer_store_dword v1, off, s[0:3], 0 offset:712
	v_mov_b32_e32 v1, s45
	buffer_store_dword v1, off, s[0:3], 0 offset:708
	v_mov_b32_e32 v1, s44
	buffer_store_dword v1, off, s[0:3], 0 offset:704
	s_waitcnt lgkmcnt(0)
	v_mov_b32_e32 v1, s11
	buffer_store_dword v1, off, s[0:3], 0 offset:732
	v_mov_b32_e32 v1, s10
	buffer_store_dword v1, off, s[0:3], 0 offset:728
	v_mov_b32_e32 v1, s9
	buffer_store_dword v1, off, s[0:3], 0 offset:724
	v_mov_b32_e32 v1, s8
	s_load_dwordx8 s[40:47], s[6:7], 0x1b4
	buffer_store_dword v1, off, s[0:3], 0 offset:720
	v_mov_b32_e32 v1, s15
	buffer_store_dword v1, off, s[0:3], 0 offset:748
	v_mov_b32_e32 v1, s14
	buffer_store_dword v1, off, s[0:3], 0 offset:744
	v_mov_b32_e32 v1, s13
	buffer_store_dword v1, off, s[0:3], 0 offset:740
	v_mov_b32_e32 v1, s12
	buffer_store_dword v1, off, s[0:3], 0 offset:736
	s_waitcnt lgkmcnt(0)
	v_mov_b32_e32 v1, s43
	buffer_store_dword v1, off, s[0:3], 0 offset:444
	v_mov_b32_e32 v1, s42
	buffer_store_dword v1, off, s[0:3], 0 offset:440
	v_mov_b32_e32 v1, s41
	s_load_dwordx8 s[8:15], s[6:7], 0x1d4
	buffer_store_dword v1, off, s[0:3], 0 offset:436
	v_mov_b32_e32 v1, s40
	buffer_store_dword v1, off, s[0:3], 0 offset:432
	v_mov_b32_e32 v1, s47
	;; [unrolled: 2-line block ×5, first 2 shown]
	buffer_store_dword v1, off, s[0:3], 0 offset:448
	s_waitcnt lgkmcnt(0)
	v_mov_b32_e32 v1, s11
	buffer_store_dword v1, off, s[0:3], 0 offset:476
	v_mov_b32_e32 v1, s10
	buffer_store_dword v1, off, s[0:3], 0 offset:472
	;; [unrolled: 2-line block ×6, first 2 shown]
	v_mov_b32_e32 v1, s13
	s_sub_i32 s36, s4, s33
	buffer_store_dword v1, off, s[0:3], 0 offset:484
	v_mov_b32_e32 v1, s12
	s_load_dword s4, s[6:7], 0x1b0
	buffer_store_dword v1, off, s[0:3], 0 offset:480
	v_mov_b32_e32 v1, s27
	s_load_dwordx8 s[8:15], s[6:7], 0xb0
	buffer_store_dword v1, off, s[0:3], 0 offset:508
	v_mov_b32_e32 v1, s26
	buffer_store_dword v1, off, s[0:3], 0 offset:504
	v_mov_b32_e32 v1, s25
	;; [unrolled: 2-line block ×3, first 2 shown]
	buffer_store_dword v1, off, s[0:3], 0 offset:496
	s_waitcnt lgkmcnt(0)
	v_mov_b32_e32 v1, s4
	s_load_dwordx8 s[24:31], s[6:7], 0xd0
	buffer_store_dword v1, off, s[0:3], 0 offset:428
	v_mov_b32_e32 v1, s15
	buffer_store_dword v1, off, s[0:3], 0 offset:200
	v_mov_b32_e32 v1, s14
	buffer_store_dword v1, off, s[0:3], 0 offset:196
	v_mov_b32_e32 v1, s13
	buffer_store_dword v1, off, s[0:3], 0 offset:192
	v_mov_b32_e32 v1, s12
	buffer_store_dword v1, off, s[0:3], 0 offset:188
	s_waitcnt lgkmcnt(0)
	v_mov_b32_e32 v1, s27
	buffer_store_dword v1, off, s[0:3], 0 offset:216
	v_mov_b32_e32 v1, s26
	buffer_store_dword v1, off, s[0:3], 0 offset:212
	v_mov_b32_e32 v1, s25
	buffer_store_dword v1, off, s[0:3], 0 offset:208
	v_mov_b32_e32 v1, s24
	s_load_dwordx8 s[40:47], s[6:7], 0xf0
	buffer_store_dword v1, off, s[0:3], 0 offset:204
	v_mov_b32_e32 v1, s31
	buffer_store_dword v1, off, s[0:3], 0 offset:232
	v_mov_b32_e32 v1, s30
	buffer_store_dword v1, off, s[0:3], 0 offset:228
	v_mov_b32_e32 v1, s29
	buffer_store_dword v1, off, s[0:3], 0 offset:224
	v_mov_b32_e32 v1, s28
	buffer_store_dword v1, off, s[0:3], 0 offset:220
	s_waitcnt lgkmcnt(0)
	v_mov_b32_e32 v1, s43
	buffer_store_dword v1, off, s[0:3], 0 offset:248
	v_mov_b32_e32 v1, s42
	buffer_store_dword v1, off, s[0:3], 0 offset:244
	v_mov_b32_e32 v1, s41
	buffer_store_dword v1, off, s[0:3], 0 offset:240
	v_mov_b32_e32 v1, s40
	s_load_dwordx8 s[24:31], s[6:7], 0x110
	buffer_store_dword v1, off, s[0:3], 0 offset:236
	v_mov_b32_e32 v1, s47
	buffer_store_dword v1, off, s[0:3], 0 offset:264
	v_mov_b32_e32 v1, s46
	buffer_store_dword v1, off, s[0:3], 0 offset:260
	v_mov_b32_e32 v1, s45
	buffer_store_dword v1, off, s[0:3], 0 offset:256
	v_mov_b32_e32 v1, s44
	buffer_store_dword v1, off, s[0:3], 0 offset:252
	s_waitcnt lgkmcnt(0)
	v_mov_b32_e32 v1, s27
	buffer_store_dword v1, off, s[0:3], 0 offset:280
	v_mov_b32_e32 v1, s26
	buffer_store_dword v1, off, s[0:3], 0 offset:276
	v_mov_b32_e32 v1, s25
	buffer_store_dword v1, off, s[0:3], 0 offset:272
	v_mov_b32_e32 v1, s24
	s_load_dwordx8 s[40:47], s[6:7], 0x130
	buffer_store_dword v1, off, s[0:3], 0 offset:268
	v_mov_b32_e32 v1, s31
	buffer_store_dword v1, off, s[0:3], 0 offset:296
	v_mov_b32_e32 v1, s30
	buffer_store_dword v1, off, s[0:3], 0 offset:292
	v_mov_b32_e32 v1, s29
	buffer_store_dword v1, off, s[0:3], 0 offset:288
	v_mov_b32_e32 v1, s28
	buffer_store_dword v1, off, s[0:3], 0 offset:284
	s_waitcnt lgkmcnt(0)
	v_mov_b32_e32 v1, s43
	buffer_store_dword v1, off, s[0:3], 0 offset:312
	v_mov_b32_e32 v1, s42
	buffer_store_dword v1, off, s[0:3], 0 offset:308
	v_mov_b32_e32 v1, s41
	buffer_store_dword v1, off, s[0:3], 0 offset:304
	v_mov_b32_e32 v1, s40
	s_load_dwordx8 s[24:31], s[6:7], 0x150
	buffer_store_dword v1, off, s[0:3], 0 offset:300
	v_mov_b32_e32 v1, s47
	buffer_store_dword v1, off, s[0:3], 0 offset:328
	v_mov_b32_e32 v1, s46
	buffer_store_dword v1, off, s[0:3], 0 offset:324
	v_mov_b32_e32 v1, s45
	buffer_store_dword v1, off, s[0:3], 0 offset:320
	v_mov_b32_e32 v1, s44
	buffer_store_dword v1, off, s[0:3], 0 offset:316
	s_waitcnt lgkmcnt(0)
	v_mov_b32_e32 v1, s27
	buffer_store_dword v1, off, s[0:3], 0 offset:344
	v_mov_b32_e32 v1, s26
	buffer_store_dword v1, off, s[0:3], 0 offset:340
	v_mov_b32_e32 v1, s25
	buffer_store_dword v1, off, s[0:3], 0 offset:336
	v_mov_b32_e32 v1, s24
	s_load_dwordx8 s[40:47], s[6:7], 0x170
	buffer_store_dword v1, off, s[0:3], 0 offset:332
	v_mov_b32_e32 v1, s31
	buffer_store_dword v1, off, s[0:3], 0 offset:360
	v_mov_b32_e32 v1, s30
	buffer_store_dword v1, off, s[0:3], 0 offset:356
	v_mov_b32_e32 v1, s29
	buffer_store_dword v1, off, s[0:3], 0 offset:352
	v_mov_b32_e32 v1, s28
	buffer_store_dword v1, off, s[0:3], 0 offset:348
	s_waitcnt lgkmcnt(0)
	v_mov_b32_e32 v1, s43
	buffer_store_dword v1, off, s[0:3], 0 offset:376
	v_mov_b32_e32 v1, s42
	buffer_store_dword v1, off, s[0:3], 0 offset:372
	v_mov_b32_e32 v1, s41
	buffer_store_dword v1, off, s[0:3], 0 offset:368
	v_mov_b32_e32 v1, s40
	s_load_dwordx8 s[24:31], s[6:7], 0x190
	buffer_store_dword v1, off, s[0:3], 0 offset:364
	v_mov_b32_e32 v1, s47
	buffer_store_dword v1, off, s[0:3], 0 offset:392
	v_mov_b32_e32 v1, s46
	buffer_store_dword v1, off, s[0:3], 0 offset:388
	v_mov_b32_e32 v1, s45
	buffer_store_dword v1, off, s[0:3], 0 offset:384
	v_mov_b32_e32 v1, s44
	buffer_store_dword v1, off, s[0:3], 0 offset:380
	s_waitcnt lgkmcnt(0)
	v_mov_b32_e32 v1, s27
	buffer_store_dword v1, off, s[0:3], 0 offset:408
	v_mov_b32_e32 v1, s26
	buffer_store_dword v1, off, s[0:3], 0 offset:404
	v_mov_b32_e32 v1, s25
	buffer_store_dword v1, off, s[0:3], 0 offset:400
	v_mov_b32_e32 v1, s24
	s_load_dwordx8 s[40:47], s[6:7], 0x30
	buffer_store_dword v1, off, s[0:3], 0 offset:396
	v_mov_b32_e32 v1, s31
	buffer_store_dword v1, off, s[0:3], 0 offset:424
	v_mov_b32_e32 v1, s30
	;; [unrolled: 2-line block ×4, first 2 shown]
	buffer_store_dword v1, off, s[0:3], 0 offset:412
	s_waitcnt lgkmcnt(0)
	v_mov_b32_e32 v1, s43
	buffer_store_dword v1, off, s[0:3], 0 offset:56
	v_mov_b32_e32 v1, s42
	buffer_store_dword v1, off, s[0:3], 0 offset:52
	v_mov_b32_e32 v1, s41
	s_load_dwordx8 s[24:31], s[6:7], 0x50
	buffer_store_dword v1, off, s[0:3], 0 offset:48
	v_mov_b32_e32 v1, s40
	buffer_store_dword v1, off, s[0:3], 0 offset:44
	v_mov_b32_e32 v1, s47
	;; [unrolled: 2-line block ×5, first 2 shown]
	buffer_store_dword v1, off, s[0:3], 0 offset:60
	s_waitcnt lgkmcnt(0)
	v_mov_b32_e32 v1, s27
	buffer_store_dword v1, off, s[0:3], 0 offset:88
	v_mov_b32_e32 v1, s26
	buffer_store_dword v1, off, s[0:3], 0 offset:84
	;; [unrolled: 2-line block ×3, first 2 shown]
	v_mov_b32_e32 v1, s24
	s_load_dwordx8 s[40:47], s[6:7], 0x70
	buffer_store_dword v1, off, s[0:3], 0 offset:76
	v_mov_b32_e32 v1, s31
	buffer_store_dword v1, off, s[0:3], 0 offset:104
	v_mov_b32_e32 v1, s30
	;; [unrolled: 2-line block ×4, first 2 shown]
	buffer_store_dword v1, off, s[0:3], 0 offset:92
	s_waitcnt lgkmcnt(0)
	v_mov_b32_e32 v1, s43
	buffer_store_dword v1, off, s[0:3], 0 offset:120
	v_mov_b32_e32 v1, s42
	buffer_store_dword v1, off, s[0:3], 0 offset:116
	;; [unrolled: 2-line block ×3, first 2 shown]
	v_mov_b32_e32 v1, s40
	s_load_dwordx8 s[24:31], s[6:7], 0x90
	buffer_store_dword v1, off, s[0:3], 0 offset:108
	v_mov_b32_e32 v1, s47
	buffer_store_dword v1, off, s[0:3], 0 offset:136
	v_mov_b32_e32 v1, s46
	;; [unrolled: 2-line block ×4, first 2 shown]
	buffer_store_dword v1, off, s[0:3], 0 offset:124
	s_waitcnt lgkmcnt(0)
	v_mov_b32_e32 v1, s27
	buffer_store_dword v1, off, s[0:3], 0 offset:152
	v_mov_b32_e32 v1, s26
	buffer_store_dword v1, off, s[0:3], 0 offset:148
	;; [unrolled: 2-line block ×10, first 2 shown]
	v_mov_b32_e32 v1, s9
	v_mov_b32_e32 v3, 0
	v_mul_lo_u32 v0, v0, 24
	buffer_store_dword v1, off, s[0:3], 0 offset:176
	v_mov_b32_e32 v1, s8
	s_mov_b32 s37, 0
	v_mov_b32_e32 v8, v3
	v_mov_b32_e32 v9, v3
	;; [unrolled: 1-line block ×4, first 2 shown]
	v_cmp_gt_i32_e32 vcc, s36, v7
	buffer_store_dword v1, off, s[0:3], 0 offset:172
	buffer_store_dword v3, off, s[0:3], 0 offset:772
	;; [unrolled: 1-line block ×3, first 2 shown]
	v_mov_b32_e32 v2, v3
	buffer_store_dword v3, off, s[0:3], 0 offset:780
	buffer_store_dword v3, off, s[0:3], 0 offset:776
	ds_write_b128 v0, v[8:11]
	ds_write_b64 v0, v[2:3] offset:16
	s_and_saveexec_b64 s[14:15], vcc
	s_cbranch_execz .LBB64_16
; %bb.1:
	buffer_load_dword v2, off, s[0:3], 0 offset:44
	buffer_load_dword v9, off, s[0:3], 0 offset:48
	buffer_load_dword v4, off, s[0:3], 0 offset:52
	buffer_load_dword v11, off, s[0:3], 0 offset:56
	buffer_load_dword v16, off, s[0:3], 0 offset:60
	buffer_load_dword v6, off, s[0:3], 0 offset:64
	buffer_load_dword v17, off, s[0:3], 0 offset:68
	buffer_load_dword v18, off, s[0:3], 0 offset:240
	buffer_load_dword v1, off, s[0:3], 0 offset:260
	buffer_load_dword v8, off, s[0:3], 0 offset:256
	buffer_load_dword v19, off, s[0:3], 0 offset:252
	buffer_load_dword v5, off, s[0:3], 0 offset:248
	buffer_load_dword v10, off, s[0:3], 0 offset:244
	s_mov_b64 s[24:25], 0
	s_mov_b32 s38, 0x5040100
	v_mov_b32_e32 v21, v7
	s_waitcnt vmcnt(12)
	v_add_u32_e32 v12, -1, v2
	v_cmp_ne_u32_e64 s[4:5], 0, v2
	v_cmp_lt_u32_e64 s[6:7], 1, v2
	v_min_u32_e32 v2, 15, v12
	v_cmp_lt_u32_e64 s[8:9], 1, v12
	v_add_u32_e32 v12, 1, v2
	v_and_b32_e32 v2, 1, v2
	v_and_b32_e32 v20, 30, v12
	v_cmp_eq_u32_e64 s[10:11], 0, v2
	s_branch .LBB64_4
.LBB64_2:                               ;   in Loop: Header=BB64_4 Depth=1
	s_or_b64 exec, exec, s[26:27]
.LBB64_3:                               ;   in Loop: Header=BB64_4 Depth=1
	s_or_b64 exec, exec, s[12:13]
	v_lshlrev_b64 v[22:23], 1, v[2:3]
	v_mov_b32_e32 v2, s21
	v_add_co_u32_e64 v22, s[12:13], s20, v22
	v_mov_b32_e32 v15, v3
	v_addc_co_u32_e64 v23, s[12:13], v2, v23, s[12:13]
	v_lshlrev_b64 v[14:15], 1, v[14:15]
	v_mov_b32_e32 v13, s23
	v_add_co_u32_e64 v14, s[12:13], s22, v14
	v_addc_co_u32_e64 v15, s[12:13], v13, v15, s[12:13]
	v_mov_b32_e32 v13, v3
	v_lshlrev_b64 v[12:13], 1, v[12:13]
	global_load_ushort v14, v[14:15], off
	v_mov_b32_e32 v15, s35
	v_add_co_u32_e64 v12, s[12:13], s34, v12
	v_addc_co_u32_e64 v13, s[12:13], v15, v13, s[12:13]
	global_load_ushort v2, v[22:23], off
	global_load_ushort v15, v[12:13], off
	s_add_i32 s28, s37, 1
	s_waitcnt vmcnt(7)
	v_mad_u64_u32 v[12:13], s[12:13], s37, 6, v[0:1]
	v_add_u32_e32 v21, 0x100, v21
	s_cmp_gt_u32 s37, 2
	v_cmp_le_i32_e64 s[12:13], s36, v21
	s_cselect_b64 s[26:27], -1, 0
	s_or_b64 s[12:13], s[26:27], s[12:13]
	s_and_b64 s[12:13], exec, s[12:13]
	s_or_b64 s[24:25], s[12:13], s[24:25]
	s_mov_b32 s37, s28
	s_waitcnt vmcnt(1)
	ds_write_b16 v12, v2 offset:4
	s_waitcnt vmcnt(0)
	v_perm_b32 v2, v14, v15, s38
	ds_write_b32 v12, v2
	s_andn2_b64 exec, exec, s[24:25]
	s_cbranch_execz .LBB64_15
.LBB64_4:                               ; =>This Loop Header: Depth=1
                                        ;     Child Loop BB64_7 Depth 2
	v_add_u32_e32 v13, s33, v21
                                        ; implicit-def: $vgpr12
                                        ; implicit-def: $vgpr14
	s_and_saveexec_b64 s[12:13], s[8:9]
	s_xor_b64 s[26:27], exec, s[12:13]
	s_cbranch_execz .LBB64_12
; %bb.5:                                ;   in Loop: Header=BB64_4 Depth=1
	v_mov_b32_e32 v12, 0
	v_mov_b32_e32 v14, 0
	;; [unrolled: 1-line block ×3, first 2 shown]
	s_and_saveexec_b64 s[28:29], s[4:5]
	s_cbranch_execz .LBB64_11
; %bb.6:                                ;   in Loop: Header=BB64_4 Depth=1
	v_mov_b32_e32 v2, 0
	v_mov_b32_e32 v15, 0
	s_mov_b64 s[30:31], 0
	v_mov_b32_e32 v22, v20
	v_mov_b32_e32 v14, v2
	;; [unrolled: 1-line block ×3, first 2 shown]
.LBB64_7:                               ;   Parent Loop BB64_4 Depth=1
                                        ; =>  This Inner Loop Header: Depth=2
	buffer_load_dword v23, v15, s[0:3], 0 offen offset:52
	buffer_load_dword v24, v15, s[0:3], 0 offen offset:56
	;; [unrolled: 1-line block ×12, first 2 shown]
	v_add_u32_e32 v22, -2, v22
	v_cmp_eq_u32_e64 s[12:13], 0, v22
	v_add_u32_e32 v15, 24, v15
	s_or_b64 s[30:31], s[12:13], s[30:31]
	s_waitcnt vmcnt(11)
	v_mul_hi_u32 v23, v23, v13
	v_add_u32_e32 v23, v13, v23
	s_waitcnt vmcnt(10)
	v_lshrrev_b32_e32 v23, v24, v23
	s_waitcnt vmcnt(9)
	v_mul_lo_u32 v24, v23, v25
	s_waitcnt vmcnt(8)
	v_mul_hi_u32 v25, v26, v23
	v_sub_u32_e32 v13, v13, v24
	v_add_u32_e32 v24, v23, v25
	s_waitcnt vmcnt(7)
	v_mul_lo_u32 v25, v13, v27
	s_waitcnt vmcnt(6)
	v_mul_lo_u32 v26, v13, v28
	;; [unrolled: 2-line block ×3, first 2 shown]
	s_waitcnt vmcnt(4)
	v_lshrrev_b32_e32 v13, v30, v24
	s_waitcnt vmcnt(3)
	v_mul_lo_u32 v24, v13, v31
	v_sub_u32_e32 v23, v23, v24
	s_waitcnt vmcnt(2)
	v_mul_lo_u32 v24, v23, v32
	s_waitcnt vmcnt(1)
	v_mul_lo_u32 v28, v23, v33
	;; [unrolled: 2-line block ×3, first 2 shown]
	v_add3_u32 v2, v25, v2, v24
	v_add3_u32 v12, v27, v12, v23
	;; [unrolled: 1-line block ×3, first 2 shown]
	s_andn2_b64 exec, exec, s[30:31]
	s_cbranch_execnz .LBB64_7
; %bb.8:                                ;   in Loop: Header=BB64_4 Depth=1
	s_or_b64 exec, exec, s[30:31]
	s_and_saveexec_b64 s[12:13], s[10:11]
	s_cbranch_execz .LBB64_10
; %bb.9:                                ;   in Loop: Header=BB64_4 Depth=1
	buffer_load_dword v22, v15, s[0:3], 0 offen offset:52
	buffer_load_dword v23, v15, s[0:3], 0 offen offset:56
	;; [unrolled: 1-line block ×6, first 2 shown]
	s_waitcnt vmcnt(5)
	v_mul_hi_u32 v15, v22, v13
	v_add_u32_e32 v15, v13, v15
	s_waitcnt vmcnt(4)
	v_lshrrev_b32_e32 v15, v23, v15
	s_waitcnt vmcnt(3)
	v_mul_lo_u32 v15, v15, v24
	v_sub_u32_e32 v13, v13, v15
	s_waitcnt vmcnt(2)
	v_mad_u64_u32 v[22:23], s[30:31], v13, v25, v[2:3]
	s_waitcnt vmcnt(1)
	v_mad_u64_u32 v[14:15], s[30:31], v13, v26, v[14:15]
	;; [unrolled: 2-line block ×3, first 2 shown]
	v_mov_b32_e32 v2, v22
.LBB64_10:                              ;   in Loop: Header=BB64_4 Depth=1
	s_or_b64 exec, exec, s[12:13]
.LBB64_11:                              ;   in Loop: Header=BB64_4 Depth=1
	s_or_b64 exec, exec, s[28:29]
                                        ; implicit-def: $vgpr13
.LBB64_12:                              ;   in Loop: Header=BB64_4 Depth=1
	s_andn2_saveexec_b64 s[12:13], s[26:27]
	s_cbranch_execz .LBB64_3
; %bb.13:                               ;   in Loop: Header=BB64_4 Depth=1
	s_waitcnt vmcnt(10)
	v_mul_hi_u32 v2, v13, v4
	v_add_u32_e32 v2, v13, v2
	s_waitcnt vmcnt(9)
	v_lshrrev_b32_e32 v15, v11, v2
	v_mul_lo_u32 v2, v15, v9
	v_sub_u32_e32 v13, v13, v2
	s_waitcnt vmcnt(5)
	v_mul_lo_u32 v2, v13, v18
	s_waitcnt vmcnt(1)
	v_mul_lo_u32 v12, v13, v5
	s_waitcnt vmcnt(0)
	v_mul_lo_u32 v14, v13, v10
	s_and_saveexec_b64 s[26:27], s[6:7]
	s_cbranch_execz .LBB64_2
; %bb.14:                               ;   in Loop: Header=BB64_4 Depth=1
	v_mul_hi_u32 v13, v15, v6
	v_add_u32_e32 v13, v15, v13
	v_lshrrev_b32_e32 v13, v17, v13
	v_mul_lo_u32 v13, v13, v16
	v_sub_u32_e32 v13, v15, v13
	v_mad_u64_u32 v[22:23], s[28:29], v13, v19, v[2:3]
	v_mad_u64_u32 v[14:15], s[28:29], v13, v8, v[14:15]
	;; [unrolled: 1-line block ×3, first 2 shown]
	v_mov_b32_e32 v2, v22
	s_branch .LBB64_2
.LBB64_15:
	s_or_b64 exec, exec, s[24:25]
	ds_read_b32 v1, v0
	ds_read_u16 v2, v0 offset:4
	s_waitcnt lgkmcnt(1)
	v_mul_f16_sdwa v3, v1, v1 dst_sel:DWORD dst_unused:UNUSED_PAD src0_sel:WORD_1 src1_sel:DWORD
	s_waitcnt lgkmcnt(0)
	v_mul_f16_e32 v4, v2, v1
	v_cmp_lt_f16_e64 s[4:5], 0, v2
	v_cndmask_b32_e64 v1, v3, v1, s[4:5]
	v_cndmask_b32_e64 v2, v4, 0, s[4:5]
	s_mov_b32 s4, 0x5040100
	v_perm_b32 v1, v2, v1, s4
	buffer_store_dword v1, off, s[0:3], 0 offset:768
.LBB64_16:
	s_or_b64 exec, exec, s[14:15]
	v_or_b32_e32 v1, 0x100, v7
	v_cmp_gt_i32_e64 s[4:5], s36, v1
	s_and_saveexec_b64 s[6:7], s[4:5]
	s_cbranch_execz .LBB64_18
; %bb.17:
	ds_read_u16 v1, v0 offset:6
	ds_read_b32 v2, v0 offset:8
	v_mov_b32_e32 v3, 0
	s_waitcnt lgkmcnt(0)
	v_mul_f16_e32 v4, v2, v1
	v_mul_f16_sdwa v5, v2, v1 dst_sel:DWORD dst_unused:UNUSED_PAD src0_sel:WORD_1 src1_sel:DWORD
	v_cmp_gt_f16_sdwa s[4:5], v2, v3 src0_sel:WORD_1 src1_sel:DWORD
	v_cndmask_b32_e64 v1, v4, v1, s[4:5]
	v_cndmask_b32_e64 v2, v5, 0, s[4:5]
	s_mov_b32 s4, 0x5040100
	v_perm_b32 v1, v2, v1, s4
	buffer_store_dword v1, off, s[0:3], 0 offset:772
.LBB64_18:
	s_or_b64 exec, exec, s[6:7]
	v_or_b32_e32 v1, 0x200, v7
	v_cmp_gt_i32_e64 s[4:5], s36, v1
	s_and_saveexec_b64 s[6:7], s[4:5]
	s_cbranch_execz .LBB64_20
; %bb.19:
	ds_read_b32 v1, v0 offset:12
	ds_read_u16 v2, v0 offset:16
	s_waitcnt lgkmcnt(1)
	v_mul_f16_sdwa v3, v1, v1 dst_sel:DWORD dst_unused:UNUSED_PAD src0_sel:WORD_1 src1_sel:DWORD
	s_waitcnt lgkmcnt(0)
	v_mul_f16_e32 v4, v2, v1
	v_cmp_lt_f16_e64 s[4:5], 0, v2
	v_cndmask_b32_e64 v1, v3, v1, s[4:5]
	v_cndmask_b32_e64 v2, v4, 0, s[4:5]
	s_mov_b32 s4, 0x5040100
	v_perm_b32 v1, v2, v1, s4
	buffer_store_dword v1, off, s[0:3], 0 offset:776
.LBB64_20:
	s_or_b64 exec, exec, s[6:7]
	v_or_b32_e32 v1, 0x300, v7
	v_cmp_gt_i32_e64 s[4:5], s36, v1
	s_and_saveexec_b64 s[6:7], s[4:5]
	s_cbranch_execz .LBB64_22
; %bb.21:
	ds_read_u16 v1, v0 offset:18
	ds_read_b32 v0, v0 offset:20
	v_mov_b32_e32 v2, 0
	s_waitcnt lgkmcnt(0)
	v_mul_f16_e32 v3, v0, v1
	v_mul_f16_sdwa v4, v0, v1 dst_sel:DWORD dst_unused:UNUSED_PAD src0_sel:WORD_1 src1_sel:DWORD
	v_cmp_gt_f16_sdwa s[4:5], v0, v2 src0_sel:WORD_1 src1_sel:DWORD
	v_cndmask_b32_e64 v0, v3, v1, s[4:5]
	v_cndmask_b32_e64 v1, v4, 0, s[4:5]
	s_mov_b32 s4, 0x5040100
	v_perm_b32 v0, v1, v0, s4
	buffer_store_dword v0, off, s[0:3], 0 offset:780
.LBB64_22:
	s_or_b64 exec, exec, s[6:7]
	s_and_saveexec_b64 s[4:5], vcc
	s_xor_b64 s[4:5], exec, s[4:5]
	s_cbranch_execz .LBB64_41
; %bb.23:
	buffer_load_dword v8, off, s[0:3], 0 offset:432
	buffer_load_dword v1, off, s[0:3], 0 offset:632
	;; [unrolled: 1-line block ×11, first 2 shown]
	v_mov_b32_e32 v17, 0
	s_mov_b32 s20, 0
	v_mov_b32_e32 v9, 0
	s_mov_b64 s[22:23], 0
	v_mov_b32_e32 v18, 0x300
	v_add_u32_e32 v19, 0x274, v17
	s_mov_b32 s30, 0
	s_waitcnt vmcnt(10)
	v_add_u32_e32 v10, -1, v8
	v_cmp_ne_u32_e32 vcc, 0, v8
	v_cmp_lt_u32_e64 s[4:5], 1, v8
	v_min_u32_e32 v8, 15, v10
	v_add_u32_e32 v8, 1, v8
	v_and_b32_e32 v20, 3, v8
	v_cmp_lt_u32_e64 s[6:7], 1, v10
	v_cmp_ne_u32_e64 s[8:9], 2, v10
	v_and_b32_e32 v21, 28, v8
	v_cmp_ne_u32_e64 s[10:11], 0, v20
	s_branch .LBB64_26
.LBB64_24:                              ;   in Loop: Header=BB64_26 Depth=1
	s_or_b64 exec, exec, s[14:15]
.LBB64_25:                              ;   in Loop: Header=BB64_26 Depth=1
	s_or_b64 exec, exec, s[12:13]
	s_lshl_b32 s12, s30, 2
	v_add_u32_e32 v11, s12, v18
	buffer_load_dword v22, v11, s[0:3], 0 offen
	v_mov_b32_e32 v11, v9
	v_lshlrev_b64 v[12:13], 1, v[8:9]
	v_lshlrev_b64 v[10:11], 1, v[10:11]
	v_mov_b32_e32 v8, s17
	v_mov_b32_e32 v23, s19
	s_add_i32 s21, s30, 1
	v_add_co_u32_e64 v12, s[12:13], s16, v12
	v_add_co_u32_e64 v10, s[14:15], s18, v10
	v_add_u32_e32 v7, 0x100, v7
	v_addc_co_u32_e64 v13, s[12:13], v8, v13, s[12:13]
	s_cmp_gt_u32 s30, 2
	v_addc_co_u32_e64 v11, s[14:15], v23, v11, s[14:15]
	v_cmp_le_i32_e64 s[12:13], s36, v7
	s_cselect_b64 s[14:15], -1, 0
	s_or_b64 s[12:13], s[14:15], s[12:13]
	s_and_b64 s[12:13], exec, s[12:13]
	s_or_b64 s[22:23], s[12:13], s[22:23]
	s_mov_b32 s30, s21
	s_waitcnt vmcnt(0)
	global_store_short v[12:13], v22, off
	global_store_short_d16_hi v[10:11], v22, off
	s_andn2_b64 exec, exec, s[22:23]
	s_cbranch_execz .LBB64_41
.LBB64_26:                              ; =>This Loop Header: Depth=1
                                        ;     Child Loop BB64_30 Depth 2
                                        ;     Child Loop BB64_34 Depth 2
	v_add_u32_e32 v11, s33, v7
                                        ; implicit-def: $vgpr10
	s_and_saveexec_b64 s[12:13], s[6:7]
	s_xor_b64 s[14:15], exec, s[12:13]
	s_cbranch_execz .LBB64_38
; %bb.27:                               ;   in Loop: Header=BB64_26 Depth=1
	v_mov_b32_e32 v10, 0
	v_mov_b32_e32 v8, 0
	s_and_saveexec_b64 s[24:25], vcc
	s_cbranch_execz .LBB64_37
; %bb.28:                               ;   in Loop: Header=BB64_26 Depth=1
	s_mov_b32 s21, s20
	v_pk_mov_b32 v[12:13], s[20:21], s[20:21] op_sel:[0,1]
	v_mov_b32_e32 v22, 0
                                        ; implicit-def: $vgpr10
	s_and_saveexec_b64 s[26:27], s[8:9]
	s_cbranch_execz .LBB64_32
; %bb.29:                               ;   in Loop: Header=BB64_26 Depth=1
	v_mov_b32_e32 v8, 0
	v_mov_b32_e32 v12, 0
	s_mov_b32 s21, 0
	s_mov_b64 s[28:29], 0
	v_mov_b32_e32 v13, v19
	v_mov_b32_e32 v10, v8
.LBB64_30:                              ;   Parent Loop BB64_26 Depth=1
                                        ; =>  This Inner Loop Header: Depth=2
	buffer_load_dword v22, v12, s[0:3], 0 offen offset:440
	buffer_load_dword v23, v12, s[0:3], 0 offen offset:444
	buffer_load_dword v24, v12, s[0:3], 0 offen offset:436
	buffer_load_dword v25, v12, s[0:3], 0 offen offset:452
	buffer_load_dword v26, v13, s[0:3], 0 offen offset:4
	buffer_load_dword v27, v13, s[0:3], 0 offen
	buffer_load_dword v28, v12, s[0:3], 0 offen offset:456
	buffer_load_dword v29, v12, s[0:3], 0 offen offset:448
	;; [unrolled: 1-line block ×14, first 2 shown]
	s_add_i32 s21, s21, 4
	v_cmp_eq_u32_e64 s[12:13], s21, v21
	v_add_u32_e32 v13, 32, v13
	v_add_u32_e32 v12, 48, v12
	s_or_b64 s[28:29], s[12:13], s[28:29]
	s_waitcnt vmcnt(19)
	v_mul_hi_u32 v22, v22, v11
	v_add_u32_e32 v22, v11, v22
	s_waitcnt vmcnt(18)
	v_lshrrev_b32_e32 v22, v23, v22
	s_waitcnt vmcnt(17)
	v_mul_lo_u32 v23, v22, v24
	s_waitcnt vmcnt(16)
	v_mul_hi_u32 v24, v25, v22
	v_sub_u32_e32 v11, v11, v23
	v_add_u32_e32 v23, v22, v24
	s_waitcnt vmcnt(13)
	v_lshrrev_b32_e32 v23, v28, v23
	v_mul_lo_u32 v24, v11, v26
	s_waitcnt vmcnt(12)
	v_mul_lo_u32 v25, v23, v29
	s_waitcnt vmcnt(11)
	v_mul_hi_u32 v26, v30, v23
	v_sub_u32_e32 v22, v22, v25
	v_add_u32_e32 v25, v23, v26
	v_mul_lo_u32 v11, v11, v27
	s_waitcnt vmcnt(10)
	v_mul_lo_u32 v26, v22, v31
	s_waitcnt vmcnt(9)
	;; [unrolled: 2-line block ×3, first 2 shown]
	v_lshrrev_b32_e32 v25, v33, v25
	v_add3_u32 v8, v11, v8, v22
	s_waitcnt vmcnt(7)
	v_mul_lo_u32 v11, v25, v34
	s_waitcnt vmcnt(6)
	v_mul_hi_u32 v22, v35, v25
	v_sub_u32_e32 v11, v23, v11
	v_add_u32_e32 v22, v25, v22
	v_add3_u32 v10, v24, v10, v26
	s_waitcnt vmcnt(4)
	v_mul_lo_u32 v23, v11, v37
	s_waitcnt vmcnt(3)
	v_mul_lo_u32 v24, v11, v38
	s_waitcnt vmcnt(2)
	v_lshrrev_b32_e32 v11, v39, v22
	v_mul_lo_u32 v22, v11, v36
	v_sub_u32_e32 v22, v25, v22
	s_waitcnt vmcnt(1)
	v_mul_lo_u32 v25, v22, v40
	s_waitcnt vmcnt(0)
	v_mul_lo_u32 v22, v22, v41
	v_add3_u32 v10, v24, v10, v22
	v_add3_u32 v8, v23, v8, v25
	s_andn2_b64 exec, exec, s[28:29]
	s_cbranch_execnz .LBB64_30
; %bb.31:                               ;   in Loop: Header=BB64_26 Depth=1
	s_or_b64 exec, exec, s[28:29]
	v_mov_b32_e32 v12, v8
	v_mov_b32_e32 v13, v10
	;; [unrolled: 1-line block ×3, first 2 shown]
.LBB64_32:                              ;   in Loop: Header=BB64_26 Depth=1
	s_or_b64 exec, exec, s[26:27]
	s_and_saveexec_b64 s[26:27], s[10:11]
	s_cbranch_execz .LBB64_36
; %bb.33:                               ;   in Loop: Header=BB64_26 Depth=1
	v_lshl_add_u32 v8, v22, 3, v19
	v_mad_u32_u24 v10, v22, 12, v17
	s_mov_b64 s[28:29], 0
	v_mov_b32_e32 v22, v20
.LBB64_34:                              ;   Parent Loop BB64_26 Depth=1
                                        ; =>  This Inner Loop Header: Depth=2
	buffer_load_dword v23, v10, s[0:3], 0 offen offset:440
	buffer_load_dword v25, v10, s[0:3], 0 offen offset:436
	;; [unrolled: 1-line block ×4, first 2 shown]
	buffer_load_dword v28, v8, s[0:3], 0 offen
	v_mov_b32_e32 v24, v13
	v_add_u32_e32 v22, -1, v22
	v_cmp_eq_u32_e64 s[12:13], 0, v22
	s_or_b64 s[28:29], s[12:13], s[28:29]
	v_add_u32_e32 v8, 8, v8
	v_add_u32_e32 v10, 12, v10
	s_waitcnt vmcnt(4)
	v_mul_hi_u32 v13, v23, v11
	v_add_u32_e32 v13, v11, v13
	s_waitcnt vmcnt(2)
	v_lshrrev_b32_e32 v13, v26, v13
	v_mul_lo_u32 v23, v13, v25
	v_sub_u32_e32 v23, v11, v23
	v_mov_b32_e32 v11, v13
	s_waitcnt vmcnt(1)
	v_mad_u64_u32 v[24:25], s[12:13], v23, v27, v[24:25]
	s_waitcnt vmcnt(0)
	v_mad_u64_u32 v[12:13], s[12:13], v23, v28, v[12:13]
	v_mov_b32_e32 v13, v24
	s_andn2_b64 exec, exec, s[28:29]
	s_cbranch_execnz .LBB64_34
; %bb.35:                               ;   in Loop: Header=BB64_26 Depth=1
	s_or_b64 exec, exec, s[28:29]
	v_mov_b32_e32 v10, v13
	v_mov_b32_e32 v8, v12
.LBB64_36:                              ;   in Loop: Header=BB64_26 Depth=1
	s_or_b64 exec, exec, s[26:27]
.LBB64_37:                              ;   in Loop: Header=BB64_26 Depth=1
	s_or_b64 exec, exec, s[24:25]
                                        ; implicit-def: $vgpr11
.LBB64_38:                              ;   in Loop: Header=BB64_26 Depth=1
	s_andn2_saveexec_b64 s[12:13], s[14:15]
	s_cbranch_execz .LBB64_25
; %bb.39:                               ;   in Loop: Header=BB64_26 Depth=1
	s_waitcnt vmcnt(7)
	v_mul_hi_u32 v8, v11, v0
	v_add_u32_e32 v8, v11, v8
	s_waitcnt vmcnt(6)
	v_lshrrev_b32_e32 v12, v14, v8
	v_mul_lo_u32 v8, v12, v5
	v_sub_u32_e32 v8, v11, v8
	v_mul_lo_u32 v10, v8, v1
	s_waitcnt vmcnt(2)
	v_mul_lo_u32 v8, v8, v4
	s_and_saveexec_b64 s[14:15], s[4:5]
	s_cbranch_execz .LBB64_24
; %bb.40:                               ;   in Loop: Header=BB64_26 Depth=1
	v_mul_hi_u32 v11, v12, v2
	v_add_u32_e32 v11, v12, v11
	v_lshrrev_b32_e32 v11, v16, v11
	v_mul_lo_u32 v11, v11, v15
	v_sub_u32_e32 v11, v12, v11
	s_waitcnt vmcnt(0)
	v_mad_u64_u32 v[12:13], s[24:25], v11, v6, v[8:9]
	v_mad_u64_u32 v[10:11], s[24:25], v11, v3, v[10:11]
	v_mov_b32_e32 v8, v12
	s_branch .LBB64_24
.LBB64_41:
	s_endpgm
	.section	.rodata,"a",@progbits
	.p2align	6, 0x0
	.amdhsa_kernel _ZN2at6native12_GLOBAL__N_145unrolled_elementwise_kernel_for_multi_outputsILi2EZZZNS0_21prelu_backward_kernelERNS_14TensorIteratorEENKUlvE_clEvENKUlvE2_clEvEUlN3c104HalfES8_S8_E_St5arrayIPcLm5EE16OffsetCalculatorILi3EjLb0EESD_ILi2EjLb0EEEEviT0_T1_T2_T3_
		.amdhsa_group_segment_fixed_size 6144
		.amdhsa_private_segment_fixed_size 800
		.amdhsa_kernarg_size 760
		.amdhsa_user_sgpr_count 10
		.amdhsa_user_sgpr_private_segment_buffer 1
		.amdhsa_user_sgpr_dispatch_ptr 1
		.amdhsa_user_sgpr_queue_ptr 0
		.amdhsa_user_sgpr_kernarg_segment_ptr 1
		.amdhsa_user_sgpr_dispatch_id 0
		.amdhsa_user_sgpr_flat_scratch_init 1
		.amdhsa_user_sgpr_kernarg_preload_length 0
		.amdhsa_user_sgpr_kernarg_preload_offset 0
		.amdhsa_user_sgpr_private_segment_size 0
		.amdhsa_uses_dynamic_stack 0
		.amdhsa_system_sgpr_private_segment_wavefront_offset 1
		.amdhsa_system_sgpr_workgroup_id_x 1
		.amdhsa_system_sgpr_workgroup_id_y 0
		.amdhsa_system_sgpr_workgroup_id_z 0
		.amdhsa_system_sgpr_workgroup_info 0
		.amdhsa_system_vgpr_workitem_id 2
		.amdhsa_next_free_vgpr 42
		.amdhsa_next_free_sgpr 48
		.amdhsa_accum_offset 44
		.amdhsa_reserve_vcc 1
		.amdhsa_reserve_flat_scratch 0
		.amdhsa_float_round_mode_32 0
		.amdhsa_float_round_mode_16_64 0
		.amdhsa_float_denorm_mode_32 3
		.amdhsa_float_denorm_mode_16_64 3
		.amdhsa_dx10_clamp 1
		.amdhsa_ieee_mode 1
		.amdhsa_fp16_overflow 0
		.amdhsa_tg_split 0
		.amdhsa_exception_fp_ieee_invalid_op 0
		.amdhsa_exception_fp_denorm_src 0
		.amdhsa_exception_fp_ieee_div_zero 0
		.amdhsa_exception_fp_ieee_overflow 0
		.amdhsa_exception_fp_ieee_underflow 0
		.amdhsa_exception_fp_ieee_inexact 0
		.amdhsa_exception_int_div_zero 0
	.end_amdhsa_kernel
	.section	.text._ZN2at6native12_GLOBAL__N_145unrolled_elementwise_kernel_for_multi_outputsILi2EZZZNS0_21prelu_backward_kernelERNS_14TensorIteratorEENKUlvE_clEvENKUlvE2_clEvEUlN3c104HalfES8_S8_E_St5arrayIPcLm5EE16OffsetCalculatorILi3EjLb0EESD_ILi2EjLb0EEEEviT0_T1_T2_T3_,"axG",@progbits,_ZN2at6native12_GLOBAL__N_145unrolled_elementwise_kernel_for_multi_outputsILi2EZZZNS0_21prelu_backward_kernelERNS_14TensorIteratorEENKUlvE_clEvENKUlvE2_clEvEUlN3c104HalfES8_S8_E_St5arrayIPcLm5EE16OffsetCalculatorILi3EjLb0EESD_ILi2EjLb0EEEEviT0_T1_T2_T3_,comdat
.Lfunc_end64:
	.size	_ZN2at6native12_GLOBAL__N_145unrolled_elementwise_kernel_for_multi_outputsILi2EZZZNS0_21prelu_backward_kernelERNS_14TensorIteratorEENKUlvE_clEvENKUlvE2_clEvEUlN3c104HalfES8_S8_E_St5arrayIPcLm5EE16OffsetCalculatorILi3EjLb0EESD_ILi2EjLb0EEEEviT0_T1_T2_T3_, .Lfunc_end64-_ZN2at6native12_GLOBAL__N_145unrolled_elementwise_kernel_for_multi_outputsILi2EZZZNS0_21prelu_backward_kernelERNS_14TensorIteratorEENKUlvE_clEvENKUlvE2_clEvEUlN3c104HalfES8_S8_E_St5arrayIPcLm5EE16OffsetCalculatorILi3EjLb0EESD_ILi2EjLb0EEEEviT0_T1_T2_T3_
                                        ; -- End function
	.section	.AMDGPU.csdata,"",@progbits
; Kernel info:
; codeLenInByte = 5352
; NumSgprs: 52
; NumVgprs: 42
; NumAgprs: 0
; TotalNumVgprs: 42
; ScratchSize: 800
; MemoryBound: 0
; FloatMode: 240
; IeeeMode: 1
; LDSByteSize: 6144 bytes/workgroup (compile time only)
; SGPRBlocks: 6
; VGPRBlocks: 5
; NumSGPRsForWavesPerEU: 52
; NumVGPRsForWavesPerEU: 42
; AccumOffset: 44
; Occupancy: 8
; WaveLimiterHint : 1
; COMPUTE_PGM_RSRC2:SCRATCH_EN: 1
; COMPUTE_PGM_RSRC2:USER_SGPR: 10
; COMPUTE_PGM_RSRC2:TRAP_HANDLER: 0
; COMPUTE_PGM_RSRC2:TGID_X_EN: 1
; COMPUTE_PGM_RSRC2:TGID_Y_EN: 0
; COMPUTE_PGM_RSRC2:TGID_Z_EN: 0
; COMPUTE_PGM_RSRC2:TIDIG_COMP_CNT: 2
; COMPUTE_PGM_RSRC3_GFX90A:ACCUM_OFFSET: 10
; COMPUTE_PGM_RSRC3_GFX90A:TG_SPLIT: 0
	.text
	.p2alignl 6, 3212836864
	.fill 256, 4, 3212836864
	.type	__hip_cuid_3fbf13defa8138aa,@object ; @__hip_cuid_3fbf13defa8138aa
	.section	.bss,"aw",@nobits
	.globl	__hip_cuid_3fbf13defa8138aa
__hip_cuid_3fbf13defa8138aa:
	.byte	0                               ; 0x0
	.size	__hip_cuid_3fbf13defa8138aa, 1

	.ident	"AMD clang version 19.0.0git (https://github.com/RadeonOpenCompute/llvm-project roc-6.4.0 25133 c7fe45cf4b819c5991fe208aaa96edf142730f1d)"
	.section	".note.GNU-stack","",@progbits
	.addrsig
	.addrsig_sym __hip_cuid_3fbf13defa8138aa
	.amdgpu_metadata
---
amdhsa.kernels:
  - .agpr_count:     0
    .args:
      - .offset:         0
        .size:           4
        .value_kind:     by_value
      - .offset:         4
        .size:           1
        .value_kind:     by_value
      - .offset:         8
        .size:           24
        .value_kind:     by_value
    .group_segment_fixed_size: 0
    .kernarg_segment_align: 8
    .kernarg_segment_size: 32
    .language:       OpenCL C
    .language_version:
      - 2
      - 0
    .max_flat_workgroup_size: 256
    .name:           _ZN2at6native29vectorized_elementwise_kernelILi16EZZZNS0_12prelu_kernelERNS_14TensorIteratorEENKUlvE_clEvENKUlvE_clEvEUlddE_St5arrayIPcLm3EEEEviT0_T1_
    .private_segment_fixed_size: 0
    .sgpr_count:     20
    .sgpr_spill_count: 0
    .symbol:         _ZN2at6native29vectorized_elementwise_kernelILi16EZZZNS0_12prelu_kernelERNS_14TensorIteratorEENKUlvE_clEvENKUlvE_clEvEUlddE_St5arrayIPcLm3EEEEviT0_T1_.kd
    .uniform_work_group_size: 1
    .uses_dynamic_stack: false
    .vgpr_count:     24
    .vgpr_spill_count: 0
    .wavefront_size: 64
  - .agpr_count:     0
    .args:
      - .offset:         0
        .size:           4
        .value_kind:     by_value
      - .offset:         4
        .size:           1
        .value_kind:     by_value
      - .offset:         8
        .size:           24
        .value_kind:     by_value
    .group_segment_fixed_size: 0
    .kernarg_segment_align: 8
    .kernarg_segment_size: 32
    .language:       OpenCL C
    .language_version:
      - 2
      - 0
    .max_flat_workgroup_size: 256
    .name:           _ZN2at6native29vectorized_elementwise_kernelILi8EZZZNS0_12prelu_kernelERNS_14TensorIteratorEENKUlvE_clEvENKUlvE_clEvEUlddE_St5arrayIPcLm3EEEEviT0_T1_
    .private_segment_fixed_size: 0
    .sgpr_count:     20
    .sgpr_spill_count: 0
    .symbol:         _ZN2at6native29vectorized_elementwise_kernelILi8EZZZNS0_12prelu_kernelERNS_14TensorIteratorEENKUlvE_clEvENKUlvE_clEvEUlddE_St5arrayIPcLm3EEEEviT0_T1_.kd
    .uniform_work_group_size: 1
    .uses_dynamic_stack: false
    .vgpr_count:     24
    .vgpr_spill_count: 0
    .wavefront_size: 64
  - .agpr_count:     0
    .args:
      - .offset:         0
        .size:           4
        .value_kind:     by_value
      - .offset:         4
        .size:           1
        .value_kind:     by_value
      - .offset:         8
        .size:           24
        .value_kind:     by_value
    .group_segment_fixed_size: 0
    .kernarg_segment_align: 8
    .kernarg_segment_size: 32
    .language:       OpenCL C
    .language_version:
      - 2
      - 0
    .max_flat_workgroup_size: 256
    .name:           _ZN2at6native29vectorized_elementwise_kernelILi4EZZZNS0_12prelu_kernelERNS_14TensorIteratorEENKUlvE_clEvENKUlvE_clEvEUlddE_St5arrayIPcLm3EEEEviT0_T1_
    .private_segment_fixed_size: 0
    .sgpr_count:     20
    .sgpr_spill_count: 0
    .symbol:         _ZN2at6native29vectorized_elementwise_kernelILi4EZZZNS0_12prelu_kernelERNS_14TensorIteratorEENKUlvE_clEvENKUlvE_clEvEUlddE_St5arrayIPcLm3EEEEviT0_T1_.kd
    .uniform_work_group_size: 1
    .uses_dynamic_stack: false
    .vgpr_count:     24
    .vgpr_spill_count: 0
    .wavefront_size: 64
  - .agpr_count:     0
    .args:
      - .offset:         0
        .size:           4
        .value_kind:     by_value
      - .offset:         4
        .size:           1
        .value_kind:     by_value
      - .offset:         8
        .size:           24
        .value_kind:     by_value
    .group_segment_fixed_size: 0
    .kernarg_segment_align: 8
    .kernarg_segment_size: 32
    .language:       OpenCL C
    .language_version:
      - 2
      - 0
    .max_flat_workgroup_size: 256
    .name:           _ZN2at6native29vectorized_elementwise_kernelILi2EZZZNS0_12prelu_kernelERNS_14TensorIteratorEENKUlvE_clEvENKUlvE_clEvEUlddE_St5arrayIPcLm3EEEEviT0_T1_
    .private_segment_fixed_size: 0
    .sgpr_count:     20
    .sgpr_spill_count: 0
    .symbol:         _ZN2at6native29vectorized_elementwise_kernelILi2EZZZNS0_12prelu_kernelERNS_14TensorIteratorEENKUlvE_clEvENKUlvE_clEvEUlddE_St5arrayIPcLm3EEEEviT0_T1_.kd
    .uniform_work_group_size: 1
    .uses_dynamic_stack: false
    .vgpr_count:     24
    .vgpr_spill_count: 0
    .wavefront_size: 64
  - .agpr_count:     0
    .args:
      - .offset:         0
        .size:           4
        .value_kind:     by_value
      - .offset:         4
        .size:           1
        .value_kind:     by_value
      - .offset:         8
        .size:           24
        .value_kind:     by_value
      - .offset:         32
        .size:           1
        .value_kind:     by_value
      - .offset:         33
        .size:           1
        .value_kind:     by_value
      - .offset:         34
        .size:           1
        .value_kind:     by_value
      - .offset:         35
        .size:           1
        .value_kind:     by_value
    .group_segment_fixed_size: 0
    .kernarg_segment_align: 8
    .kernarg_segment_size: 36
    .language:       OpenCL C
    .language_version:
      - 2
      - 0
    .max_flat_workgroup_size: 256
    .name:           _ZN2at6native27unrolled_elementwise_kernelIZZZNS0_12prelu_kernelERNS_14TensorIteratorEENKUlvE_clEvENKUlvE_clEvEUlddE_St5arrayIPcLm3EELi4E23TrivialOffsetCalculatorILi2EjESA_ILi1EjENS0_6memory15LoadWithoutCastENSD_16StoreWithoutCastEEEviT_T0_T2_T3_T4_T5_
    .private_segment_fixed_size: 0
    .sgpr_count:     16
    .sgpr_spill_count: 0
    .symbol:         _ZN2at6native27unrolled_elementwise_kernelIZZZNS0_12prelu_kernelERNS_14TensorIteratorEENKUlvE_clEvENKUlvE_clEvEUlddE_St5arrayIPcLm3EELi4E23TrivialOffsetCalculatorILi2EjESA_ILi1EjENS0_6memory15LoadWithoutCastENSD_16StoreWithoutCastEEEviT_T0_T2_T3_T4_T5_.kd
    .uniform_work_group_size: 1
    .uses_dynamic_stack: false
    .vgpr_count:     24
    .vgpr_spill_count: 0
    .wavefront_size: 64
  - .agpr_count:     0
    .args:
      - .offset:         0
        .size:           4
        .value_kind:     by_value
      - .offset:         8
        .size:           424
        .value_kind:     by_value
    .group_segment_fixed_size: 0
    .kernarg_segment_align: 8
    .kernarg_segment_size: 432
    .language:       OpenCL C
    .language_version:
      - 2
      - 0
    .max_flat_workgroup_size: 128
    .name:           _ZN2at6native32elementwise_kernel_manual_unrollILi128ELi4EZNS0_22gpu_kernel_impl_nocastIZZZNS0_12prelu_kernelERNS_14TensorIteratorEENKUlvE_clEvENKUlvE_clEvEUlddE_EEvRNS_18TensorIteratorBaseERKT_EUlibE_EEviT1_
    .private_segment_fixed_size: 0
    .sgpr_count:     56
    .sgpr_spill_count: 0
    .symbol:         _ZN2at6native32elementwise_kernel_manual_unrollILi128ELi4EZNS0_22gpu_kernel_impl_nocastIZZZNS0_12prelu_kernelERNS_14TensorIteratorEENKUlvE_clEvENKUlvE_clEvEUlddE_EEvRNS_18TensorIteratorBaseERKT_EUlibE_EEviT1_.kd
    .uniform_work_group_size: 1
    .uses_dynamic_stack: false
    .vgpr_count:     40
    .vgpr_spill_count: 0
    .wavefront_size: 64
  - .agpr_count:     0
    .args:
      - .offset:         0
        .size:           4
        .value_kind:     by_value
      - .offset:         8
        .size:           40
        .value_kind:     by_value
    .group_segment_fixed_size: 0
    .kernarg_segment_align: 8
    .kernarg_segment_size: 48
    .language:       OpenCL C
    .language_version:
      - 2
      - 0
    .max_flat_workgroup_size: 128
    .name:           _ZN2at6native32elementwise_kernel_manual_unrollILi128ELi4EZNS0_15gpu_kernel_implIZZZNS0_12prelu_kernelERNS_14TensorIteratorEENKUlvE_clEvENKUlvE_clEvEUlddE_EEvRNS_18TensorIteratorBaseERKT_EUlibE_EEviT1_
    .private_segment_fixed_size: 0
    .sgpr_count:     58
    .sgpr_spill_count: 0
    .symbol:         _ZN2at6native32elementwise_kernel_manual_unrollILi128ELi4EZNS0_15gpu_kernel_implIZZZNS0_12prelu_kernelERNS_14TensorIteratorEENKUlvE_clEvENKUlvE_clEvEUlddE_EEvRNS_18TensorIteratorBaseERKT_EUlibE_EEviT1_.kd
    .uniform_work_group_size: 1
    .uses_dynamic_stack: false
    .vgpr_count:     25
    .vgpr_spill_count: 0
    .wavefront_size: 64
  - .agpr_count:     0
    .args:
      - .offset:         0
        .size:           4
        .value_kind:     by_value
      - .offset:         8
        .size:           424
        .value_kind:     by_value
    .group_segment_fixed_size: 0
    .kernarg_segment_align: 8
    .kernarg_segment_size: 432
    .language:       OpenCL C
    .language_version:
      - 2
      - 0
    .max_flat_workgroup_size: 128
    .name:           _ZN2at6native32elementwise_kernel_manual_unrollILi128ELi4EZNS0_15gpu_kernel_implIZZZNS0_12prelu_kernelERNS_14TensorIteratorEENKUlvE_clEvENKUlvE_clEvEUlddE_EEvRNS_18TensorIteratorBaseERKT_EUlibE0_EEviT1_
    .private_segment_fixed_size: 0
    .sgpr_count:     82
    .sgpr_spill_count: 0
    .symbol:         _ZN2at6native32elementwise_kernel_manual_unrollILi128ELi4EZNS0_15gpu_kernel_implIZZZNS0_12prelu_kernelERNS_14TensorIteratorEENKUlvE_clEvENKUlvE_clEvEUlddE_EEvRNS_18TensorIteratorBaseERKT_EUlibE0_EEviT1_.kd
    .uniform_work_group_size: 1
    .uses_dynamic_stack: false
    .vgpr_count:     28
    .vgpr_spill_count: 0
    .wavefront_size: 64
  - .agpr_count:     0
    .args:
      - .offset:         0
        .size:           4
        .value_kind:     by_value
      - .offset:         4
        .size:           1
        .value_kind:     by_value
      - .offset:         8
        .size:           24
        .value_kind:     by_value
    .group_segment_fixed_size: 0
    .kernarg_segment_align: 8
    .kernarg_segment_size: 32
    .language:       OpenCL C
    .language_version:
      - 2
      - 0
    .max_flat_workgroup_size: 256
    .name:           _ZN2at6native29vectorized_elementwise_kernelILi16EZZZNS0_12prelu_kernelERNS_14TensorIteratorEENKUlvE_clEvENKUlvE0_clEvEUlffE_St5arrayIPcLm3EEEEviT0_T1_
    .private_segment_fixed_size: 0
    .sgpr_count:     20
    .sgpr_spill_count: 0
    .symbol:         _ZN2at6native29vectorized_elementwise_kernelILi16EZZZNS0_12prelu_kernelERNS_14TensorIteratorEENKUlvE_clEvENKUlvE0_clEvEUlffE_St5arrayIPcLm3EEEEviT0_T1_.kd
    .uniform_work_group_size: 1
    .uses_dynamic_stack: false
    .vgpr_count:     16
    .vgpr_spill_count: 0
    .wavefront_size: 64
  - .agpr_count:     0
    .args:
      - .offset:         0
        .size:           4
        .value_kind:     by_value
      - .offset:         4
        .size:           1
        .value_kind:     by_value
      - .offset:         8
        .size:           24
        .value_kind:     by_value
    .group_segment_fixed_size: 0
    .kernarg_segment_align: 8
    .kernarg_segment_size: 32
    .language:       OpenCL C
    .language_version:
      - 2
      - 0
    .max_flat_workgroup_size: 256
    .name:           _ZN2at6native29vectorized_elementwise_kernelILi8EZZZNS0_12prelu_kernelERNS_14TensorIteratorEENKUlvE_clEvENKUlvE0_clEvEUlffE_St5arrayIPcLm3EEEEviT0_T1_
    .private_segment_fixed_size: 0
    .sgpr_count:     20
    .sgpr_spill_count: 0
    .symbol:         _ZN2at6native29vectorized_elementwise_kernelILi8EZZZNS0_12prelu_kernelERNS_14TensorIteratorEENKUlvE_clEvENKUlvE0_clEvEUlffE_St5arrayIPcLm3EEEEviT0_T1_.kd
    .uniform_work_group_size: 1
    .uses_dynamic_stack: false
    .vgpr_count:     16
    .vgpr_spill_count: 0
    .wavefront_size: 64
  - .agpr_count:     0
    .args:
      - .offset:         0
        .size:           4
        .value_kind:     by_value
      - .offset:         4
        .size:           1
        .value_kind:     by_value
      - .offset:         8
        .size:           24
        .value_kind:     by_value
    .group_segment_fixed_size: 0
    .kernarg_segment_align: 8
    .kernarg_segment_size: 32
    .language:       OpenCL C
    .language_version:
      - 2
      - 0
    .max_flat_workgroup_size: 256
    .name:           _ZN2at6native29vectorized_elementwise_kernelILi4EZZZNS0_12prelu_kernelERNS_14TensorIteratorEENKUlvE_clEvENKUlvE0_clEvEUlffE_St5arrayIPcLm3EEEEviT0_T1_
    .private_segment_fixed_size: 0
    .sgpr_count:     20
    .sgpr_spill_count: 0
    .symbol:         _ZN2at6native29vectorized_elementwise_kernelILi4EZZZNS0_12prelu_kernelERNS_14TensorIteratorEENKUlvE_clEvENKUlvE0_clEvEUlffE_St5arrayIPcLm3EEEEviT0_T1_.kd
    .uniform_work_group_size: 1
    .uses_dynamic_stack: false
    .vgpr_count:     16
    .vgpr_spill_count: 0
    .wavefront_size: 64
  - .agpr_count:     0
    .args:
      - .offset:         0
        .size:           4
        .value_kind:     by_value
      - .offset:         4
        .size:           1
        .value_kind:     by_value
      - .offset:         8
        .size:           24
        .value_kind:     by_value
    .group_segment_fixed_size: 0
    .kernarg_segment_align: 8
    .kernarg_segment_size: 32
    .language:       OpenCL C
    .language_version:
      - 2
      - 0
    .max_flat_workgroup_size: 256
    .name:           _ZN2at6native29vectorized_elementwise_kernelILi2EZZZNS0_12prelu_kernelERNS_14TensorIteratorEENKUlvE_clEvENKUlvE0_clEvEUlffE_St5arrayIPcLm3EEEEviT0_T1_
    .private_segment_fixed_size: 0
    .sgpr_count:     20
    .sgpr_spill_count: 0
    .symbol:         _ZN2at6native29vectorized_elementwise_kernelILi2EZZZNS0_12prelu_kernelERNS_14TensorIteratorEENKUlvE_clEvENKUlvE0_clEvEUlffE_St5arrayIPcLm3EEEEviT0_T1_.kd
    .uniform_work_group_size: 1
    .uses_dynamic_stack: false
    .vgpr_count:     16
    .vgpr_spill_count: 0
    .wavefront_size: 64
  - .agpr_count:     0
    .args:
      - .offset:         0
        .size:           4
        .value_kind:     by_value
      - .offset:         4
        .size:           1
        .value_kind:     by_value
      - .offset:         8
        .size:           24
        .value_kind:     by_value
      - .offset:         32
        .size:           1
        .value_kind:     by_value
      - .offset:         33
        .size:           1
        .value_kind:     by_value
      - .offset:         34
        .size:           1
        .value_kind:     by_value
      - .offset:         35
        .size:           1
        .value_kind:     by_value
    .group_segment_fixed_size: 0
    .kernarg_segment_align: 8
    .kernarg_segment_size: 36
    .language:       OpenCL C
    .language_version:
      - 2
      - 0
    .max_flat_workgroup_size: 256
    .name:           _ZN2at6native27unrolled_elementwise_kernelIZZZNS0_12prelu_kernelERNS_14TensorIteratorEENKUlvE_clEvENKUlvE0_clEvEUlffE_St5arrayIPcLm3EELi4E23TrivialOffsetCalculatorILi2EjESA_ILi1EjENS0_6memory15LoadWithoutCastENSD_16StoreWithoutCastEEEviT_T0_T2_T3_T4_T5_
    .private_segment_fixed_size: 0
    .sgpr_count:     16
    .sgpr_spill_count: 0
    .symbol:         _ZN2at6native27unrolled_elementwise_kernelIZZZNS0_12prelu_kernelERNS_14TensorIteratorEENKUlvE_clEvENKUlvE0_clEvEUlffE_St5arrayIPcLm3EELi4E23TrivialOffsetCalculatorILi2EjESA_ILi1EjENS0_6memory15LoadWithoutCastENSD_16StoreWithoutCastEEEviT_T0_T2_T3_T4_T5_.kd
    .uniform_work_group_size: 1
    .uses_dynamic_stack: false
    .vgpr_count:     16
    .vgpr_spill_count: 0
    .wavefront_size: 64
  - .agpr_count:     0
    .args:
      - .offset:         0
        .size:           4
        .value_kind:     by_value
      - .offset:         8
        .size:           424
        .value_kind:     by_value
    .group_segment_fixed_size: 0
    .kernarg_segment_align: 8
    .kernarg_segment_size: 432
    .language:       OpenCL C
    .language_version:
      - 2
      - 0
    .max_flat_workgroup_size: 128
    .name:           _ZN2at6native32elementwise_kernel_manual_unrollILi128ELi4EZNS0_22gpu_kernel_impl_nocastIZZZNS0_12prelu_kernelERNS_14TensorIteratorEENKUlvE_clEvENKUlvE0_clEvEUlffE_EEvRNS_18TensorIteratorBaseERKT_EUlibE_EEviT1_
    .private_segment_fixed_size: 0
    .sgpr_count:     56
    .sgpr_spill_count: 0
    .symbol:         _ZN2at6native32elementwise_kernel_manual_unrollILi128ELi4EZNS0_22gpu_kernel_impl_nocastIZZZNS0_12prelu_kernelERNS_14TensorIteratorEENKUlvE_clEvENKUlvE0_clEvEUlffE_EEvRNS_18TensorIteratorBaseERKT_EUlibE_EEviT1_.kd
    .uniform_work_group_size: 1
    .uses_dynamic_stack: false
    .vgpr_count:     25
    .vgpr_spill_count: 0
    .wavefront_size: 64
  - .agpr_count:     0
    .args:
      - .offset:         0
        .size:           4
        .value_kind:     by_value
      - .offset:         4
        .size:           1
        .value_kind:     by_value
      - .offset:         8
        .size:           24
        .value_kind:     by_value
      - .offset:         32
        .size:           1
        .value_kind:     by_value
      - .offset:         33
        .size:           1
        .value_kind:     by_value
      - .offset:         36
        .size:           12
        .value_kind:     by_value
      - .offset:         48
        .size:           8
        .value_kind:     by_value
      - .offset:         56
        .size:           4
        .value_kind:     hidden_block_count_x
      - .offset:         60
        .size:           4
        .value_kind:     hidden_block_count_y
      - .offset:         64
        .size:           4
        .value_kind:     hidden_block_count_z
      - .offset:         68
        .size:           2
        .value_kind:     hidden_group_size_x
      - .offset:         70
        .size:           2
        .value_kind:     hidden_group_size_y
      - .offset:         72
        .size:           2
        .value_kind:     hidden_group_size_z
      - .offset:         74
        .size:           2
        .value_kind:     hidden_remainder_x
      - .offset:         76
        .size:           2
        .value_kind:     hidden_remainder_y
      - .offset:         78
        .size:           2
        .value_kind:     hidden_remainder_z
      - .offset:         96
        .size:           8
        .value_kind:     hidden_global_offset_x
      - .offset:         104
        .size:           8
        .value_kind:     hidden_global_offset_y
      - .offset:         112
        .size:           8
        .value_kind:     hidden_global_offset_z
      - .offset:         120
        .size:           2
        .value_kind:     hidden_grid_dims
    .group_segment_fixed_size: 0
    .kernarg_segment_align: 8
    .kernarg_segment_size: 312
    .language:       OpenCL C
    .language_version:
      - 2
      - 0
    .max_flat_workgroup_size: 512
    .name:           _ZN2at6native39vectorized_templated_elementwise_kernelILi8EZZZNS0_12prelu_kernelERNS_14TensorIteratorEENKUlvE_clEvENKUlvE0_clEvEUlffE_St5arrayIPcLm3EE23TrivialOffsetCalculatorILi2EjESA_ILi1EjENS0_6memory12LoadWithCastILi2EEENSD_13StoreWithCastILi1EEEfJfN3c108BFloat16EEEEviT0_T1_T2_T3_T4_T5_
    .private_segment_fixed_size: 288
    .sgpr_count:     104
    .sgpr_spill_count: 0
    .symbol:         _ZN2at6native39vectorized_templated_elementwise_kernelILi8EZZZNS0_12prelu_kernelERNS_14TensorIteratorEENKUlvE_clEvENKUlvE0_clEvEUlffE_St5arrayIPcLm3EE23TrivialOffsetCalculatorILi2EjESA_ILi1EjENS0_6memory12LoadWithCastILi2EEENSD_13StoreWithCastILi1EEEfJfN3c108BFloat16EEEEviT0_T1_T2_T3_T4_T5_.kd
    .uniform_work_group_size: 1
    .uses_dynamic_stack: false
    .vgpr_count:     118
    .vgpr_spill_count: 0
    .wavefront_size: 64
  - .agpr_count:     0
    .args:
      - .offset:         0
        .size:           4
        .value_kind:     by_value
      - .offset:         4
        .size:           1
        .value_kind:     by_value
      - .offset:         8
        .size:           24
        .value_kind:     by_value
      - .offset:         32
        .size:           1
        .value_kind:     by_value
      - .offset:         33
        .size:           1
        .value_kind:     by_value
      - .offset:         36
        .size:           12
        .value_kind:     by_value
      - .offset:         48
        .size:           8
        .value_kind:     by_value
      - .offset:         56
        .size:           4
        .value_kind:     hidden_block_count_x
      - .offset:         60
        .size:           4
        .value_kind:     hidden_block_count_y
      - .offset:         64
        .size:           4
        .value_kind:     hidden_block_count_z
      - .offset:         68
        .size:           2
        .value_kind:     hidden_group_size_x
      - .offset:         70
        .size:           2
        .value_kind:     hidden_group_size_y
      - .offset:         72
        .size:           2
        .value_kind:     hidden_group_size_z
      - .offset:         74
        .size:           2
        .value_kind:     hidden_remainder_x
      - .offset:         76
        .size:           2
        .value_kind:     hidden_remainder_y
      - .offset:         78
        .size:           2
        .value_kind:     hidden_remainder_z
      - .offset:         96
        .size:           8
        .value_kind:     hidden_global_offset_x
      - .offset:         104
        .size:           8
        .value_kind:     hidden_global_offset_y
      - .offset:         112
        .size:           8
        .value_kind:     hidden_global_offset_z
      - .offset:         120
        .size:           2
        .value_kind:     hidden_grid_dims
    .group_segment_fixed_size: 0
    .kernarg_segment_align: 8
    .kernarg_segment_size: 312
    .language:       OpenCL C
    .language_version:
      - 2
      - 0
    .max_flat_workgroup_size: 512
    .name:           _ZN2at6native39vectorized_templated_elementwise_kernelILi4EZZZNS0_12prelu_kernelERNS_14TensorIteratorEENKUlvE_clEvENKUlvE0_clEvEUlffE_St5arrayIPcLm3EE23TrivialOffsetCalculatorILi2EjESA_ILi1EjENS0_6memory12LoadWithCastILi2EEENSD_13StoreWithCastILi1EEEfJfN3c108BFloat16EEEEviT0_T1_T2_T3_T4_T5_
    .private_segment_fixed_size: 288
    .sgpr_count:     104
    .sgpr_spill_count: 0
    .symbol:         _ZN2at6native39vectorized_templated_elementwise_kernelILi4EZZZNS0_12prelu_kernelERNS_14TensorIteratorEENKUlvE_clEvENKUlvE0_clEvEUlffE_St5arrayIPcLm3EE23TrivialOffsetCalculatorILi2EjESA_ILi1EjENS0_6memory12LoadWithCastILi2EEENSD_13StoreWithCastILi1EEEfJfN3c108BFloat16EEEEviT0_T1_T2_T3_T4_T5_.kd
    .uniform_work_group_size: 1
    .uses_dynamic_stack: false
    .vgpr_count:     118
    .vgpr_spill_count: 0
    .wavefront_size: 64
  - .agpr_count:     0
    .args:
      - .offset:         0
        .size:           4
        .value_kind:     by_value
      - .offset:         4
        .size:           1
        .value_kind:     by_value
      - .offset:         8
        .size:           24
        .value_kind:     by_value
      - .offset:         32
        .size:           1
        .value_kind:     by_value
      - .offset:         33
        .size:           1
        .value_kind:     by_value
      - .offset:         36
        .size:           12
        .value_kind:     by_value
      - .offset:         48
        .size:           8
        .value_kind:     by_value
      - .offset:         56
        .size:           4
        .value_kind:     hidden_block_count_x
      - .offset:         60
        .size:           4
        .value_kind:     hidden_block_count_y
      - .offset:         64
        .size:           4
        .value_kind:     hidden_block_count_z
      - .offset:         68
        .size:           2
        .value_kind:     hidden_group_size_x
      - .offset:         70
        .size:           2
        .value_kind:     hidden_group_size_y
      - .offset:         72
        .size:           2
        .value_kind:     hidden_group_size_z
      - .offset:         74
        .size:           2
        .value_kind:     hidden_remainder_x
      - .offset:         76
        .size:           2
        .value_kind:     hidden_remainder_y
      - .offset:         78
        .size:           2
        .value_kind:     hidden_remainder_z
      - .offset:         96
        .size:           8
        .value_kind:     hidden_global_offset_x
      - .offset:         104
        .size:           8
        .value_kind:     hidden_global_offset_y
      - .offset:         112
        .size:           8
        .value_kind:     hidden_global_offset_z
      - .offset:         120
        .size:           2
        .value_kind:     hidden_grid_dims
    .group_segment_fixed_size: 0
    .kernarg_segment_align: 8
    .kernarg_segment_size: 312
    .language:       OpenCL C
    .language_version:
      - 2
      - 0
    .max_flat_workgroup_size: 512
    .name:           _ZN2at6native39vectorized_templated_elementwise_kernelILi2EZZZNS0_12prelu_kernelERNS_14TensorIteratorEENKUlvE_clEvENKUlvE0_clEvEUlffE_St5arrayIPcLm3EE23TrivialOffsetCalculatorILi2EjESA_ILi1EjENS0_6memory12LoadWithCastILi2EEENSD_13StoreWithCastILi1EEEfJfN3c108BFloat16EEEEviT0_T1_T2_T3_T4_T5_
    .private_segment_fixed_size: 288
    .sgpr_count:     104
    .sgpr_spill_count: 0
    .symbol:         _ZN2at6native39vectorized_templated_elementwise_kernelILi2EZZZNS0_12prelu_kernelERNS_14TensorIteratorEENKUlvE_clEvENKUlvE0_clEvEUlffE_St5arrayIPcLm3EE23TrivialOffsetCalculatorILi2EjESA_ILi1EjENS0_6memory12LoadWithCastILi2EEENSD_13StoreWithCastILi1EEEfJfN3c108BFloat16EEEEviT0_T1_T2_T3_T4_T5_.kd
    .uniform_work_group_size: 1
    .uses_dynamic_stack: false
    .vgpr_count:     118
    .vgpr_spill_count: 0
    .wavefront_size: 64
  - .agpr_count:     0
    .args:
      - .offset:         0
        .size:           4
        .value_kind:     by_value
      - .offset:         4
        .size:           1
        .value_kind:     by_value
      - .offset:         8
        .size:           24
        .value_kind:     by_value
      - .offset:         32
        .size:           1
        .value_kind:     by_value
      - .offset:         33
        .size:           1
        .value_kind:     by_value
      - .offset:         36
        .size:           12
        .value_kind:     by_value
      - .offset:         48
        .size:           8
        .value_kind:     by_value
      - .offset:         56
        .size:           4
        .value_kind:     hidden_block_count_x
      - .offset:         60
        .size:           4
        .value_kind:     hidden_block_count_y
      - .offset:         64
        .size:           4
        .value_kind:     hidden_block_count_z
      - .offset:         68
        .size:           2
        .value_kind:     hidden_group_size_x
      - .offset:         70
        .size:           2
        .value_kind:     hidden_group_size_y
      - .offset:         72
        .size:           2
        .value_kind:     hidden_group_size_z
      - .offset:         74
        .size:           2
        .value_kind:     hidden_remainder_x
      - .offset:         76
        .size:           2
        .value_kind:     hidden_remainder_y
      - .offset:         78
        .size:           2
        .value_kind:     hidden_remainder_z
      - .offset:         96
        .size:           8
        .value_kind:     hidden_global_offset_x
      - .offset:         104
        .size:           8
        .value_kind:     hidden_global_offset_y
      - .offset:         112
        .size:           8
        .value_kind:     hidden_global_offset_z
      - .offset:         120
        .size:           2
        .value_kind:     hidden_grid_dims
    .group_segment_fixed_size: 0
    .kernarg_segment_align: 8
    .kernarg_segment_size: 312
    .language:       OpenCL C
    .language_version:
      - 2
      - 0
    .max_flat_workgroup_size: 512
    .name:           _ZN2at6native39vectorized_templated_elementwise_kernelILi8EZZZNS0_12prelu_kernelERNS_14TensorIteratorEENKUlvE_clEvENKUlvE0_clEvEUlffE_St5arrayIPcLm3EE23TrivialOffsetCalculatorILi2EjESA_ILi1EjENS0_6memory12LoadWithCastILi2EEENSD_13StoreWithCastILi1EEEfJN3c108BFloat16EfEEEviT0_T1_T2_T3_T4_T5_
    .private_segment_fixed_size: 288
    .sgpr_count:     104
    .sgpr_spill_count: 0
    .symbol:         _ZN2at6native39vectorized_templated_elementwise_kernelILi8EZZZNS0_12prelu_kernelERNS_14TensorIteratorEENKUlvE_clEvENKUlvE0_clEvEUlffE_St5arrayIPcLm3EE23TrivialOffsetCalculatorILi2EjESA_ILi1EjENS0_6memory12LoadWithCastILi2EEENSD_13StoreWithCastILi1EEEfJN3c108BFloat16EfEEEviT0_T1_T2_T3_T4_T5_.kd
    .uniform_work_group_size: 1
    .uses_dynamic_stack: false
    .vgpr_count:     118
    .vgpr_spill_count: 0
    .wavefront_size: 64
  - .agpr_count:     0
    .args:
      - .offset:         0
        .size:           4
        .value_kind:     by_value
      - .offset:         4
        .size:           1
        .value_kind:     by_value
      - .offset:         8
        .size:           24
        .value_kind:     by_value
      - .offset:         32
        .size:           1
        .value_kind:     by_value
      - .offset:         33
        .size:           1
        .value_kind:     by_value
      - .offset:         36
        .size:           12
        .value_kind:     by_value
      - .offset:         48
        .size:           8
        .value_kind:     by_value
      - .offset:         56
        .size:           4
        .value_kind:     hidden_block_count_x
      - .offset:         60
        .size:           4
        .value_kind:     hidden_block_count_y
      - .offset:         64
        .size:           4
        .value_kind:     hidden_block_count_z
      - .offset:         68
        .size:           2
        .value_kind:     hidden_group_size_x
      - .offset:         70
        .size:           2
        .value_kind:     hidden_group_size_y
      - .offset:         72
        .size:           2
        .value_kind:     hidden_group_size_z
      - .offset:         74
        .size:           2
        .value_kind:     hidden_remainder_x
      - .offset:         76
        .size:           2
        .value_kind:     hidden_remainder_y
      - .offset:         78
        .size:           2
        .value_kind:     hidden_remainder_z
      - .offset:         96
        .size:           8
        .value_kind:     hidden_global_offset_x
      - .offset:         104
        .size:           8
        .value_kind:     hidden_global_offset_y
      - .offset:         112
        .size:           8
        .value_kind:     hidden_global_offset_z
      - .offset:         120
        .size:           2
        .value_kind:     hidden_grid_dims
    .group_segment_fixed_size: 0
    .kernarg_segment_align: 8
    .kernarg_segment_size: 312
    .language:       OpenCL C
    .language_version:
      - 2
      - 0
    .max_flat_workgroup_size: 512
    .name:           _ZN2at6native39vectorized_templated_elementwise_kernelILi4EZZZNS0_12prelu_kernelERNS_14TensorIteratorEENKUlvE_clEvENKUlvE0_clEvEUlffE_St5arrayIPcLm3EE23TrivialOffsetCalculatorILi2EjESA_ILi1EjENS0_6memory12LoadWithCastILi2EEENSD_13StoreWithCastILi1EEEfJN3c108BFloat16EfEEEviT0_T1_T2_T3_T4_T5_
    .private_segment_fixed_size: 288
    .sgpr_count:     104
    .sgpr_spill_count: 0
    .symbol:         _ZN2at6native39vectorized_templated_elementwise_kernelILi4EZZZNS0_12prelu_kernelERNS_14TensorIteratorEENKUlvE_clEvENKUlvE0_clEvEUlffE_St5arrayIPcLm3EE23TrivialOffsetCalculatorILi2EjESA_ILi1EjENS0_6memory12LoadWithCastILi2EEENSD_13StoreWithCastILi1EEEfJN3c108BFloat16EfEEEviT0_T1_T2_T3_T4_T5_.kd
    .uniform_work_group_size: 1
    .uses_dynamic_stack: false
    .vgpr_count:     118
    .vgpr_spill_count: 0
    .wavefront_size: 64
  - .agpr_count:     0
    .args:
      - .offset:         0
        .size:           4
        .value_kind:     by_value
      - .offset:         4
        .size:           1
        .value_kind:     by_value
      - .offset:         8
        .size:           24
        .value_kind:     by_value
      - .offset:         32
        .size:           1
        .value_kind:     by_value
      - .offset:         33
        .size:           1
        .value_kind:     by_value
      - .offset:         36
        .size:           12
        .value_kind:     by_value
      - .offset:         48
        .size:           8
        .value_kind:     by_value
      - .offset:         56
        .size:           4
        .value_kind:     hidden_block_count_x
      - .offset:         60
        .size:           4
        .value_kind:     hidden_block_count_y
      - .offset:         64
        .size:           4
        .value_kind:     hidden_block_count_z
      - .offset:         68
        .size:           2
        .value_kind:     hidden_group_size_x
      - .offset:         70
        .size:           2
        .value_kind:     hidden_group_size_y
      - .offset:         72
        .size:           2
        .value_kind:     hidden_group_size_z
      - .offset:         74
        .size:           2
        .value_kind:     hidden_remainder_x
      - .offset:         76
        .size:           2
        .value_kind:     hidden_remainder_y
      - .offset:         78
        .size:           2
        .value_kind:     hidden_remainder_z
      - .offset:         96
        .size:           8
        .value_kind:     hidden_global_offset_x
      - .offset:         104
        .size:           8
        .value_kind:     hidden_global_offset_y
      - .offset:         112
        .size:           8
        .value_kind:     hidden_global_offset_z
      - .offset:         120
        .size:           2
        .value_kind:     hidden_grid_dims
    .group_segment_fixed_size: 0
    .kernarg_segment_align: 8
    .kernarg_segment_size: 312
    .language:       OpenCL C
    .language_version:
      - 2
      - 0
    .max_flat_workgroup_size: 512
    .name:           _ZN2at6native39vectorized_templated_elementwise_kernelILi2EZZZNS0_12prelu_kernelERNS_14TensorIteratorEENKUlvE_clEvENKUlvE0_clEvEUlffE_St5arrayIPcLm3EE23TrivialOffsetCalculatorILi2EjESA_ILi1EjENS0_6memory12LoadWithCastILi2EEENSD_13StoreWithCastILi1EEEfJN3c108BFloat16EfEEEviT0_T1_T2_T3_T4_T5_
    .private_segment_fixed_size: 288
    .sgpr_count:     104
    .sgpr_spill_count: 0
    .symbol:         _ZN2at6native39vectorized_templated_elementwise_kernelILi2EZZZNS0_12prelu_kernelERNS_14TensorIteratorEENKUlvE_clEvENKUlvE0_clEvEUlffE_St5arrayIPcLm3EE23TrivialOffsetCalculatorILi2EjESA_ILi1EjENS0_6memory12LoadWithCastILi2EEENSD_13StoreWithCastILi1EEEfJN3c108BFloat16EfEEEviT0_T1_T2_T3_T4_T5_.kd
    .uniform_work_group_size: 1
    .uses_dynamic_stack: false
    .vgpr_count:     118
    .vgpr_spill_count: 0
    .wavefront_size: 64
  - .agpr_count:     0
    .args:
      - .offset:         0
        .size:           4
        .value_kind:     by_value
      - .offset:         4
        .size:           1
        .value_kind:     by_value
      - .offset:         8
        .size:           24
        .value_kind:     by_value
      - .offset:         32
        .size:           1
        .value_kind:     by_value
      - .offset:         33
        .size:           1
        .value_kind:     by_value
      - .offset:         36
        .size:           12
        .value_kind:     by_value
      - .offset:         48
        .size:           8
        .value_kind:     by_value
      - .offset:         56
        .size:           4
        .value_kind:     hidden_block_count_x
      - .offset:         60
        .size:           4
        .value_kind:     hidden_block_count_y
      - .offset:         64
        .size:           4
        .value_kind:     hidden_block_count_z
      - .offset:         68
        .size:           2
        .value_kind:     hidden_group_size_x
      - .offset:         70
        .size:           2
        .value_kind:     hidden_group_size_y
      - .offset:         72
        .size:           2
        .value_kind:     hidden_group_size_z
      - .offset:         74
        .size:           2
        .value_kind:     hidden_remainder_x
      - .offset:         76
        .size:           2
        .value_kind:     hidden_remainder_y
      - .offset:         78
        .size:           2
        .value_kind:     hidden_remainder_z
      - .offset:         96
        .size:           8
        .value_kind:     hidden_global_offset_x
      - .offset:         104
        .size:           8
        .value_kind:     hidden_global_offset_y
      - .offset:         112
        .size:           8
        .value_kind:     hidden_global_offset_z
      - .offset:         120
        .size:           2
        .value_kind:     hidden_grid_dims
    .group_segment_fixed_size: 0
    .kernarg_segment_align: 8
    .kernarg_segment_size: 312
    .language:       OpenCL C
    .language_version:
      - 2
      - 0
    .max_flat_workgroup_size: 512
    .name:           _ZN2at6native39vectorized_templated_elementwise_kernelILi8EZZZNS0_12prelu_kernelERNS_14TensorIteratorEENKUlvE_clEvENKUlvE0_clEvEUlffE_St5arrayIPcLm3EE23TrivialOffsetCalculatorILi2EjESA_ILi1EjENS0_6memory12LoadWithCastILi2EEENSD_13StoreWithCastILi1EEEN3c108BFloat16EJSJ_fEEEviT0_T1_T2_T3_T4_T5_
    .private_segment_fixed_size: 288
    .sgpr_count:     104
    .sgpr_spill_count: 0
    .symbol:         _ZN2at6native39vectorized_templated_elementwise_kernelILi8EZZZNS0_12prelu_kernelERNS_14TensorIteratorEENKUlvE_clEvENKUlvE0_clEvEUlffE_St5arrayIPcLm3EE23TrivialOffsetCalculatorILi2EjESA_ILi1EjENS0_6memory12LoadWithCastILi2EEENSD_13StoreWithCastILi1EEEN3c108BFloat16EJSJ_fEEEviT0_T1_T2_T3_T4_T5_.kd
    .uniform_work_group_size: 1
    .uses_dynamic_stack: false
    .vgpr_count:     118
    .vgpr_spill_count: 0
    .wavefront_size: 64
  - .agpr_count:     0
    .args:
      - .offset:         0
        .size:           4
        .value_kind:     by_value
      - .offset:         4
        .size:           1
        .value_kind:     by_value
      - .offset:         8
        .size:           24
        .value_kind:     by_value
      - .offset:         32
        .size:           1
        .value_kind:     by_value
      - .offset:         33
        .size:           1
        .value_kind:     by_value
      - .offset:         36
        .size:           12
        .value_kind:     by_value
      - .offset:         48
        .size:           8
        .value_kind:     by_value
      - .offset:         56
        .size:           4
        .value_kind:     hidden_block_count_x
      - .offset:         60
        .size:           4
        .value_kind:     hidden_block_count_y
      - .offset:         64
        .size:           4
        .value_kind:     hidden_block_count_z
      - .offset:         68
        .size:           2
        .value_kind:     hidden_group_size_x
      - .offset:         70
        .size:           2
        .value_kind:     hidden_group_size_y
      - .offset:         72
        .size:           2
        .value_kind:     hidden_group_size_z
      - .offset:         74
        .size:           2
        .value_kind:     hidden_remainder_x
      - .offset:         76
        .size:           2
        .value_kind:     hidden_remainder_y
      - .offset:         78
        .size:           2
        .value_kind:     hidden_remainder_z
      - .offset:         96
        .size:           8
        .value_kind:     hidden_global_offset_x
      - .offset:         104
        .size:           8
        .value_kind:     hidden_global_offset_y
      - .offset:         112
        .size:           8
        .value_kind:     hidden_global_offset_z
      - .offset:         120
        .size:           2
        .value_kind:     hidden_grid_dims
    .group_segment_fixed_size: 0
    .kernarg_segment_align: 8
    .kernarg_segment_size: 312
    .language:       OpenCL C
    .language_version:
      - 2
      - 0
    .max_flat_workgroup_size: 512
    .name:           _ZN2at6native39vectorized_templated_elementwise_kernelILi4EZZZNS0_12prelu_kernelERNS_14TensorIteratorEENKUlvE_clEvENKUlvE0_clEvEUlffE_St5arrayIPcLm3EE23TrivialOffsetCalculatorILi2EjESA_ILi1EjENS0_6memory12LoadWithCastILi2EEENSD_13StoreWithCastILi1EEEN3c108BFloat16EJSJ_fEEEviT0_T1_T2_T3_T4_T5_
    .private_segment_fixed_size: 288
    .sgpr_count:     104
    .sgpr_spill_count: 0
    .symbol:         _ZN2at6native39vectorized_templated_elementwise_kernelILi4EZZZNS0_12prelu_kernelERNS_14TensorIteratorEENKUlvE_clEvENKUlvE0_clEvEUlffE_St5arrayIPcLm3EE23TrivialOffsetCalculatorILi2EjESA_ILi1EjENS0_6memory12LoadWithCastILi2EEENSD_13StoreWithCastILi1EEEN3c108BFloat16EJSJ_fEEEviT0_T1_T2_T3_T4_T5_.kd
    .uniform_work_group_size: 1
    .uses_dynamic_stack: false
    .vgpr_count:     118
    .vgpr_spill_count: 0
    .wavefront_size: 64
  - .agpr_count:     0
    .args:
      - .offset:         0
        .size:           4
        .value_kind:     by_value
      - .offset:         4
        .size:           1
        .value_kind:     by_value
      - .offset:         8
        .size:           24
        .value_kind:     by_value
      - .offset:         32
        .size:           1
        .value_kind:     by_value
      - .offset:         33
        .size:           1
        .value_kind:     by_value
      - .offset:         36
        .size:           12
        .value_kind:     by_value
      - .offset:         48
        .size:           8
        .value_kind:     by_value
      - .offset:         56
        .size:           4
        .value_kind:     hidden_block_count_x
      - .offset:         60
        .size:           4
        .value_kind:     hidden_block_count_y
      - .offset:         64
        .size:           4
        .value_kind:     hidden_block_count_z
      - .offset:         68
        .size:           2
        .value_kind:     hidden_group_size_x
      - .offset:         70
        .size:           2
        .value_kind:     hidden_group_size_y
      - .offset:         72
        .size:           2
        .value_kind:     hidden_group_size_z
      - .offset:         74
        .size:           2
        .value_kind:     hidden_remainder_x
      - .offset:         76
        .size:           2
        .value_kind:     hidden_remainder_y
      - .offset:         78
        .size:           2
        .value_kind:     hidden_remainder_z
      - .offset:         96
        .size:           8
        .value_kind:     hidden_global_offset_x
      - .offset:         104
        .size:           8
        .value_kind:     hidden_global_offset_y
      - .offset:         112
        .size:           8
        .value_kind:     hidden_global_offset_z
      - .offset:         120
        .size:           2
        .value_kind:     hidden_grid_dims
    .group_segment_fixed_size: 0
    .kernarg_segment_align: 8
    .kernarg_segment_size: 312
    .language:       OpenCL C
    .language_version:
      - 2
      - 0
    .max_flat_workgroup_size: 512
    .name:           _ZN2at6native39vectorized_templated_elementwise_kernelILi2EZZZNS0_12prelu_kernelERNS_14TensorIteratorEENKUlvE_clEvENKUlvE0_clEvEUlffE_St5arrayIPcLm3EE23TrivialOffsetCalculatorILi2EjESA_ILi1EjENS0_6memory12LoadWithCastILi2EEENSD_13StoreWithCastILi1EEEN3c108BFloat16EJSJ_fEEEviT0_T1_T2_T3_T4_T5_
    .private_segment_fixed_size: 288
    .sgpr_count:     104
    .sgpr_spill_count: 0
    .symbol:         _ZN2at6native39vectorized_templated_elementwise_kernelILi2EZZZNS0_12prelu_kernelERNS_14TensorIteratorEENKUlvE_clEvENKUlvE0_clEvEUlffE_St5arrayIPcLm3EE23TrivialOffsetCalculatorILi2EjESA_ILi1EjENS0_6memory12LoadWithCastILi2EEENSD_13StoreWithCastILi1EEEN3c108BFloat16EJSJ_fEEEviT0_T1_T2_T3_T4_T5_.kd
    .uniform_work_group_size: 1
    .uses_dynamic_stack: false
    .vgpr_count:     118
    .vgpr_spill_count: 0
    .wavefront_size: 64
  - .agpr_count:     0
    .args:
      - .offset:         0
        .size:           4
        .value_kind:     by_value
      - .offset:         4
        .size:           1
        .value_kind:     by_value
      - .offset:         8
        .size:           24
        .value_kind:     by_value
      - .offset:         32
        .size:           1
        .value_kind:     by_value
      - .offset:         33
        .size:           1
        .value_kind:     by_value
      - .offset:         36
        .size:           12
        .value_kind:     by_value
      - .offset:         48
        .size:           8
        .value_kind:     by_value
      - .offset:         56
        .size:           4
        .value_kind:     hidden_block_count_x
      - .offset:         60
        .size:           4
        .value_kind:     hidden_block_count_y
      - .offset:         64
        .size:           4
        .value_kind:     hidden_block_count_z
      - .offset:         68
        .size:           2
        .value_kind:     hidden_group_size_x
      - .offset:         70
        .size:           2
        .value_kind:     hidden_group_size_y
      - .offset:         72
        .size:           2
        .value_kind:     hidden_group_size_z
      - .offset:         74
        .size:           2
        .value_kind:     hidden_remainder_x
      - .offset:         76
        .size:           2
        .value_kind:     hidden_remainder_y
      - .offset:         78
        .size:           2
        .value_kind:     hidden_remainder_z
      - .offset:         96
        .size:           8
        .value_kind:     hidden_global_offset_x
      - .offset:         104
        .size:           8
        .value_kind:     hidden_global_offset_y
      - .offset:         112
        .size:           8
        .value_kind:     hidden_global_offset_z
      - .offset:         120
        .size:           2
        .value_kind:     hidden_grid_dims
    .group_segment_fixed_size: 0
    .kernarg_segment_align: 8
    .kernarg_segment_size: 312
    .language:       OpenCL C
    .language_version:
      - 2
      - 0
    .max_flat_workgroup_size: 512
    .name:           _ZN2at6native39vectorized_templated_elementwise_kernelILi8EZZZNS0_12prelu_kernelERNS_14TensorIteratorEENKUlvE_clEvENKUlvE0_clEvEUlffE_St5arrayIPcLm3EE23TrivialOffsetCalculatorILi2EjESA_ILi1EjENS0_6memory12LoadWithCastILi2EEENSD_13StoreWithCastILi1EEEfJfN3c104HalfEEEEviT0_T1_T2_T3_T4_T5_
    .private_segment_fixed_size: 288
    .sgpr_count:     104
    .sgpr_spill_count: 0
    .symbol:         _ZN2at6native39vectorized_templated_elementwise_kernelILi8EZZZNS0_12prelu_kernelERNS_14TensorIteratorEENKUlvE_clEvENKUlvE0_clEvEUlffE_St5arrayIPcLm3EE23TrivialOffsetCalculatorILi2EjESA_ILi1EjENS0_6memory12LoadWithCastILi2EEENSD_13StoreWithCastILi1EEEfJfN3c104HalfEEEEviT0_T1_T2_T3_T4_T5_.kd
    .uniform_work_group_size: 1
    .uses_dynamic_stack: false
    .vgpr_count:     118
    .vgpr_spill_count: 0
    .wavefront_size: 64
  - .agpr_count:     0
    .args:
      - .offset:         0
        .size:           4
        .value_kind:     by_value
      - .offset:         4
        .size:           1
        .value_kind:     by_value
      - .offset:         8
        .size:           24
        .value_kind:     by_value
      - .offset:         32
        .size:           1
        .value_kind:     by_value
      - .offset:         33
        .size:           1
        .value_kind:     by_value
      - .offset:         36
        .size:           12
        .value_kind:     by_value
      - .offset:         48
        .size:           8
        .value_kind:     by_value
      - .offset:         56
        .size:           4
        .value_kind:     hidden_block_count_x
      - .offset:         60
        .size:           4
        .value_kind:     hidden_block_count_y
      - .offset:         64
        .size:           4
        .value_kind:     hidden_block_count_z
      - .offset:         68
        .size:           2
        .value_kind:     hidden_group_size_x
      - .offset:         70
        .size:           2
        .value_kind:     hidden_group_size_y
      - .offset:         72
        .size:           2
        .value_kind:     hidden_group_size_z
      - .offset:         74
        .size:           2
        .value_kind:     hidden_remainder_x
      - .offset:         76
        .size:           2
        .value_kind:     hidden_remainder_y
      - .offset:         78
        .size:           2
        .value_kind:     hidden_remainder_z
      - .offset:         96
        .size:           8
        .value_kind:     hidden_global_offset_x
      - .offset:         104
        .size:           8
        .value_kind:     hidden_global_offset_y
      - .offset:         112
        .size:           8
        .value_kind:     hidden_global_offset_z
      - .offset:         120
        .size:           2
        .value_kind:     hidden_grid_dims
    .group_segment_fixed_size: 0
    .kernarg_segment_align: 8
    .kernarg_segment_size: 312
    .language:       OpenCL C
    .language_version:
      - 2
      - 0
    .max_flat_workgroup_size: 512
    .name:           _ZN2at6native39vectorized_templated_elementwise_kernelILi4EZZZNS0_12prelu_kernelERNS_14TensorIteratorEENKUlvE_clEvENKUlvE0_clEvEUlffE_St5arrayIPcLm3EE23TrivialOffsetCalculatorILi2EjESA_ILi1EjENS0_6memory12LoadWithCastILi2EEENSD_13StoreWithCastILi1EEEfJfN3c104HalfEEEEviT0_T1_T2_T3_T4_T5_
    .private_segment_fixed_size: 288
    .sgpr_count:     104
    .sgpr_spill_count: 0
    .symbol:         _ZN2at6native39vectorized_templated_elementwise_kernelILi4EZZZNS0_12prelu_kernelERNS_14TensorIteratorEENKUlvE_clEvENKUlvE0_clEvEUlffE_St5arrayIPcLm3EE23TrivialOffsetCalculatorILi2EjESA_ILi1EjENS0_6memory12LoadWithCastILi2EEENSD_13StoreWithCastILi1EEEfJfN3c104HalfEEEEviT0_T1_T2_T3_T4_T5_.kd
    .uniform_work_group_size: 1
    .uses_dynamic_stack: false
    .vgpr_count:     118
    .vgpr_spill_count: 0
    .wavefront_size: 64
  - .agpr_count:     0
    .args:
      - .offset:         0
        .size:           4
        .value_kind:     by_value
      - .offset:         4
        .size:           1
        .value_kind:     by_value
      - .offset:         8
        .size:           24
        .value_kind:     by_value
      - .offset:         32
        .size:           1
        .value_kind:     by_value
      - .offset:         33
        .size:           1
        .value_kind:     by_value
      - .offset:         36
        .size:           12
        .value_kind:     by_value
      - .offset:         48
        .size:           8
        .value_kind:     by_value
      - .offset:         56
        .size:           4
        .value_kind:     hidden_block_count_x
      - .offset:         60
        .size:           4
        .value_kind:     hidden_block_count_y
      - .offset:         64
        .size:           4
        .value_kind:     hidden_block_count_z
      - .offset:         68
        .size:           2
        .value_kind:     hidden_group_size_x
      - .offset:         70
        .size:           2
        .value_kind:     hidden_group_size_y
      - .offset:         72
        .size:           2
        .value_kind:     hidden_group_size_z
      - .offset:         74
        .size:           2
        .value_kind:     hidden_remainder_x
      - .offset:         76
        .size:           2
        .value_kind:     hidden_remainder_y
      - .offset:         78
        .size:           2
        .value_kind:     hidden_remainder_z
      - .offset:         96
        .size:           8
        .value_kind:     hidden_global_offset_x
      - .offset:         104
        .size:           8
        .value_kind:     hidden_global_offset_y
      - .offset:         112
        .size:           8
        .value_kind:     hidden_global_offset_z
      - .offset:         120
        .size:           2
        .value_kind:     hidden_grid_dims
    .group_segment_fixed_size: 0
    .kernarg_segment_align: 8
    .kernarg_segment_size: 312
    .language:       OpenCL C
    .language_version:
      - 2
      - 0
    .max_flat_workgroup_size: 512
    .name:           _ZN2at6native39vectorized_templated_elementwise_kernelILi2EZZZNS0_12prelu_kernelERNS_14TensorIteratorEENKUlvE_clEvENKUlvE0_clEvEUlffE_St5arrayIPcLm3EE23TrivialOffsetCalculatorILi2EjESA_ILi1EjENS0_6memory12LoadWithCastILi2EEENSD_13StoreWithCastILi1EEEfJfN3c104HalfEEEEviT0_T1_T2_T3_T4_T5_
    .private_segment_fixed_size: 288
    .sgpr_count:     104
    .sgpr_spill_count: 0
    .symbol:         _ZN2at6native39vectorized_templated_elementwise_kernelILi2EZZZNS0_12prelu_kernelERNS_14TensorIteratorEENKUlvE_clEvENKUlvE0_clEvEUlffE_St5arrayIPcLm3EE23TrivialOffsetCalculatorILi2EjESA_ILi1EjENS0_6memory12LoadWithCastILi2EEENSD_13StoreWithCastILi1EEEfJfN3c104HalfEEEEviT0_T1_T2_T3_T4_T5_.kd
    .uniform_work_group_size: 1
    .uses_dynamic_stack: false
    .vgpr_count:     118
    .vgpr_spill_count: 0
    .wavefront_size: 64
  - .agpr_count:     0
    .args:
      - .offset:         0
        .size:           4
        .value_kind:     by_value
      - .offset:         4
        .size:           1
        .value_kind:     by_value
      - .offset:         8
        .size:           24
        .value_kind:     by_value
      - .offset:         32
        .size:           1
        .value_kind:     by_value
      - .offset:         33
        .size:           1
        .value_kind:     by_value
      - .offset:         36
        .size:           12
        .value_kind:     by_value
      - .offset:         48
        .size:           8
        .value_kind:     by_value
      - .offset:         56
        .size:           4
        .value_kind:     hidden_block_count_x
      - .offset:         60
        .size:           4
        .value_kind:     hidden_block_count_y
      - .offset:         64
        .size:           4
        .value_kind:     hidden_block_count_z
      - .offset:         68
        .size:           2
        .value_kind:     hidden_group_size_x
      - .offset:         70
        .size:           2
        .value_kind:     hidden_group_size_y
      - .offset:         72
        .size:           2
        .value_kind:     hidden_group_size_z
      - .offset:         74
        .size:           2
        .value_kind:     hidden_remainder_x
      - .offset:         76
        .size:           2
        .value_kind:     hidden_remainder_y
      - .offset:         78
        .size:           2
        .value_kind:     hidden_remainder_z
      - .offset:         96
        .size:           8
        .value_kind:     hidden_global_offset_x
      - .offset:         104
        .size:           8
        .value_kind:     hidden_global_offset_y
      - .offset:         112
        .size:           8
        .value_kind:     hidden_global_offset_z
      - .offset:         120
        .size:           2
        .value_kind:     hidden_grid_dims
    .group_segment_fixed_size: 0
    .kernarg_segment_align: 8
    .kernarg_segment_size: 312
    .language:       OpenCL C
    .language_version:
      - 2
      - 0
    .max_flat_workgroup_size: 512
    .name:           _ZN2at6native39vectorized_templated_elementwise_kernelILi8EZZZNS0_12prelu_kernelERNS_14TensorIteratorEENKUlvE_clEvENKUlvE0_clEvEUlffE_St5arrayIPcLm3EE23TrivialOffsetCalculatorILi2EjESA_ILi1EjENS0_6memory12LoadWithCastILi2EEENSD_13StoreWithCastILi1EEEfJN3c104HalfEfEEEviT0_T1_T2_T3_T4_T5_
    .private_segment_fixed_size: 288
    .sgpr_count:     104
    .sgpr_spill_count: 0
    .symbol:         _ZN2at6native39vectorized_templated_elementwise_kernelILi8EZZZNS0_12prelu_kernelERNS_14TensorIteratorEENKUlvE_clEvENKUlvE0_clEvEUlffE_St5arrayIPcLm3EE23TrivialOffsetCalculatorILi2EjESA_ILi1EjENS0_6memory12LoadWithCastILi2EEENSD_13StoreWithCastILi1EEEfJN3c104HalfEfEEEviT0_T1_T2_T3_T4_T5_.kd
    .uniform_work_group_size: 1
    .uses_dynamic_stack: false
    .vgpr_count:     118
    .vgpr_spill_count: 0
    .wavefront_size: 64
  - .agpr_count:     0
    .args:
      - .offset:         0
        .size:           4
        .value_kind:     by_value
      - .offset:         4
        .size:           1
        .value_kind:     by_value
      - .offset:         8
        .size:           24
        .value_kind:     by_value
      - .offset:         32
        .size:           1
        .value_kind:     by_value
      - .offset:         33
        .size:           1
        .value_kind:     by_value
      - .offset:         36
        .size:           12
        .value_kind:     by_value
      - .offset:         48
        .size:           8
        .value_kind:     by_value
      - .offset:         56
        .size:           4
        .value_kind:     hidden_block_count_x
      - .offset:         60
        .size:           4
        .value_kind:     hidden_block_count_y
      - .offset:         64
        .size:           4
        .value_kind:     hidden_block_count_z
      - .offset:         68
        .size:           2
        .value_kind:     hidden_group_size_x
      - .offset:         70
        .size:           2
        .value_kind:     hidden_group_size_y
      - .offset:         72
        .size:           2
        .value_kind:     hidden_group_size_z
      - .offset:         74
        .size:           2
        .value_kind:     hidden_remainder_x
      - .offset:         76
        .size:           2
        .value_kind:     hidden_remainder_y
      - .offset:         78
        .size:           2
        .value_kind:     hidden_remainder_z
      - .offset:         96
        .size:           8
        .value_kind:     hidden_global_offset_x
      - .offset:         104
        .size:           8
        .value_kind:     hidden_global_offset_y
      - .offset:         112
        .size:           8
        .value_kind:     hidden_global_offset_z
      - .offset:         120
        .size:           2
        .value_kind:     hidden_grid_dims
    .group_segment_fixed_size: 0
    .kernarg_segment_align: 8
    .kernarg_segment_size: 312
    .language:       OpenCL C
    .language_version:
      - 2
      - 0
    .max_flat_workgroup_size: 512
    .name:           _ZN2at6native39vectorized_templated_elementwise_kernelILi4EZZZNS0_12prelu_kernelERNS_14TensorIteratorEENKUlvE_clEvENKUlvE0_clEvEUlffE_St5arrayIPcLm3EE23TrivialOffsetCalculatorILi2EjESA_ILi1EjENS0_6memory12LoadWithCastILi2EEENSD_13StoreWithCastILi1EEEfJN3c104HalfEfEEEviT0_T1_T2_T3_T4_T5_
    .private_segment_fixed_size: 288
    .sgpr_count:     104
    .sgpr_spill_count: 0
    .symbol:         _ZN2at6native39vectorized_templated_elementwise_kernelILi4EZZZNS0_12prelu_kernelERNS_14TensorIteratorEENKUlvE_clEvENKUlvE0_clEvEUlffE_St5arrayIPcLm3EE23TrivialOffsetCalculatorILi2EjESA_ILi1EjENS0_6memory12LoadWithCastILi2EEENSD_13StoreWithCastILi1EEEfJN3c104HalfEfEEEviT0_T1_T2_T3_T4_T5_.kd
    .uniform_work_group_size: 1
    .uses_dynamic_stack: false
    .vgpr_count:     118
    .vgpr_spill_count: 0
    .wavefront_size: 64
  - .agpr_count:     0
    .args:
      - .offset:         0
        .size:           4
        .value_kind:     by_value
      - .offset:         4
        .size:           1
        .value_kind:     by_value
      - .offset:         8
        .size:           24
        .value_kind:     by_value
      - .offset:         32
        .size:           1
        .value_kind:     by_value
      - .offset:         33
        .size:           1
        .value_kind:     by_value
      - .offset:         36
        .size:           12
        .value_kind:     by_value
      - .offset:         48
        .size:           8
        .value_kind:     by_value
      - .offset:         56
        .size:           4
        .value_kind:     hidden_block_count_x
      - .offset:         60
        .size:           4
        .value_kind:     hidden_block_count_y
      - .offset:         64
        .size:           4
        .value_kind:     hidden_block_count_z
      - .offset:         68
        .size:           2
        .value_kind:     hidden_group_size_x
      - .offset:         70
        .size:           2
        .value_kind:     hidden_group_size_y
      - .offset:         72
        .size:           2
        .value_kind:     hidden_group_size_z
      - .offset:         74
        .size:           2
        .value_kind:     hidden_remainder_x
      - .offset:         76
        .size:           2
        .value_kind:     hidden_remainder_y
      - .offset:         78
        .size:           2
        .value_kind:     hidden_remainder_z
      - .offset:         96
        .size:           8
        .value_kind:     hidden_global_offset_x
      - .offset:         104
        .size:           8
        .value_kind:     hidden_global_offset_y
      - .offset:         112
        .size:           8
        .value_kind:     hidden_global_offset_z
      - .offset:         120
        .size:           2
        .value_kind:     hidden_grid_dims
    .group_segment_fixed_size: 0
    .kernarg_segment_align: 8
    .kernarg_segment_size: 312
    .language:       OpenCL C
    .language_version:
      - 2
      - 0
    .max_flat_workgroup_size: 512
    .name:           _ZN2at6native39vectorized_templated_elementwise_kernelILi2EZZZNS0_12prelu_kernelERNS_14TensorIteratorEENKUlvE_clEvENKUlvE0_clEvEUlffE_St5arrayIPcLm3EE23TrivialOffsetCalculatorILi2EjESA_ILi1EjENS0_6memory12LoadWithCastILi2EEENSD_13StoreWithCastILi1EEEfJN3c104HalfEfEEEviT0_T1_T2_T3_T4_T5_
    .private_segment_fixed_size: 288
    .sgpr_count:     104
    .sgpr_spill_count: 0
    .symbol:         _ZN2at6native39vectorized_templated_elementwise_kernelILi2EZZZNS0_12prelu_kernelERNS_14TensorIteratorEENKUlvE_clEvENKUlvE0_clEvEUlffE_St5arrayIPcLm3EE23TrivialOffsetCalculatorILi2EjESA_ILi1EjENS0_6memory12LoadWithCastILi2EEENSD_13StoreWithCastILi1EEEfJN3c104HalfEfEEEviT0_T1_T2_T3_T4_T5_.kd
    .uniform_work_group_size: 1
    .uses_dynamic_stack: false
    .vgpr_count:     118
    .vgpr_spill_count: 0
    .wavefront_size: 64
  - .agpr_count:     0
    .args:
      - .offset:         0
        .size:           4
        .value_kind:     by_value
      - .offset:         4
        .size:           1
        .value_kind:     by_value
      - .offset:         8
        .size:           24
        .value_kind:     by_value
      - .offset:         32
        .size:           1
        .value_kind:     by_value
      - .offset:         33
        .size:           1
        .value_kind:     by_value
      - .offset:         36
        .size:           12
        .value_kind:     by_value
      - .offset:         48
        .size:           8
        .value_kind:     by_value
      - .offset:         56
        .size:           4
        .value_kind:     hidden_block_count_x
      - .offset:         60
        .size:           4
        .value_kind:     hidden_block_count_y
      - .offset:         64
        .size:           4
        .value_kind:     hidden_block_count_z
      - .offset:         68
        .size:           2
        .value_kind:     hidden_group_size_x
      - .offset:         70
        .size:           2
        .value_kind:     hidden_group_size_y
      - .offset:         72
        .size:           2
        .value_kind:     hidden_group_size_z
      - .offset:         74
        .size:           2
        .value_kind:     hidden_remainder_x
      - .offset:         76
        .size:           2
        .value_kind:     hidden_remainder_y
      - .offset:         78
        .size:           2
        .value_kind:     hidden_remainder_z
      - .offset:         96
        .size:           8
        .value_kind:     hidden_global_offset_x
      - .offset:         104
        .size:           8
        .value_kind:     hidden_global_offset_y
      - .offset:         112
        .size:           8
        .value_kind:     hidden_global_offset_z
      - .offset:         120
        .size:           2
        .value_kind:     hidden_grid_dims
    .group_segment_fixed_size: 0
    .kernarg_segment_align: 8
    .kernarg_segment_size: 312
    .language:       OpenCL C
    .language_version:
      - 2
      - 0
    .max_flat_workgroup_size: 512
    .name:           _ZN2at6native39vectorized_templated_elementwise_kernelILi8EZZZNS0_12prelu_kernelERNS_14TensorIteratorEENKUlvE_clEvENKUlvE0_clEvEUlffE_St5arrayIPcLm3EE23TrivialOffsetCalculatorILi2EjESA_ILi1EjENS0_6memory12LoadWithCastILi2EEENSD_13StoreWithCastILi1EEEN3c104HalfEJSJ_fEEEviT0_T1_T2_T3_T4_T5_
    .private_segment_fixed_size: 288
    .sgpr_count:     104
    .sgpr_spill_count: 0
    .symbol:         _ZN2at6native39vectorized_templated_elementwise_kernelILi8EZZZNS0_12prelu_kernelERNS_14TensorIteratorEENKUlvE_clEvENKUlvE0_clEvEUlffE_St5arrayIPcLm3EE23TrivialOffsetCalculatorILi2EjESA_ILi1EjENS0_6memory12LoadWithCastILi2EEENSD_13StoreWithCastILi1EEEN3c104HalfEJSJ_fEEEviT0_T1_T2_T3_T4_T5_.kd
    .uniform_work_group_size: 1
    .uses_dynamic_stack: false
    .vgpr_count:     118
    .vgpr_spill_count: 0
    .wavefront_size: 64
  - .agpr_count:     0
    .args:
      - .offset:         0
        .size:           4
        .value_kind:     by_value
      - .offset:         4
        .size:           1
        .value_kind:     by_value
      - .offset:         8
        .size:           24
        .value_kind:     by_value
      - .offset:         32
        .size:           1
        .value_kind:     by_value
      - .offset:         33
        .size:           1
        .value_kind:     by_value
      - .offset:         36
        .size:           12
        .value_kind:     by_value
      - .offset:         48
        .size:           8
        .value_kind:     by_value
      - .offset:         56
        .size:           4
        .value_kind:     hidden_block_count_x
      - .offset:         60
        .size:           4
        .value_kind:     hidden_block_count_y
      - .offset:         64
        .size:           4
        .value_kind:     hidden_block_count_z
      - .offset:         68
        .size:           2
        .value_kind:     hidden_group_size_x
      - .offset:         70
        .size:           2
        .value_kind:     hidden_group_size_y
      - .offset:         72
        .size:           2
        .value_kind:     hidden_group_size_z
      - .offset:         74
        .size:           2
        .value_kind:     hidden_remainder_x
      - .offset:         76
        .size:           2
        .value_kind:     hidden_remainder_y
      - .offset:         78
        .size:           2
        .value_kind:     hidden_remainder_z
      - .offset:         96
        .size:           8
        .value_kind:     hidden_global_offset_x
      - .offset:         104
        .size:           8
        .value_kind:     hidden_global_offset_y
      - .offset:         112
        .size:           8
        .value_kind:     hidden_global_offset_z
      - .offset:         120
        .size:           2
        .value_kind:     hidden_grid_dims
    .group_segment_fixed_size: 0
    .kernarg_segment_align: 8
    .kernarg_segment_size: 312
    .language:       OpenCL C
    .language_version:
      - 2
      - 0
    .max_flat_workgroup_size: 512
    .name:           _ZN2at6native39vectorized_templated_elementwise_kernelILi4EZZZNS0_12prelu_kernelERNS_14TensorIteratorEENKUlvE_clEvENKUlvE0_clEvEUlffE_St5arrayIPcLm3EE23TrivialOffsetCalculatorILi2EjESA_ILi1EjENS0_6memory12LoadWithCastILi2EEENSD_13StoreWithCastILi1EEEN3c104HalfEJSJ_fEEEviT0_T1_T2_T3_T4_T5_
    .private_segment_fixed_size: 288
    .sgpr_count:     104
    .sgpr_spill_count: 0
    .symbol:         _ZN2at6native39vectorized_templated_elementwise_kernelILi4EZZZNS0_12prelu_kernelERNS_14TensorIteratorEENKUlvE_clEvENKUlvE0_clEvEUlffE_St5arrayIPcLm3EE23TrivialOffsetCalculatorILi2EjESA_ILi1EjENS0_6memory12LoadWithCastILi2EEENSD_13StoreWithCastILi1EEEN3c104HalfEJSJ_fEEEviT0_T1_T2_T3_T4_T5_.kd
    .uniform_work_group_size: 1
    .uses_dynamic_stack: false
    .vgpr_count:     118
    .vgpr_spill_count: 0
    .wavefront_size: 64
  - .agpr_count:     0
    .args:
      - .offset:         0
        .size:           4
        .value_kind:     by_value
      - .offset:         4
        .size:           1
        .value_kind:     by_value
      - .offset:         8
        .size:           24
        .value_kind:     by_value
      - .offset:         32
        .size:           1
        .value_kind:     by_value
      - .offset:         33
        .size:           1
        .value_kind:     by_value
      - .offset:         36
        .size:           12
        .value_kind:     by_value
      - .offset:         48
        .size:           8
        .value_kind:     by_value
      - .offset:         56
        .size:           4
        .value_kind:     hidden_block_count_x
      - .offset:         60
        .size:           4
        .value_kind:     hidden_block_count_y
      - .offset:         64
        .size:           4
        .value_kind:     hidden_block_count_z
      - .offset:         68
        .size:           2
        .value_kind:     hidden_group_size_x
      - .offset:         70
        .size:           2
        .value_kind:     hidden_group_size_y
      - .offset:         72
        .size:           2
        .value_kind:     hidden_group_size_z
      - .offset:         74
        .size:           2
        .value_kind:     hidden_remainder_x
      - .offset:         76
        .size:           2
        .value_kind:     hidden_remainder_y
      - .offset:         78
        .size:           2
        .value_kind:     hidden_remainder_z
      - .offset:         96
        .size:           8
        .value_kind:     hidden_global_offset_x
      - .offset:         104
        .size:           8
        .value_kind:     hidden_global_offset_y
      - .offset:         112
        .size:           8
        .value_kind:     hidden_global_offset_z
      - .offset:         120
        .size:           2
        .value_kind:     hidden_grid_dims
    .group_segment_fixed_size: 0
    .kernarg_segment_align: 8
    .kernarg_segment_size: 312
    .language:       OpenCL C
    .language_version:
      - 2
      - 0
    .max_flat_workgroup_size: 512
    .name:           _ZN2at6native39vectorized_templated_elementwise_kernelILi2EZZZNS0_12prelu_kernelERNS_14TensorIteratorEENKUlvE_clEvENKUlvE0_clEvEUlffE_St5arrayIPcLm3EE23TrivialOffsetCalculatorILi2EjESA_ILi1EjENS0_6memory12LoadWithCastILi2EEENSD_13StoreWithCastILi1EEEN3c104HalfEJSJ_fEEEviT0_T1_T2_T3_T4_T5_
    .private_segment_fixed_size: 288
    .sgpr_count:     104
    .sgpr_spill_count: 0
    .symbol:         _ZN2at6native39vectorized_templated_elementwise_kernelILi2EZZZNS0_12prelu_kernelERNS_14TensorIteratorEENKUlvE_clEvENKUlvE0_clEvEUlffE_St5arrayIPcLm3EE23TrivialOffsetCalculatorILi2EjESA_ILi1EjENS0_6memory12LoadWithCastILi2EEENSD_13StoreWithCastILi1EEEN3c104HalfEJSJ_fEEEviT0_T1_T2_T3_T4_T5_.kd
    .uniform_work_group_size: 1
    .uses_dynamic_stack: false
    .vgpr_count:     118
    .vgpr_spill_count: 0
    .wavefront_size: 64
  - .agpr_count:     0
    .args:
      - .offset:         0
        .size:           4
        .value_kind:     by_value
      - .offset:         8
        .size:           40
        .value_kind:     by_value
    .group_segment_fixed_size: 0
    .kernarg_segment_align: 8
    .kernarg_segment_size: 48
    .language:       OpenCL C
    .language_version:
      - 2
      - 0
    .max_flat_workgroup_size: 128
    .name:           _ZN2at6native32elementwise_kernel_manual_unrollILi128ELi4EZNS0_15gpu_kernel_implIZZZNS0_12prelu_kernelERNS_14TensorIteratorEENKUlvE_clEvENKUlvE0_clEvEUlffE_EEvRNS_18TensorIteratorBaseERKT_EUlibE_EEviT1_
    .private_segment_fixed_size: 0
    .sgpr_count:     58
    .sgpr_spill_count: 0
    .symbol:         _ZN2at6native32elementwise_kernel_manual_unrollILi128ELi4EZNS0_15gpu_kernel_implIZZZNS0_12prelu_kernelERNS_14TensorIteratorEENKUlvE_clEvENKUlvE0_clEvEUlffE_EEvRNS_18TensorIteratorBaseERKT_EUlibE_EEviT1_.kd
    .uniform_work_group_size: 1
    .uses_dynamic_stack: false
    .vgpr_count:     19
    .vgpr_spill_count: 0
    .wavefront_size: 64
  - .agpr_count:     0
    .args:
      - .offset:         0
        .size:           4
        .value_kind:     by_value
      - .offset:         8
        .size:           424
        .value_kind:     by_value
    .group_segment_fixed_size: 0
    .kernarg_segment_align: 8
    .kernarg_segment_size: 432
    .language:       OpenCL C
    .language_version:
      - 2
      - 0
    .max_flat_workgroup_size: 128
    .name:           _ZN2at6native32elementwise_kernel_manual_unrollILi128ELi4EZNS0_12_GLOBAL__N_142type_specialized_broadcast_kernel_launcherILi0EE5applyIZZZNS0_12prelu_kernelERNS_14TensorIteratorEENKUlvE_clEvENKUlvE0_clEvEUlffE_St5arrayIPcLm3EESB_IN3c1010ScalarTypeELm3EE16OffsetCalculatorILi3EjLb0EEEEvlT_T0_T1_T2_EUlibE_EEviSL_
    .private_segment_fixed_size: 0
    .sgpr_count:     56
    .sgpr_spill_count: 0
    .symbol:         _ZN2at6native32elementwise_kernel_manual_unrollILi128ELi4EZNS0_12_GLOBAL__N_142type_specialized_broadcast_kernel_launcherILi0EE5applyIZZZNS0_12prelu_kernelERNS_14TensorIteratorEENKUlvE_clEvENKUlvE0_clEvEUlffE_St5arrayIPcLm3EESB_IN3c1010ScalarTypeELm3EE16OffsetCalculatorILi3EjLb0EEEEvlT_T0_T1_T2_EUlibE_EEviSL_.kd
    .uniform_work_group_size: 1
    .uses_dynamic_stack: false
    .vgpr_count:     25
    .vgpr_spill_count: 0
    .wavefront_size: 64
  - .agpr_count:     0
    .args:
      - .offset:         0
        .size:           4
        .value_kind:     by_value
      - .offset:         8
        .size:           424
        .value_kind:     by_value
    .group_segment_fixed_size: 0
    .kernarg_segment_align: 8
    .kernarg_segment_size: 432
    .language:       OpenCL C
    .language_version:
      - 2
      - 0
    .max_flat_workgroup_size: 128
    .name:           _ZN2at6native32elementwise_kernel_manual_unrollILi128ELi4EZNS0_12_GLOBAL__N_142type_specialized_broadcast_kernel_launcherILi1EE5applyIZZZNS0_12prelu_kernelERNS_14TensorIteratorEENKUlvE_clEvENKUlvE0_clEvEUlffE_St5arrayIPcLm3EESB_IN3c1010ScalarTypeELm3EE16OffsetCalculatorILi3EjLb0EEEEvlT_T0_T1_T2_EUlibE_EEviSL_
    .private_segment_fixed_size: 0
    .sgpr_count:     56
    .sgpr_spill_count: 0
    .symbol:         _ZN2at6native32elementwise_kernel_manual_unrollILi128ELi4EZNS0_12_GLOBAL__N_142type_specialized_broadcast_kernel_launcherILi1EE5applyIZZZNS0_12prelu_kernelERNS_14TensorIteratorEENKUlvE_clEvENKUlvE0_clEvEUlffE_St5arrayIPcLm3EESB_IN3c1010ScalarTypeELm3EE16OffsetCalculatorILi3EjLb0EEEEvlT_T0_T1_T2_EUlibE_EEviSL_.kd
    .uniform_work_group_size: 1
    .uses_dynamic_stack: false
    .vgpr_count:     25
    .vgpr_spill_count: 0
    .wavefront_size: 64
  - .agpr_count:     0
    .args:
      - .offset:         0
        .size:           4
        .value_kind:     by_value
      - .offset:         8
        .size:           424
        .value_kind:     by_value
    .group_segment_fixed_size: 0
    .kernarg_segment_align: 8
    .kernarg_segment_size: 432
    .language:       OpenCL C
    .language_version:
      - 2
      - 0
    .max_flat_workgroup_size: 128
    .name:           _ZN2at6native32elementwise_kernel_manual_unrollILi128ELi4EZNS0_12_GLOBAL__N_142type_specialized_broadcast_kernel_launcherILi2EE5applyIZZZNS0_12prelu_kernelERNS_14TensorIteratorEENKUlvE_clEvENKUlvE0_clEvEUlffE_St5arrayIPcLm3EESB_IN3c1010ScalarTypeELm3EE16OffsetCalculatorILi3EjLb0EEEEvlT_T0_T1_T2_EUlibE_EEviSL_
    .private_segment_fixed_size: 0
    .sgpr_count:     56
    .sgpr_spill_count: 0
    .symbol:         _ZN2at6native32elementwise_kernel_manual_unrollILi128ELi4EZNS0_12_GLOBAL__N_142type_specialized_broadcast_kernel_launcherILi2EE5applyIZZZNS0_12prelu_kernelERNS_14TensorIteratorEENKUlvE_clEvENKUlvE0_clEvEUlffE_St5arrayIPcLm3EESB_IN3c1010ScalarTypeELm3EE16OffsetCalculatorILi3EjLb0EEEEvlT_T0_T1_T2_EUlibE_EEviSL_.kd
    .uniform_work_group_size: 1
    .uses_dynamic_stack: false
    .vgpr_count:     25
    .vgpr_spill_count: 0
    .wavefront_size: 64
  - .agpr_count:     0
    .args:
      - .offset:         0
        .size:           4
        .value_kind:     by_value
      - .offset:         8
        .size:           424
        .value_kind:     by_value
    .group_segment_fixed_size: 0
    .kernarg_segment_align: 8
    .kernarg_segment_size: 432
    .language:       OpenCL C
    .language_version:
      - 2
      - 0
    .max_flat_workgroup_size: 128
    .name:           _ZN2at6native32elementwise_kernel_manual_unrollILi128ELi4EZNS0_12_GLOBAL__N_142type_specialized_broadcast_kernel_launcherILi3EE5applyIZZZNS0_12prelu_kernelERNS_14TensorIteratorEENKUlvE_clEvENKUlvE0_clEvEUlffE_St5arrayIPcLm3EESB_IN3c1010ScalarTypeELm3EE16OffsetCalculatorILi3EjLb0EEEEvlT_T0_T1_T2_EUlibE_EEviSL_
    .private_segment_fixed_size: 0
    .sgpr_count:     56
    .sgpr_spill_count: 0
    .symbol:         _ZN2at6native32elementwise_kernel_manual_unrollILi128ELi4EZNS0_12_GLOBAL__N_142type_specialized_broadcast_kernel_launcherILi3EE5applyIZZZNS0_12prelu_kernelERNS_14TensorIteratorEENKUlvE_clEvENKUlvE0_clEvEUlffE_St5arrayIPcLm3EESB_IN3c1010ScalarTypeELm3EE16OffsetCalculatorILi3EjLb0EEEEvlT_T0_T1_T2_EUlibE_EEviSL_.kd
    .uniform_work_group_size: 1
    .uses_dynamic_stack: false
    .vgpr_count:     25
    .vgpr_spill_count: 0
    .wavefront_size: 64
  - .agpr_count:     0
    .args:
      - .offset:         0
        .size:           4
        .value_kind:     by_value
      - .offset:         8
        .size:           424
        .value_kind:     by_value
    .group_segment_fixed_size: 0
    .kernarg_segment_align: 8
    .kernarg_segment_size: 432
    .language:       OpenCL C
    .language_version:
      - 2
      - 0
    .max_flat_workgroup_size: 128
    .name:           _ZN2at6native32elementwise_kernel_manual_unrollILi128ELi4EZNS0_12_GLOBAL__N_142type_specialized_broadcast_kernel_launcherILi4EE5applyIZZZNS0_12prelu_kernelERNS_14TensorIteratorEENKUlvE_clEvENKUlvE0_clEvEUlffE_St5arrayIPcLm3EESB_IN3c1010ScalarTypeELm3EE16OffsetCalculatorILi3EjLb0EEEEvlT_T0_T1_T2_EUlibE_EEviSL_
    .private_segment_fixed_size: 0
    .sgpr_count:     56
    .sgpr_spill_count: 0
    .symbol:         _ZN2at6native32elementwise_kernel_manual_unrollILi128ELi4EZNS0_12_GLOBAL__N_142type_specialized_broadcast_kernel_launcherILi4EE5applyIZZZNS0_12prelu_kernelERNS_14TensorIteratorEENKUlvE_clEvENKUlvE0_clEvEUlffE_St5arrayIPcLm3EESB_IN3c1010ScalarTypeELm3EE16OffsetCalculatorILi3EjLb0EEEEvlT_T0_T1_T2_EUlibE_EEviSL_.kd
    .uniform_work_group_size: 1
    .uses_dynamic_stack: false
    .vgpr_count:     25
    .vgpr_spill_count: 0
    .wavefront_size: 64
  - .agpr_count:     0
    .args:
      - .offset:         0
        .size:           4
        .value_kind:     by_value
      - .offset:         8
        .size:           424
        .value_kind:     by_value
    .group_segment_fixed_size: 0
    .kernarg_segment_align: 8
    .kernarg_segment_size: 432
    .language:       OpenCL C
    .language_version:
      - 2
      - 0
    .max_flat_workgroup_size: 128
    .name:           _ZN2at6native32elementwise_kernel_manual_unrollILi128ELi4EZNS0_12_GLOBAL__N_142type_specialized_broadcast_kernel_launcherILi5EE5applyIZZZNS0_12prelu_kernelERNS_14TensorIteratorEENKUlvE_clEvENKUlvE0_clEvEUlffE_St5arrayIPcLm3EESB_IN3c1010ScalarTypeELm3EE16OffsetCalculatorILi3EjLb0EEEEvlT_T0_T1_T2_EUlibE_EEviSL_
    .private_segment_fixed_size: 0
    .sgpr_count:     56
    .sgpr_spill_count: 0
    .symbol:         _ZN2at6native32elementwise_kernel_manual_unrollILi128ELi4EZNS0_12_GLOBAL__N_142type_specialized_broadcast_kernel_launcherILi5EE5applyIZZZNS0_12prelu_kernelERNS_14TensorIteratorEENKUlvE_clEvENKUlvE0_clEvEUlffE_St5arrayIPcLm3EESB_IN3c1010ScalarTypeELm3EE16OffsetCalculatorILi3EjLb0EEEEvlT_T0_T1_T2_EUlibE_EEviSL_.kd
    .uniform_work_group_size: 1
    .uses_dynamic_stack: false
    .vgpr_count:     25
    .vgpr_spill_count: 0
    .wavefront_size: 64
  - .agpr_count:     0
    .args:
      - .offset:         0
        .size:           4
        .value_kind:     by_value
      - .offset:         8
        .size:           424
        .value_kind:     by_value
    .group_segment_fixed_size: 0
    .kernarg_segment_align: 8
    .kernarg_segment_size: 432
    .language:       OpenCL C
    .language_version:
      - 2
      - 0
    .max_flat_workgroup_size: 128
    .name:           _ZN2at6native32elementwise_kernel_manual_unrollILi128ELi4EZNS0_15gpu_kernel_implIZZZNS0_12prelu_kernelERNS_14TensorIteratorEENKUlvE_clEvENKUlvE0_clEvEUlffE_EEvRNS_18TensorIteratorBaseERKT_EUlibE0_EEviT1_
    .private_segment_fixed_size: 0
    .sgpr_count:     82
    .sgpr_spill_count: 0
    .symbol:         _ZN2at6native32elementwise_kernel_manual_unrollILi128ELi4EZNS0_15gpu_kernel_implIZZZNS0_12prelu_kernelERNS_14TensorIteratorEENKUlvE_clEvENKUlvE0_clEvEUlffE_EEvRNS_18TensorIteratorBaseERKT_EUlibE0_EEviT1_.kd
    .uniform_work_group_size: 1
    .uses_dynamic_stack: false
    .vgpr_count:     26
    .vgpr_spill_count: 0
    .wavefront_size: 64
  - .agpr_count:     0
    .args:
      - .offset:         0
        .size:           4
        .value_kind:     by_value
      - .offset:         4
        .size:           1
        .value_kind:     by_value
      - .offset:         8
        .size:           24
        .value_kind:     by_value
    .group_segment_fixed_size: 0
    .kernarg_segment_align: 8
    .kernarg_segment_size: 32
    .language:       OpenCL C
    .language_version:
      - 2
      - 0
    .max_flat_workgroup_size: 256
    .name:           _ZN2at6native29vectorized_elementwise_kernelILi16EZZZNS0_12prelu_kernelERNS_14TensorIteratorEENKUlvE_clEvENKUlvE1_clEvEUlN3c108BFloat16ES7_E_St5arrayIPcLm3EEEEviT0_T1_
    .private_segment_fixed_size: 0
    .sgpr_count:     19
    .sgpr_spill_count: 0
    .symbol:         _ZN2at6native29vectorized_elementwise_kernelILi16EZZZNS0_12prelu_kernelERNS_14TensorIteratorEENKUlvE_clEvENKUlvE1_clEvEUlN3c108BFloat16ES7_E_St5arrayIPcLm3EEEEviT0_T1_.kd
    .uniform_work_group_size: 1
    .uses_dynamic_stack: false
    .vgpr_count:     24
    .vgpr_spill_count: 0
    .wavefront_size: 64
  - .agpr_count:     0
    .args:
      - .offset:         0
        .size:           4
        .value_kind:     by_value
      - .offset:         4
        .size:           1
        .value_kind:     by_value
      - .offset:         8
        .size:           24
        .value_kind:     by_value
    .group_segment_fixed_size: 0
    .kernarg_segment_align: 8
    .kernarg_segment_size: 32
    .language:       OpenCL C
    .language_version:
      - 2
      - 0
    .max_flat_workgroup_size: 256
    .name:           _ZN2at6native29vectorized_elementwise_kernelILi8EZZZNS0_12prelu_kernelERNS_14TensorIteratorEENKUlvE_clEvENKUlvE1_clEvEUlN3c108BFloat16ES7_E_St5arrayIPcLm3EEEEviT0_T1_
    .private_segment_fixed_size: 0
    .sgpr_count:     19
    .sgpr_spill_count: 0
    .symbol:         _ZN2at6native29vectorized_elementwise_kernelILi8EZZZNS0_12prelu_kernelERNS_14TensorIteratorEENKUlvE_clEvENKUlvE1_clEvEUlN3c108BFloat16ES7_E_St5arrayIPcLm3EEEEviT0_T1_.kd
    .uniform_work_group_size: 1
    .uses_dynamic_stack: false
    .vgpr_count:     24
    .vgpr_spill_count: 0
    .wavefront_size: 64
  - .agpr_count:     0
    .args:
      - .offset:         0
        .size:           4
        .value_kind:     by_value
      - .offset:         4
        .size:           1
        .value_kind:     by_value
      - .offset:         8
        .size:           24
        .value_kind:     by_value
    .group_segment_fixed_size: 0
    .kernarg_segment_align: 8
    .kernarg_segment_size: 32
    .language:       OpenCL C
    .language_version:
      - 2
      - 0
    .max_flat_workgroup_size: 256
    .name:           _ZN2at6native29vectorized_elementwise_kernelILi4EZZZNS0_12prelu_kernelERNS_14TensorIteratorEENKUlvE_clEvENKUlvE1_clEvEUlN3c108BFloat16ES7_E_St5arrayIPcLm3EEEEviT0_T1_
    .private_segment_fixed_size: 0
    .sgpr_count:     19
    .sgpr_spill_count: 0
    .symbol:         _ZN2at6native29vectorized_elementwise_kernelILi4EZZZNS0_12prelu_kernelERNS_14TensorIteratorEENKUlvE_clEvENKUlvE1_clEvEUlN3c108BFloat16ES7_E_St5arrayIPcLm3EEEEviT0_T1_.kd
    .uniform_work_group_size: 1
    .uses_dynamic_stack: false
    .vgpr_count:     24
    .vgpr_spill_count: 0
    .wavefront_size: 64
  - .agpr_count:     0
    .args:
      - .offset:         0
        .size:           4
        .value_kind:     by_value
      - .offset:         4
        .size:           1
        .value_kind:     by_value
      - .offset:         8
        .size:           24
        .value_kind:     by_value
    .group_segment_fixed_size: 0
    .kernarg_segment_align: 8
    .kernarg_segment_size: 32
    .language:       OpenCL C
    .language_version:
      - 2
      - 0
    .max_flat_workgroup_size: 256
    .name:           _ZN2at6native29vectorized_elementwise_kernelILi2EZZZNS0_12prelu_kernelERNS_14TensorIteratorEENKUlvE_clEvENKUlvE1_clEvEUlN3c108BFloat16ES7_E_St5arrayIPcLm3EEEEviT0_T1_
    .private_segment_fixed_size: 0
    .sgpr_count:     19
    .sgpr_spill_count: 0
    .symbol:         _ZN2at6native29vectorized_elementwise_kernelILi2EZZZNS0_12prelu_kernelERNS_14TensorIteratorEENKUlvE_clEvENKUlvE1_clEvEUlN3c108BFloat16ES7_E_St5arrayIPcLm3EEEEviT0_T1_.kd
    .uniform_work_group_size: 1
    .uses_dynamic_stack: false
    .vgpr_count:     24
    .vgpr_spill_count: 0
    .wavefront_size: 64
  - .agpr_count:     0
    .args:
      - .offset:         0
        .size:           4
        .value_kind:     by_value
      - .offset:         4
        .size:           1
        .value_kind:     by_value
      - .offset:         8
        .size:           24
        .value_kind:     by_value
      - .offset:         32
        .size:           1
        .value_kind:     by_value
      - .offset:         33
        .size:           1
        .value_kind:     by_value
      - .offset:         34
        .size:           1
        .value_kind:     by_value
      - .offset:         35
        .size:           1
        .value_kind:     by_value
    .group_segment_fixed_size: 0
    .kernarg_segment_align: 8
    .kernarg_segment_size: 36
    .language:       OpenCL C
    .language_version:
      - 2
      - 0
    .max_flat_workgroup_size: 256
    .name:           _ZN2at6native27unrolled_elementwise_kernelIZZZNS0_12prelu_kernelERNS_14TensorIteratorEENKUlvE_clEvENKUlvE1_clEvEUlN3c108BFloat16ES7_E_St5arrayIPcLm3EELi4E23TrivialOffsetCalculatorILi2EjESC_ILi1EjENS0_6memory15LoadWithoutCastENSF_16StoreWithoutCastEEEviT_T0_T2_T3_T4_T5_
    .private_segment_fixed_size: 0
    .sgpr_count:     16
    .sgpr_spill_count: 0
    .symbol:         _ZN2at6native27unrolled_elementwise_kernelIZZZNS0_12prelu_kernelERNS_14TensorIteratorEENKUlvE_clEvENKUlvE1_clEvEUlN3c108BFloat16ES7_E_St5arrayIPcLm3EELi4E23TrivialOffsetCalculatorILi2EjESC_ILi1EjENS0_6memory15LoadWithoutCastENSF_16StoreWithoutCastEEEviT_T0_T2_T3_T4_T5_.kd
    .uniform_work_group_size: 1
    .uses_dynamic_stack: false
    .vgpr_count:     14
    .vgpr_spill_count: 0
    .wavefront_size: 64
  - .agpr_count:     0
    .args:
      - .offset:         0
        .size:           4
        .value_kind:     by_value
      - .offset:         8
        .size:           424
        .value_kind:     by_value
    .group_segment_fixed_size: 0
    .kernarg_segment_align: 8
    .kernarg_segment_size: 432
    .language:       OpenCL C
    .language_version:
      - 2
      - 0
    .max_flat_workgroup_size: 128
    .name:           _ZN2at6native32elementwise_kernel_manual_unrollILi128ELi8EZNS0_22gpu_kernel_impl_nocastIZZZNS0_12prelu_kernelERNS_14TensorIteratorEENKUlvE_clEvENKUlvE1_clEvEUlN3c108BFloat16ES8_E_EEvRNS_18TensorIteratorBaseERKT_EUlibE_EEviT1_
    .private_segment_fixed_size: 0
    .sgpr_count:     56
    .sgpr_spill_count: 0
    .symbol:         _ZN2at6native32elementwise_kernel_manual_unrollILi128ELi8EZNS0_22gpu_kernel_impl_nocastIZZZNS0_12prelu_kernelERNS_14TensorIteratorEENKUlvE_clEvENKUlvE1_clEvEUlN3c108BFloat16ES8_E_EEvRNS_18TensorIteratorBaseERKT_EUlibE_EEviT1_.kd
    .uniform_work_group_size: 1
    .uses_dynamic_stack: false
    .vgpr_count:     49
    .vgpr_spill_count: 0
    .wavefront_size: 64
  - .agpr_count:     0
    .args:
      - .offset:         0
        .size:           4
        .value_kind:     by_value
      - .offset:         8
        .size:           40
        .value_kind:     by_value
    .group_segment_fixed_size: 0
    .kernarg_segment_align: 8
    .kernarg_segment_size: 48
    .language:       OpenCL C
    .language_version:
      - 2
      - 0
    .max_flat_workgroup_size: 128
    .name:           _ZN2at6native32elementwise_kernel_manual_unrollILi128ELi4EZNS0_15gpu_kernel_implIZZZNS0_12prelu_kernelERNS_14TensorIteratorEENKUlvE_clEvENKUlvE1_clEvEUlN3c108BFloat16ES8_E_EEvRNS_18TensorIteratorBaseERKT_EUlibE_EEviT1_
    .private_segment_fixed_size: 0
    .sgpr_count:     58
    .sgpr_spill_count: 0
    .symbol:         _ZN2at6native32elementwise_kernel_manual_unrollILi128ELi4EZNS0_15gpu_kernel_implIZZZNS0_12prelu_kernelERNS_14TensorIteratorEENKUlvE_clEvENKUlvE1_clEvEUlN3c108BFloat16ES8_E_EEvRNS_18TensorIteratorBaseERKT_EUlibE_EEviT1_.kd
    .uniform_work_group_size: 1
    .uses_dynamic_stack: false
    .vgpr_count:     17
    .vgpr_spill_count: 0
    .wavefront_size: 64
  - .agpr_count:     0
    .args:
      - .offset:         0
        .size:           4
        .value_kind:     by_value
      - .offset:         8
        .size:           424
        .value_kind:     by_value
    .group_segment_fixed_size: 0
    .kernarg_segment_align: 8
    .kernarg_segment_size: 432
    .language:       OpenCL C
    .language_version:
      - 2
      - 0
    .max_flat_workgroup_size: 128
    .name:           _ZN2at6native32elementwise_kernel_manual_unrollILi128ELi4EZNS0_15gpu_kernel_implIZZZNS0_12prelu_kernelERNS_14TensorIteratorEENKUlvE_clEvENKUlvE1_clEvEUlN3c108BFloat16ES8_E_EEvRNS_18TensorIteratorBaseERKT_EUlibE0_EEviT1_
    .private_segment_fixed_size: 0
    .sgpr_count:     82
    .sgpr_spill_count: 0
    .symbol:         _ZN2at6native32elementwise_kernel_manual_unrollILi128ELi4EZNS0_15gpu_kernel_implIZZZNS0_12prelu_kernelERNS_14TensorIteratorEENKUlvE_clEvENKUlvE1_clEvEUlN3c108BFloat16ES8_E_EEvRNS_18TensorIteratorBaseERKT_EUlibE0_EEviT1_.kd
    .uniform_work_group_size: 1
    .uses_dynamic_stack: false
    .vgpr_count:     26
    .vgpr_spill_count: 0
    .wavefront_size: 64
  - .agpr_count:     0
    .args:
      - .offset:         0
        .size:           4
        .value_kind:     by_value
      - .offset:         4
        .size:           1
        .value_kind:     by_value
      - .offset:         8
        .size:           24
        .value_kind:     by_value
    .group_segment_fixed_size: 0
    .kernarg_segment_align: 8
    .kernarg_segment_size: 32
    .language:       OpenCL C
    .language_version:
      - 2
      - 0
    .max_flat_workgroup_size: 256
    .name:           _ZN2at6native29vectorized_elementwise_kernelILi16EZZZNS0_12prelu_kernelERNS_14TensorIteratorEENKUlvE_clEvENKUlvE2_clEvEUlN3c104HalfES7_E_St5arrayIPcLm3EEEEviT0_T1_
    .private_segment_fixed_size: 0
    .sgpr_count:     18
    .sgpr_spill_count: 0
    .symbol:         _ZN2at6native29vectorized_elementwise_kernelILi16EZZZNS0_12prelu_kernelERNS_14TensorIteratorEENKUlvE_clEvENKUlvE2_clEvEUlN3c104HalfES7_E_St5arrayIPcLm3EEEEviT0_T1_.kd
    .uniform_work_group_size: 1
    .uses_dynamic_stack: false
    .vgpr_count:     24
    .vgpr_spill_count: 0
    .wavefront_size: 64
  - .agpr_count:     0
    .args:
      - .offset:         0
        .size:           4
        .value_kind:     by_value
      - .offset:         4
        .size:           1
        .value_kind:     by_value
      - .offset:         8
        .size:           24
        .value_kind:     by_value
    .group_segment_fixed_size: 0
    .kernarg_segment_align: 8
    .kernarg_segment_size: 32
    .language:       OpenCL C
    .language_version:
      - 2
      - 0
    .max_flat_workgroup_size: 256
    .name:           _ZN2at6native29vectorized_elementwise_kernelILi8EZZZNS0_12prelu_kernelERNS_14TensorIteratorEENKUlvE_clEvENKUlvE2_clEvEUlN3c104HalfES7_E_St5arrayIPcLm3EEEEviT0_T1_
    .private_segment_fixed_size: 0
    .sgpr_count:     18
    .sgpr_spill_count: 0
    .symbol:         _ZN2at6native29vectorized_elementwise_kernelILi8EZZZNS0_12prelu_kernelERNS_14TensorIteratorEENKUlvE_clEvENKUlvE2_clEvEUlN3c104HalfES7_E_St5arrayIPcLm3EEEEviT0_T1_.kd
    .uniform_work_group_size: 1
    .uses_dynamic_stack: false
    .vgpr_count:     24
    .vgpr_spill_count: 0
    .wavefront_size: 64
  - .agpr_count:     0
    .args:
      - .offset:         0
        .size:           4
        .value_kind:     by_value
      - .offset:         4
        .size:           1
        .value_kind:     by_value
      - .offset:         8
        .size:           24
        .value_kind:     by_value
    .group_segment_fixed_size: 0
    .kernarg_segment_align: 8
    .kernarg_segment_size: 32
    .language:       OpenCL C
    .language_version:
      - 2
      - 0
    .max_flat_workgroup_size: 256
    .name:           _ZN2at6native29vectorized_elementwise_kernelILi4EZZZNS0_12prelu_kernelERNS_14TensorIteratorEENKUlvE_clEvENKUlvE2_clEvEUlN3c104HalfES7_E_St5arrayIPcLm3EEEEviT0_T1_
    .private_segment_fixed_size: 0
    .sgpr_count:     20
    .sgpr_spill_count: 0
    .symbol:         _ZN2at6native29vectorized_elementwise_kernelILi4EZZZNS0_12prelu_kernelERNS_14TensorIteratorEENKUlvE_clEvENKUlvE2_clEvEUlN3c104HalfES7_E_St5arrayIPcLm3EEEEviT0_T1_.kd
    .uniform_work_group_size: 1
    .uses_dynamic_stack: false
    .vgpr_count:     24
    .vgpr_spill_count: 0
    .wavefront_size: 64
  - .agpr_count:     0
    .args:
      - .offset:         0
        .size:           4
        .value_kind:     by_value
      - .offset:         4
        .size:           1
        .value_kind:     by_value
      - .offset:         8
        .size:           24
        .value_kind:     by_value
    .group_segment_fixed_size: 0
    .kernarg_segment_align: 8
    .kernarg_segment_size: 32
    .language:       OpenCL C
    .language_version:
      - 2
      - 0
    .max_flat_workgroup_size: 256
    .name:           _ZN2at6native29vectorized_elementwise_kernelILi2EZZZNS0_12prelu_kernelERNS_14TensorIteratorEENKUlvE_clEvENKUlvE2_clEvEUlN3c104HalfES7_E_St5arrayIPcLm3EEEEviT0_T1_
    .private_segment_fixed_size: 0
    .sgpr_count:     20
    .sgpr_spill_count: 0
    .symbol:         _ZN2at6native29vectorized_elementwise_kernelILi2EZZZNS0_12prelu_kernelERNS_14TensorIteratorEENKUlvE_clEvENKUlvE2_clEvEUlN3c104HalfES7_E_St5arrayIPcLm3EEEEviT0_T1_.kd
    .uniform_work_group_size: 1
    .uses_dynamic_stack: false
    .vgpr_count:     24
    .vgpr_spill_count: 0
    .wavefront_size: 64
  - .agpr_count:     0
    .args:
      - .offset:         0
        .size:           4
        .value_kind:     by_value
      - .offset:         4
        .size:           1
        .value_kind:     by_value
      - .offset:         8
        .size:           24
        .value_kind:     by_value
      - .offset:         32
        .size:           1
        .value_kind:     by_value
      - .offset:         33
        .size:           1
        .value_kind:     by_value
      - .offset:         34
        .size:           1
        .value_kind:     by_value
      - .offset:         35
        .size:           1
        .value_kind:     by_value
    .group_segment_fixed_size: 0
    .kernarg_segment_align: 8
    .kernarg_segment_size: 36
    .language:       OpenCL C
    .language_version:
      - 2
      - 0
    .max_flat_workgroup_size: 256
    .name:           _ZN2at6native27unrolled_elementwise_kernelIZZZNS0_12prelu_kernelERNS_14TensorIteratorEENKUlvE_clEvENKUlvE2_clEvEUlN3c104HalfES7_E_St5arrayIPcLm3EELi4E23TrivialOffsetCalculatorILi2EjESC_ILi1EjENS0_6memory15LoadWithoutCastENSF_16StoreWithoutCastEEEviT_T0_T2_T3_T4_T5_
    .private_segment_fixed_size: 0
    .sgpr_count:     16
    .sgpr_spill_count: 0
    .symbol:         _ZN2at6native27unrolled_elementwise_kernelIZZZNS0_12prelu_kernelERNS_14TensorIteratorEENKUlvE_clEvENKUlvE2_clEvEUlN3c104HalfES7_E_St5arrayIPcLm3EELi4E23TrivialOffsetCalculatorILi2EjESC_ILi1EjENS0_6memory15LoadWithoutCastENSF_16StoreWithoutCastEEEviT_T0_T2_T3_T4_T5_.kd
    .uniform_work_group_size: 1
    .uses_dynamic_stack: false
    .vgpr_count:     16
    .vgpr_spill_count: 0
    .wavefront_size: 64
  - .agpr_count:     0
    .args:
      - .offset:         0
        .size:           4
        .value_kind:     by_value
      - .offset:         8
        .size:           424
        .value_kind:     by_value
    .group_segment_fixed_size: 0
    .kernarg_segment_align: 8
    .kernarg_segment_size: 432
    .language:       OpenCL C
    .language_version:
      - 2
      - 0
    .max_flat_workgroup_size: 128
    .name:           _ZN2at6native32elementwise_kernel_manual_unrollILi128ELi8EZNS0_22gpu_kernel_impl_nocastIZZZNS0_12prelu_kernelERNS_14TensorIteratorEENKUlvE_clEvENKUlvE2_clEvEUlN3c104HalfES8_E_EEvRNS_18TensorIteratorBaseERKT_EUlibE_EEviT1_
    .private_segment_fixed_size: 0
    .sgpr_count:     56
    .sgpr_spill_count: 0
    .symbol:         _ZN2at6native32elementwise_kernel_manual_unrollILi128ELi8EZNS0_22gpu_kernel_impl_nocastIZZZNS0_12prelu_kernelERNS_14TensorIteratorEENKUlvE_clEvENKUlvE2_clEvEUlN3c104HalfES8_E_EEvRNS_18TensorIteratorBaseERKT_EUlibE_EEviT1_.kd
    .uniform_work_group_size: 1
    .uses_dynamic_stack: false
    .vgpr_count:     49
    .vgpr_spill_count: 0
    .wavefront_size: 64
  - .agpr_count:     0
    .args:
      - .offset:         0
        .size:           4
        .value_kind:     by_value
      - .offset:         8
        .size:           40
        .value_kind:     by_value
    .group_segment_fixed_size: 0
    .kernarg_segment_align: 8
    .kernarg_segment_size: 48
    .language:       OpenCL C
    .language_version:
      - 2
      - 0
    .max_flat_workgroup_size: 128
    .name:           _ZN2at6native32elementwise_kernel_manual_unrollILi128ELi4EZNS0_15gpu_kernel_implIZZZNS0_12prelu_kernelERNS_14TensorIteratorEENKUlvE_clEvENKUlvE2_clEvEUlN3c104HalfES8_E_EEvRNS_18TensorIteratorBaseERKT_EUlibE_EEviT1_
    .private_segment_fixed_size: 0
    .sgpr_count:     58
    .sgpr_spill_count: 0
    .symbol:         _ZN2at6native32elementwise_kernel_manual_unrollILi128ELi4EZNS0_15gpu_kernel_implIZZZNS0_12prelu_kernelERNS_14TensorIteratorEENKUlvE_clEvENKUlvE2_clEvEUlN3c104HalfES8_E_EEvRNS_18TensorIteratorBaseERKT_EUlibE_EEviT1_.kd
    .uniform_work_group_size: 1
    .uses_dynamic_stack: false
    .vgpr_count:     19
    .vgpr_spill_count: 0
    .wavefront_size: 64
  - .agpr_count:     0
    .args:
      - .offset:         0
        .size:           4
        .value_kind:     by_value
      - .offset:         8
        .size:           424
        .value_kind:     by_value
    .group_segment_fixed_size: 0
    .kernarg_segment_align: 8
    .kernarg_segment_size: 432
    .language:       OpenCL C
    .language_version:
      - 2
      - 0
    .max_flat_workgroup_size: 128
    .name:           _ZN2at6native32elementwise_kernel_manual_unrollILi128ELi4EZNS0_15gpu_kernel_implIZZZNS0_12prelu_kernelERNS_14TensorIteratorEENKUlvE_clEvENKUlvE2_clEvEUlN3c104HalfES8_E_EEvRNS_18TensorIteratorBaseERKT_EUlibE0_EEviT1_
    .private_segment_fixed_size: 0
    .sgpr_count:     82
    .sgpr_spill_count: 0
    .symbol:         _ZN2at6native32elementwise_kernel_manual_unrollILi128ELi4EZNS0_15gpu_kernel_implIZZZNS0_12prelu_kernelERNS_14TensorIteratorEENKUlvE_clEvENKUlvE2_clEvEUlN3c104HalfES8_E_EEvRNS_18TensorIteratorBaseERKT_EUlibE0_EEviT1_.kd
    .uniform_work_group_size: 1
    .uses_dynamic_stack: false
    .vgpr_count:     26
    .vgpr_spill_count: 0
    .wavefront_size: 64
  - .agpr_count:     0
    .args:
      - .offset:         0
        .size:           4
        .value_kind:     by_value
      - .offset:         4
        .size:           1
        .value_kind:     by_value
      - .offset:         8
        .size:           40
        .value_kind:     by_value
      - .offset:         48
        .size:           1
        .value_kind:     by_value
      - .offset:         49
        .size:           1
        .value_kind:     by_value
    .group_segment_fixed_size: 0
    .kernarg_segment_align: 8
    .kernarg_segment_size: 52
    .language:       OpenCL C
    .language_version:
      - 2
      - 0
    .max_flat_workgroup_size: 256
    .name:           _ZN2at6native12_GLOBAL__N_145unrolled_elementwise_kernel_for_multi_outputsILi2EZZZNS0_21prelu_backward_kernelERNS_14TensorIteratorEENKUlvE_clEvENKUlvE_clEvEUldddE_St5arrayIPcLm5EE23TrivialOffsetCalculatorILi3EjESB_ILi2EjEEEviT0_T1_T2_T3_
    .private_segment_fixed_size: 176
    .sgpr_count:     30
    .sgpr_spill_count: 0
    .symbol:         _ZN2at6native12_GLOBAL__N_145unrolled_elementwise_kernel_for_multi_outputsILi2EZZZNS0_21prelu_backward_kernelERNS_14TensorIteratorEENKUlvE_clEvENKUlvE_clEvEUldddE_St5arrayIPcLm5EE23TrivialOffsetCalculatorILi3EjESB_ILi2EjEEEviT0_T1_T2_T3_.kd
    .uniform_work_group_size: 1
    .uses_dynamic_stack: false
    .vgpr_count:     20
    .vgpr_spill_count: 0
    .wavefront_size: 64
  - .agpr_count:     0
    .args:
      - .offset:         0
        .size:           4
        .value_kind:     by_value
      - .offset:         4
        .size:           1
        .value_kind:     by_value
      - .offset:         8
        .size:           40
        .value_kind:     by_value
      - .offset:         48
        .size:           388
        .value_kind:     by_value
      - .offset:         436
        .size:           324
        .value_kind:     by_value
    .group_segment_fixed_size: 0
    .kernarg_segment_align: 8
    .kernarg_segment_size: 760
    .language:       OpenCL C
    .language_version:
      - 2
      - 0
    .max_flat_workgroup_size: 256
    .name:           _ZN2at6native12_GLOBAL__N_145unrolled_elementwise_kernel_for_multi_outputsILi2EZZZNS0_21prelu_backward_kernelERNS_14TensorIteratorEENKUlvE_clEvENKUlvE_clEvEUldddE_St5arrayIPcLm5EE16OffsetCalculatorILi3EjLb0EESB_ILi2EjLb0EEEEviT0_T1_T2_T3_
    .private_segment_fixed_size: 944
    .sgpr_count:     52
    .sgpr_spill_count: 0
    .symbol:         _ZN2at6native12_GLOBAL__N_145unrolled_elementwise_kernel_for_multi_outputsILi2EZZZNS0_21prelu_backward_kernelERNS_14TensorIteratorEENKUlvE_clEvENKUlvE_clEvEUldddE_St5arrayIPcLm5EE16OffsetCalculatorILi3EjLb0EESB_ILi2EjLb0EEEEviT0_T1_T2_T3_.kd
    .uniform_work_group_size: 1
    .uses_dynamic_stack: false
    .vgpr_count:     42
    .vgpr_spill_count: 0
    .wavefront_size: 64
  - .agpr_count:     0
    .args:
      - .offset:         0
        .size:           4
        .value_kind:     by_value
      - .offset:         4
        .size:           1
        .value_kind:     by_value
      - .offset:         8
        .size:           40
        .value_kind:     by_value
      - .offset:         48
        .size:           1
        .value_kind:     by_value
      - .offset:         49
        .size:           1
        .value_kind:     by_value
    .group_segment_fixed_size: 8192
    .kernarg_segment_align: 8
    .kernarg_segment_size: 52
    .language:       OpenCL C
    .language_version:
      - 2
      - 0
    .max_flat_workgroup_size: 256
    .name:           _ZN2at6native12_GLOBAL__N_145unrolled_elementwise_kernel_for_multi_outputsILi2EZZZNS0_21prelu_backward_kernelERNS_14TensorIteratorEENKUlvE_clEvENKUlvE0_clEvEUlfffE_St5arrayIPcLm5EE23TrivialOffsetCalculatorILi3EjESB_ILi2EjEEEviT0_T1_T2_T3_
    .private_segment_fixed_size: 64
    .sgpr_count:     30
    .sgpr_spill_count: 0
    .symbol:         _ZN2at6native12_GLOBAL__N_145unrolled_elementwise_kernel_for_multi_outputsILi2EZZZNS0_21prelu_backward_kernelERNS_14TensorIteratorEENKUlvE_clEvENKUlvE0_clEvEUlfffE_St5arrayIPcLm5EE23TrivialOffsetCalculatorILi3EjESB_ILi2EjEEEviT0_T1_T2_T3_.kd
    .uniform_work_group_size: 1
    .uses_dynamic_stack: false
    .vgpr_count:     17
    .vgpr_spill_count: 0
    .wavefront_size: 64
  - .agpr_count:     0
    .args:
      - .offset:         0
        .size:           4
        .value_kind:     by_value
      - .offset:         4
        .size:           1
        .value_kind:     by_value
      - .offset:         8
        .size:           40
        .value_kind:     by_value
      - .offset:         48
        .size:           388
        .value_kind:     by_value
      - .offset:         436
        .size:           324
        .value_kind:     by_value
    .group_segment_fixed_size: 8192
    .kernarg_segment_align: 8
    .kernarg_segment_size: 760
    .language:       OpenCL C
    .language_version:
      - 2
      - 0
    .max_flat_workgroup_size: 256
    .name:           _ZN2at6native12_GLOBAL__N_145unrolled_elementwise_kernel_for_multi_outputsILi2EZZZNS0_21prelu_backward_kernelERNS_14TensorIteratorEENKUlvE_clEvENKUlvE0_clEvEUlfffE_St5arrayIPcLm5EE16OffsetCalculatorILi3EjLb0EESB_ILi2EjLb0EEEEviT0_T1_T2_T3_
    .private_segment_fixed_size: 832
    .sgpr_count:     52
    .sgpr_spill_count: 0
    .symbol:         _ZN2at6native12_GLOBAL__N_145unrolled_elementwise_kernel_for_multi_outputsILi2EZZZNS0_21prelu_backward_kernelERNS_14TensorIteratorEENKUlvE_clEvENKUlvE0_clEvEUlfffE_St5arrayIPcLm5EE16OffsetCalculatorILi3EjLb0EESB_ILi2EjLb0EEEEviT0_T1_T2_T3_.kd
    .uniform_work_group_size: 1
    .uses_dynamic_stack: false
    .vgpr_count:     42
    .vgpr_spill_count: 0
    .wavefront_size: 64
  - .agpr_count:     0
    .args:
      - .offset:         0
        .size:           4
        .value_kind:     by_value
      - .offset:         4
        .size:           1
        .value_kind:     by_value
      - .offset:         8
        .size:           40
        .value_kind:     by_value
      - .offset:         48
        .size:           1
        .value_kind:     by_value
      - .offset:         49
        .size:           1
        .value_kind:     by_value
    .group_segment_fixed_size: 6144
    .kernarg_segment_align: 8
    .kernarg_segment_size: 52
    .language:       OpenCL C
    .language_version:
      - 2
      - 0
    .max_flat_workgroup_size: 256
    .name:           _ZN2at6native12_GLOBAL__N_145unrolled_elementwise_kernel_for_multi_outputsILi2EZZZNS0_21prelu_backward_kernelERNS_14TensorIteratorEENKUlvE_clEvENKUlvE1_clEvEUlN3c108BFloat16ES8_S8_E_St5arrayIPcLm5EE23TrivialOffsetCalculatorILi3EjESD_ILi2EjEEEviT0_T1_T2_T3_
    .private_segment_fixed_size: 32
    .sgpr_count:     30
    .sgpr_spill_count: 0
    .symbol:         _ZN2at6native12_GLOBAL__N_145unrolled_elementwise_kernel_for_multi_outputsILi2EZZZNS0_21prelu_backward_kernelERNS_14TensorIteratorEENKUlvE_clEvENKUlvE1_clEvEUlN3c108BFloat16ES8_S8_E_St5arrayIPcLm5EE23TrivialOffsetCalculatorILi3EjESD_ILi2EjEEEviT0_T1_T2_T3_.kd
    .uniform_work_group_size: 1
    .uses_dynamic_stack: false
    .vgpr_count:     17
    .vgpr_spill_count: 0
    .wavefront_size: 64
  - .agpr_count:     0
    .args:
      - .offset:         0
        .size:           4
        .value_kind:     by_value
      - .offset:         4
        .size:           1
        .value_kind:     by_value
      - .offset:         8
        .size:           40
        .value_kind:     by_value
      - .offset:         48
        .size:           388
        .value_kind:     by_value
      - .offset:         436
        .size:           324
        .value_kind:     by_value
    .group_segment_fixed_size: 6144
    .kernarg_segment_align: 8
    .kernarg_segment_size: 760
    .language:       OpenCL C
    .language_version:
      - 2
      - 0
    .max_flat_workgroup_size: 256
    .name:           _ZN2at6native12_GLOBAL__N_145unrolled_elementwise_kernel_for_multi_outputsILi2EZZZNS0_21prelu_backward_kernelERNS_14TensorIteratorEENKUlvE_clEvENKUlvE1_clEvEUlN3c108BFloat16ES8_S8_E_St5arrayIPcLm5EE16OffsetCalculatorILi3EjLb0EESD_ILi2EjLb0EEEEviT0_T1_T2_T3_
    .private_segment_fixed_size: 800
    .sgpr_count:     52
    .sgpr_spill_count: 0
    .symbol:         _ZN2at6native12_GLOBAL__N_145unrolled_elementwise_kernel_for_multi_outputsILi2EZZZNS0_21prelu_backward_kernelERNS_14TensorIteratorEENKUlvE_clEvENKUlvE1_clEvEUlN3c108BFloat16ES8_S8_E_St5arrayIPcLm5EE16OffsetCalculatorILi3EjLb0EESD_ILi2EjLb0EEEEviT0_T1_T2_T3_.kd
    .uniform_work_group_size: 1
    .uses_dynamic_stack: false
    .vgpr_count:     42
    .vgpr_spill_count: 0
    .wavefront_size: 64
  - .agpr_count:     0
    .args:
      - .offset:         0
        .size:           4
        .value_kind:     by_value
      - .offset:         4
        .size:           1
        .value_kind:     by_value
      - .offset:         8
        .size:           40
        .value_kind:     by_value
      - .offset:         48
        .size:           1
        .value_kind:     by_value
      - .offset:         49
        .size:           1
        .value_kind:     by_value
    .group_segment_fixed_size: 6144
    .kernarg_segment_align: 8
    .kernarg_segment_size: 52
    .language:       OpenCL C
    .language_version:
      - 2
      - 0
    .max_flat_workgroup_size: 256
    .name:           _ZN2at6native12_GLOBAL__N_145unrolled_elementwise_kernel_for_multi_outputsILi2EZZZNS0_21prelu_backward_kernelERNS_14TensorIteratorEENKUlvE_clEvENKUlvE2_clEvEUlN3c104HalfES8_S8_E_St5arrayIPcLm5EE23TrivialOffsetCalculatorILi3EjESD_ILi2EjEEEviT0_T1_T2_T3_
    .private_segment_fixed_size: 32
    .sgpr_count:     30
    .sgpr_spill_count: 0
    .symbol:         _ZN2at6native12_GLOBAL__N_145unrolled_elementwise_kernel_for_multi_outputsILi2EZZZNS0_21prelu_backward_kernelERNS_14TensorIteratorEENKUlvE_clEvENKUlvE2_clEvEUlN3c104HalfES8_S8_E_St5arrayIPcLm5EE23TrivialOffsetCalculatorILi3EjESD_ILi2EjEEEviT0_T1_T2_T3_.kd
    .uniform_work_group_size: 1
    .uses_dynamic_stack: false
    .vgpr_count:     17
    .vgpr_spill_count: 0
    .wavefront_size: 64
  - .agpr_count:     0
    .args:
      - .offset:         0
        .size:           4
        .value_kind:     by_value
      - .offset:         4
        .size:           1
        .value_kind:     by_value
      - .offset:         8
        .size:           40
        .value_kind:     by_value
      - .offset:         48
        .size:           388
        .value_kind:     by_value
      - .offset:         436
        .size:           324
        .value_kind:     by_value
    .group_segment_fixed_size: 6144
    .kernarg_segment_align: 8
    .kernarg_segment_size: 760
    .language:       OpenCL C
    .language_version:
      - 2
      - 0
    .max_flat_workgroup_size: 256
    .name:           _ZN2at6native12_GLOBAL__N_145unrolled_elementwise_kernel_for_multi_outputsILi2EZZZNS0_21prelu_backward_kernelERNS_14TensorIteratorEENKUlvE_clEvENKUlvE2_clEvEUlN3c104HalfES8_S8_E_St5arrayIPcLm5EE16OffsetCalculatorILi3EjLb0EESD_ILi2EjLb0EEEEviT0_T1_T2_T3_
    .private_segment_fixed_size: 800
    .sgpr_count:     52
    .sgpr_spill_count: 0
    .symbol:         _ZN2at6native12_GLOBAL__N_145unrolled_elementwise_kernel_for_multi_outputsILi2EZZZNS0_21prelu_backward_kernelERNS_14TensorIteratorEENKUlvE_clEvENKUlvE2_clEvEUlN3c104HalfES8_S8_E_St5arrayIPcLm5EE16OffsetCalculatorILi3EjLb0EESD_ILi2EjLb0EEEEviT0_T1_T2_T3_.kd
    .uniform_work_group_size: 1
    .uses_dynamic_stack: false
    .vgpr_count:     42
    .vgpr_spill_count: 0
    .wavefront_size: 64
amdhsa.target:   amdgcn-amd-amdhsa--gfx90a
amdhsa.version:
  - 1
  - 2
...

	.end_amdgpu_metadata
